;; amdgpu-corpus repo=zjin-lcf/HeCBench kind=compiled arch=gfx1100 opt=O3
	.text
	.amdgcn_target "amdgcn-amd-amdhsa--gfx1100"
	.amdhsa_code_object_version 6
	.section	.text._Z11ratt_kernelIfEvPKT_PS0_S0_,"axG",@progbits,_Z11ratt_kernelIfEvPKT_PS0_S0_,comdat
	.protected	_Z11ratt_kernelIfEvPKT_PS0_S0_ ; -- Begin function _Z11ratt_kernelIfEvPKT_PS0_S0_
	.globl	_Z11ratt_kernelIfEvPKT_PS0_S0_
	.p2align	8
	.type	_Z11ratt_kernelIfEvPKT_PS0_S0_,@function
_Z11ratt_kernelIfEvPKT_PS0_S0_:         ; @_Z11ratt_kernelIfEvPKT_PS0_S0_
; %bb.0:
	s_clause 0x3
	s_load_b128 s[4:7], s[0:1], 0x0
	s_load_b32 s2, s[0:1], 0x10
	s_load_b32 s3, s[0:1], 0x18
	;; [unrolled: 1-line block ×3, first 2 shown]
	s_waitcnt lgkmcnt(0)
	s_and_b32 s1, s0, 0xffff
	s_delay_alu instid0(SALU_CYCLE_1) | instskip(SKIP_1) | instid1(VALU_DEP_1)
	v_mad_u64_u32 v[1:2], null, s15, s1, v[0:1]
	v_mov_b32_e32 v2, 0
	v_lshlrev_b64 v[4:5], 2, v[1:2]
	s_delay_alu instid0(VALU_DEP_1) | instskip(NEXT) | instid1(VALU_DEP_2)
	v_add_co_u32 v6, vcc_lo, s4, v4
	v_add_co_ci_u32_e32 v7, vcc_lo, s5, v5, vcc_lo
	s_mov_b32 s4, 0x4381940b
	s_mov_b32 s5, 0xc662728f
	global_load_b32 v0, v[6:7], off
	s_waitcnt vmcnt(0)
	v_mul_f32_e32 v3, s2, v0
	s_mov_b32 s2, 0x3ee872b0
	s_delay_alu instid0(VALU_DEP_1) | instskip(SKIP_1) | instid1(VALU_DEP_1)
	v_cmp_gt_f32_e32 vcc_lo, 0x800000, v3
	v_cndmask_b32_e64 v0, 1.0, 0x4f800000, vcc_lo
	v_mul_f32_e32 v0, v3, v0
	s_delay_alu instid0(VALU_DEP_1) | instskip(SKIP_3) | instid1(VALU_DEP_2)
	v_log_f32_e32 v0, v0
	s_waitcnt_depctr 0xfff
	v_mul_f32_e32 v6, 0x3f317217, v0
	v_cmp_gt_f32_e64 s0, 0x7f800000, |v0|
	v_fma_f32 v7, 0x3f317217, v0, -v6
	s_delay_alu instid0(VALU_DEP_1) | instskip(NEXT) | instid1(VALU_DEP_1)
	v_fmamk_f32 v7, v0, 0x3377d1cf, v7
	v_add_f32_e32 v6, v6, v7
	s_delay_alu instid0(VALU_DEP_1) | instskip(SKIP_2) | instid1(VALU_DEP_1)
	v_cndmask_b32_e64 v0, v0, v6, s0
	v_cndmask_b32_e64 v6, 0, 0x41b17218, vcc_lo
	s_mov_b32 s0, 0xc5e2a6e5
	v_sub_f32_e32 v0, v0, v6
	v_div_scale_f32 v6, null, v3, v3, 1.0
	s_delay_alu instid0(VALU_DEP_1) | instskip(SKIP_2) | instid1(VALU_DEP_1)
	v_rcp_f32_e32 v7, v6
	s_waitcnt_depctr 0xfff
	v_fma_f32 v8, -v6, v7, 1.0
	v_fmac_f32_e32 v7, v8, v7
	v_div_scale_f32 v8, vcc_lo, 1.0, v3, 1.0
	s_delay_alu instid0(VALU_DEP_1) | instskip(NEXT) | instid1(VALU_DEP_1)
	v_mul_f32_e32 v9, v8, v7
	v_fma_f32 v10, -v6, v9, v8
	s_delay_alu instid0(VALU_DEP_1) | instskip(NEXT) | instid1(VALU_DEP_1)
	v_fmac_f32_e32 v9, v10, v7
	v_fma_f32 v6, -v6, v9, v8
	s_delay_alu instid0(VALU_DEP_1) | instskip(NEXT) | instid1(VALU_DEP_1)
	v_div_fmas_f32 v6, v6, v7, v9
	v_div_fixup_f32 v3, v6, v3, 1.0
	s_delay_alu instid0(VALU_DEP_1) | instskip(SKIP_2) | instid1(VALU_DEP_2)
	v_fmaak_f32 v7, s0, v3, 0x4200330f
	s_mov_b32 s0, 0x402ae148
	v_mul_f32_e32 v6, v3, v3
	v_mul_f32_e32 v8, 0x3fb8aa3b, v7
	s_delay_alu instid0(VALU_DEP_1) | instskip(SKIP_1) | instid1(VALU_DEP_1)
	v_fma_f32 v9, 0x3fb8aa3b, v7, -v8
	v_rndne_f32_e32 v10, v8
	v_sub_f32_e32 v8, v8, v10
	v_cmp_ngt_f32_e32 vcc_lo, 0xc2ce8ed0, v7
	s_delay_alu instid0(VALU_DEP_4) | instskip(NEXT) | instid1(VALU_DEP_1)
	v_fmac_f32_e32 v9, 0x32a5705f, v7
	v_add_f32_e32 v8, v8, v9
	v_cvt_i32_f32_e32 v9, v10
	s_delay_alu instid0(VALU_DEP_2) | instskip(SKIP_2) | instid1(VALU_DEP_1)
	v_exp_f32_e32 v8, v8
	s_waitcnt_depctr 0xfff
	v_ldexp_f32 v8, v8, v9
	v_cndmask_b32_e32 v8, 0, v8, vcc_lo
	v_cmp_nlt_f32_e32 vcc_lo, 0x42b17218, v7
	s_delay_alu instid0(VALU_DEP_2)
	v_cndmask_b32_e32 v7, 0x7f800000, v8, vcc_lo
	v_add_co_u32 v4, vcc_lo, s6, v4
	v_add_co_ci_u32_e32 v5, vcc_lo, s7, v5, vcc_lo
	global_store_b32 v[4:5], v7, off
	v_fmaak_f32 v4, s0, v0, 0x412d1dd0
	s_mul_i32 s0, s3, s1
	s_mov_b32 s1, 0x3fc147ae
	v_add_nc_u32_e32 v1, s0, v1
	s_mov_b32 s3, 0x3fc00000
	v_fmamk_f32 v4, v3, 0xc545d3ba, v4
	s_delay_alu instid0(VALU_DEP_1) | instskip(NEXT) | instid1(VALU_DEP_1)
	v_mul_f32_e32 v5, 0x3fb8aa3b, v4
	v_fma_f32 v7, 0x3fb8aa3b, v4, -v5
	v_rndne_f32_e32 v8, v5
	s_delay_alu instid0(VALU_DEP_1) | instskip(NEXT) | instid1(VALU_DEP_3)
	v_sub_f32_e32 v5, v5, v8
	v_fmac_f32_e32 v7, 0x32a5705f, v4
	v_cmp_ngt_f32_e32 vcc_lo, 0xc2ce8ed0, v4
	s_delay_alu instid0(VALU_DEP_2) | instskip(SKIP_1) | instid1(VALU_DEP_2)
	v_add_f32_e32 v5, v5, v7
	v_cvt_i32_f32_e32 v7, v8
	v_exp_f32_e32 v5, v5
	s_waitcnt_depctr 0xfff
	v_ldexp_f32 v5, v5, v7
	s_delay_alu instid0(VALU_DEP_1) | instskip(SKIP_1) | instid1(VALU_DEP_2)
	v_cndmask_b32_e32 v5, 0, v5, vcc_lo
	v_cmp_nlt_f32_e32 vcc_lo, 0x42b17218, v4
	v_cndmask_b32_e32 v7, 0x7f800000, v5, vcc_lo
	v_lshlrev_b64 v[4:5], 2, v[1:2]
	v_add_nc_u32_e32 v1, s0, v1
	s_delay_alu instid0(VALU_DEP_2) | instskip(NEXT) | instid1(VALU_DEP_3)
	v_add_co_u32 v4, vcc_lo, s6, v4
	v_add_co_ci_u32_e32 v5, vcc_lo, s7, v5, vcc_lo
	global_store_b32 v[4:5], v7, off
	v_fmaak_f32 v4, s1, v0, 0x419986bc
	s_mov_b32 s1, 0x4019999a
	s_delay_alu instid0(VALU_DEP_1) | instskip(NEXT) | instid1(VALU_DEP_1)
	v_fmamk_f32 v4, v3, 0xc4d7c110, v4
	v_mul_f32_e32 v5, 0x3fb8aa3b, v4
	v_cmp_ngt_f32_e32 vcc_lo, 0xc2ce8ed0, v4
	s_delay_alu instid0(VALU_DEP_2) | instskip(SKIP_1) | instid1(VALU_DEP_2)
	v_fma_f32 v7, 0x3fb8aa3b, v4, -v5
	v_rndne_f32_e32 v8, v5
	v_fmac_f32_e32 v7, 0x32a5705f, v4
	s_delay_alu instid0(VALU_DEP_2) | instskip(NEXT) | instid1(VALU_DEP_1)
	v_sub_f32_e32 v5, v5, v8
	v_add_f32_e32 v5, v5, v7
	v_cvt_i32_f32_e32 v7, v8
	s_delay_alu instid0(VALU_DEP_2) | instskip(SKIP_2) | instid1(VALU_DEP_1)
	v_exp_f32_e32 v5, v5
	s_waitcnt_depctr 0xfff
	v_ldexp_f32 v5, v5, v7
	v_cndmask_b32_e32 v5, 0, v5, vcc_lo
	v_cmp_nlt_f32_e32 vcc_lo, 0x42b17218, v4
	s_delay_alu instid0(VALU_DEP_2) | instskip(SKIP_2) | instid1(VALU_DEP_2)
	v_cndmask_b32_e32 v7, 0x7f800000, v5, vcc_lo
	v_lshlrev_b64 v[4:5], 2, v[1:2]
	v_add_nc_u32_e32 v1, s0, v1
	v_add_co_u32 v4, vcc_lo, s6, v4
	s_delay_alu instid0(VALU_DEP_3) | instskip(SKIP_3) | instid1(VALU_DEP_1)
	v_add_co_ci_u32_e32 v5, vcc_lo, s7, v5, vcc_lo
	global_store_b32 v[4:5], v7, off
	v_fmaak_f32 v4, s1, v0, 0x4127b9fc
	s_mov_b32 s1, 0xbf19999a
	v_fmamk_f32 v4, v3, 0x4484b930, v4
	s_delay_alu instid0(VALU_DEP_1) | instskip(SKIP_1) | instid1(VALU_DEP_2)
	v_mul_f32_e32 v5, 0x3fb8aa3b, v4
	v_cmp_ngt_f32_e32 vcc_lo, 0xc2ce8ed0, v4
	v_fma_f32 v7, 0x3fb8aa3b, v4, -v5
	v_rndne_f32_e32 v8, v5
	s_delay_alu instid0(VALU_DEP_2) | instskip(NEXT) | instid1(VALU_DEP_2)
	v_fmac_f32_e32 v7, 0x32a5705f, v4
	v_sub_f32_e32 v5, v5, v8
	s_delay_alu instid0(VALU_DEP_1) | instskip(SKIP_1) | instid1(VALU_DEP_2)
	v_add_f32_e32 v5, v5, v7
	v_cvt_i32_f32_e32 v7, v8
	v_exp_f32_e32 v5, v5
	s_waitcnt_depctr 0xfff
	v_ldexp_f32 v5, v5, v7
	s_delay_alu instid0(VALU_DEP_1) | instskip(SKIP_1) | instid1(VALU_DEP_2)
	v_cndmask_b32_e32 v5, 0, v5, vcc_lo
	v_cmp_nlt_f32_e32 vcc_lo, 0x42b17218, v4
	v_cndmask_b32_e32 v7, 0x7f800000, v5, vcc_lo
	v_lshlrev_b64 v[4:5], 2, v[1:2]
	v_add_nc_u32_e32 v1, s0, v1
	s_delay_alu instid0(VALU_DEP_2) | instskip(NEXT) | instid1(VALU_DEP_3)
	v_add_co_u32 v4, vcc_lo, s6, v4
	v_add_co_ci_u32_e32 v5, vcc_lo, s7, v5, vcc_lo
	global_store_b32 v[4:5], v7, off
	v_lshlrev_b64 v[4:5], 2, v[1:2]
	v_mul_f32_e32 v7, 0x5d5e0b6b, v3
	v_add_nc_u32_e32 v1, s0, v1
	s_delay_alu instid0(VALU_DEP_3) | instskip(NEXT) | instid1(VALU_DEP_4)
	v_add_co_u32 v4, vcc_lo, s6, v4
	v_add_co_ci_u32_e32 v5, vcc_lo, s7, v5, vcc_lo
	global_store_b32 v[4:5], v7, off
	v_fmaak_f32 v4, s1, v0, 0x421c2783
	s_mov_b32 s1, 0xbfa00000
	s_delay_alu instid0(VALU_DEP_1) | instskip(NEXT) | instid1(VALU_DEP_1)
	v_mul_f32_e32 v5, 0x3fb8aa3b, v4
	v_fma_f32 v7, 0x3fb8aa3b, v4, -v5
	v_rndne_f32_e32 v8, v5
	s_delay_alu instid0(VALU_DEP_2) | instskip(NEXT) | instid1(VALU_DEP_2)
	v_fmac_f32_e32 v7, 0x32a5705f, v4
	v_sub_f32_e32 v5, v5, v8
	s_delay_alu instid0(VALU_DEP_1) | instskip(SKIP_2) | instid1(VALU_DEP_3)
	v_add_f32_e32 v5, v5, v7
	v_cvt_i32_f32_e32 v7, v8
	v_cmp_ngt_f32_e32 vcc_lo, 0xc2ce8ed0, v4
	v_exp_f32_e32 v5, v5
	s_waitcnt_depctr 0xfff
	v_ldexp_f32 v5, v5, v7
	s_delay_alu instid0(VALU_DEP_1) | instskip(SKIP_1) | instid1(VALU_DEP_2)
	v_cndmask_b32_e32 v5, 0, v5, vcc_lo
	v_cmp_nlt_f32_e32 vcc_lo, 0x42b17218, v4
	v_cndmask_b32_e32 v7, 0x7f800000, v5, vcc_lo
	v_lshlrev_b64 v[4:5], 2, v[1:2]
	v_add_nc_u32_e32 v1, s0, v1
	s_delay_alu instid0(VALU_DEP_2) | instskip(NEXT) | instid1(VALU_DEP_3)
	v_add_co_u32 v4, vcc_lo, s6, v4
	v_add_co_ci_u32_e32 v5, vcc_lo, s7, v5, vcc_lo
	global_store_b32 v[4:5], v7, off
	v_fmaak_f32 v4, s1, v0, 0x423629db
	s_mov_b32 s1, 0xbf5c28f6
	s_delay_alu instid0(VALU_DEP_1) | instskip(NEXT) | instid1(VALU_DEP_1)
	v_mul_f32_e32 v5, 0x3fb8aa3b, v4
	v_fma_f32 v7, 0x3fb8aa3b, v4, -v5
	v_rndne_f32_e32 v8, v5
	s_delay_alu instid0(VALU_DEP_2) | instskip(NEXT) | instid1(VALU_DEP_2)
	v_fmac_f32_e32 v7, 0x32a5705f, v4
	v_sub_f32_e32 v5, v5, v8
	s_delay_alu instid0(VALU_DEP_1) | instskip(SKIP_2) | instid1(VALU_DEP_3)
	v_add_f32_e32 v5, v5, v7
	v_cvt_i32_f32_e32 v7, v8
	v_cmp_ngt_f32_e32 vcc_lo, 0xc2ce8ed0, v4
	v_exp_f32_e32 v5, v5
	s_waitcnt_depctr 0xfff
	v_ldexp_f32 v5, v5, v7
	s_delay_alu instid0(VALU_DEP_1) | instskip(SKIP_1) | instid1(VALU_DEP_2)
	v_cndmask_b32_e32 v5, 0, v5, vcc_lo
	v_cmp_nlt_f32_e32 vcc_lo, 0x42b17218, v4
	v_cndmask_b32_e32 v7, 0x7f800000, v5, vcc_lo
	v_lshlrev_b64 v[4:5], 2, v[1:2]
	v_add_nc_u32_e32 v1, s0, v1
	s_delay_alu instid0(VALU_DEP_2) | instskip(NEXT) | instid1(VALU_DEP_3)
	v_add_co_u32 v4, vcc_lo, s6, v4
	v_add_co_ci_u32_e32 v5, vcc_lo, s7, v5, vcc_lo
	global_store_b32 v[4:5], v7, off
	v_lshlrev_b64 v[4:5], 2, v[1:2]
	v_mul_f32_e32 v7, 0x61ee8644, v6
	v_dual_mul_f32 v6, 0x649513eb, v6 :: v_dual_add_nc_u32 v1, s0, v1
	s_delay_alu instid0(VALU_DEP_3) | instskip(NEXT) | instid1(VALU_DEP_4)
	v_add_co_u32 v4, vcc_lo, s6, v4
	v_add_co_ci_u32_e32 v5, vcc_lo, s7, v5, vcc_lo
	global_store_b32 v[4:5], v7, off
	v_lshlrev_b64 v[4:5], 2, v[1:2]
	v_add_nc_u32_e32 v1, s0, v1
	s_delay_alu instid0(VALU_DEP_2) | instskip(NEXT) | instid1(VALU_DEP_3)
	v_add_co_u32 v4, vcc_lo, s6, v4
	v_add_co_ci_u32_e32 v5, vcc_lo, s7, v5, vcc_lo
	global_store_b32 v[4:5], v6, off
	v_lshlrev_b64 v[4:5], 2, v[1:2]
	v_dual_mul_f32 v6, 0x5cde0b6b, v3 :: v_dual_add_nc_u32 v1, s0, v1
	s_delay_alu instid0(VALU_DEP_2) | instskip(NEXT) | instid1(VALU_DEP_3)
	v_add_co_u32 v4, vcc_lo, s6, v4
	v_add_co_ci_u32_e32 v5, vcc_lo, s7, v5, vcc_lo
	global_store_b32 v[4:5], v6, off
	v_lshlrev_b64 v[4:5], 2, v[1:2]
	v_dual_mul_f32 v6, 0x5bd529af, v3 :: v_dual_add_nc_u32 v1, s0, v1
	s_delay_alu instid0(VALU_DEP_2) | instskip(NEXT) | instid1(VALU_DEP_3)
	v_add_co_u32 v4, vcc_lo, s6, v4
	v_add_co_ci_u32_e32 v5, vcc_lo, s7, v5, vcc_lo
	global_store_b32 v[4:5], v6, off
	v_fmaak_f32 v4, s1, v0, 0x4229e794
	s_mov_b32 s1, 0xbfdc28f6
	s_delay_alu instid0(VALU_DEP_1) | instskip(NEXT) | instid1(VALU_DEP_1)
	v_mul_f32_e32 v5, 0x3fb8aa3b, v4
	v_fma_f32 v6, 0x3fb8aa3b, v4, -v5
	v_rndne_f32_e32 v7, v5
	s_delay_alu instid0(VALU_DEP_1) | instskip(SKIP_1) | instid1(VALU_DEP_2)
	v_dual_sub_f32 v5, v5, v7 :: v_dual_fmac_f32 v6, 0x32a5705f, v4
	v_cmp_ngt_f32_e32 vcc_lo, 0xc2ce8ed0, v4
	v_add_f32_e32 v5, v5, v6
	v_cvt_i32_f32_e32 v6, v7
	s_delay_alu instid0(VALU_DEP_2) | instskip(SKIP_2) | instid1(VALU_DEP_1)
	v_exp_f32_e32 v5, v5
	s_waitcnt_depctr 0xfff
	v_ldexp_f32 v5, v5, v6
	v_cndmask_b32_e32 v5, 0, v5, vcc_lo
	v_cmp_nlt_f32_e32 vcc_lo, 0x42b17218, v4
	s_delay_alu instid0(VALU_DEP_2) | instskip(SKIP_2) | instid1(VALU_DEP_2)
	v_cndmask_b32_e32 v6, 0x7f800000, v5, vcc_lo
	v_lshlrev_b64 v[4:5], 2, v[1:2]
	v_add_nc_u32_e32 v1, s0, v1
	v_add_co_u32 v4, vcc_lo, s6, v4
	s_delay_alu instid0(VALU_DEP_3) | instskip(SKIP_3) | instid1(VALU_DEP_1)
	v_add_co_ci_u32_e32 v5, vcc_lo, s7, v5, vcc_lo
	global_store_b32 v[4:5], v6, off
	v_fmaak_f32 v4, s1, v0, 0x423c99ec
	s_mov_b32 s1, 0xbf428f5c
	v_mul_f32_e32 v5, 0x3fb8aa3b, v4
	v_cmp_ngt_f32_e32 vcc_lo, 0xc2ce8ed0, v4
	s_delay_alu instid0(VALU_DEP_2) | instskip(SKIP_1) | instid1(VALU_DEP_1)
	v_fma_f32 v6, 0x3fb8aa3b, v4, -v5
	v_rndne_f32_e32 v7, v5
	v_dual_fmac_f32 v6, 0x32a5705f, v4 :: v_dual_sub_f32 v5, v5, v7
	s_delay_alu instid0(VALU_DEP_1) | instskip(SKIP_1) | instid1(VALU_DEP_2)
	v_add_f32_e32 v5, v5, v6
	v_cvt_i32_f32_e32 v6, v7
	v_exp_f32_e32 v5, v5
	s_waitcnt_depctr 0xfff
	v_ldexp_f32 v5, v5, v6
	s_delay_alu instid0(VALU_DEP_1) | instskip(SKIP_1) | instid1(VALU_DEP_2)
	v_cndmask_b32_e32 v5, 0, v5, vcc_lo
	v_cmp_nlt_f32_e32 vcc_lo, 0x42b17218, v4
	v_cndmask_b32_e32 v6, 0x7f800000, v5, vcc_lo
	v_lshlrev_b64 v[4:5], 2, v[1:2]
	v_add_nc_u32_e32 v1, s0, v1
	s_delay_alu instid0(VALU_DEP_2) | instskip(NEXT) | instid1(VALU_DEP_3)
	v_add_co_u32 v4, vcc_lo, s6, v4
	v_add_co_ci_u32_e32 v5, vcc_lo, s7, v5, vcc_lo
	global_store_b32 v[4:5], v6, off
	v_fmaak_f32 v4, s1, v0, 0x42310121
	s_mov_b32 s1, 0xbf9eb852
	s_delay_alu instid0(VALU_DEP_1) | instskip(SKIP_1) | instid1(VALU_DEP_2)
	v_mul_f32_e32 v5, 0x3fb8aa3b, v4
	v_cmp_ngt_f32_e32 vcc_lo, 0xc2ce8ed0, v4
	v_fma_f32 v6, 0x3fb8aa3b, v4, -v5
	v_rndne_f32_e32 v7, v5
	s_delay_alu instid0(VALU_DEP_1) | instskip(NEXT) | instid1(VALU_DEP_1)
	v_dual_fmac_f32 v6, 0x32a5705f, v4 :: v_dual_sub_f32 v5, v5, v7
	v_add_f32_e32 v5, v5, v6
	v_cvt_i32_f32_e32 v6, v7
	s_delay_alu instid0(VALU_DEP_2) | instskip(SKIP_2) | instid1(VALU_DEP_1)
	v_exp_f32_e32 v5, v5
	s_waitcnt_depctr 0xfff
	v_ldexp_f32 v5, v5, v6
	v_cndmask_b32_e32 v5, 0, v5, vcc_lo
	v_cmp_nlt_f32_e32 vcc_lo, 0x42b17218, v4
	s_delay_alu instid0(VALU_DEP_2) | instskip(SKIP_2) | instid1(VALU_DEP_2)
	v_cndmask_b32_e32 v6, 0x7f800000, v5, vcc_lo
	v_lshlrev_b64 v[4:5], 2, v[1:2]
	v_add_nc_u32_e32 v1, s0, v1
	v_add_co_u32 v4, vcc_lo, s6, v4
	s_delay_alu instid0(VALU_DEP_3) | instskip(SKIP_3) | instid1(VALU_DEP_1)
	v_add_co_ci_u32_e32 v5, vcc_lo, s7, v5, vcc_lo
	global_store_b32 v[4:5], v6, off
	v_fmaak_f32 v4, s1, v0, 0x4232d18a
	s_mov_b32 s1, 0xbebd70a4
	v_mul_f32_e32 v5, 0x3fb8aa3b, v4
	v_cmp_ngt_f32_e32 vcc_lo, 0xc2ce8ed0, v4
	s_delay_alu instid0(VALU_DEP_2) | instskip(SKIP_1) | instid1(VALU_DEP_1)
	v_fma_f32 v6, 0x3fb8aa3b, v4, -v5
	v_rndne_f32_e32 v7, v5
	v_dual_fmac_f32 v6, 0x32a5705f, v4 :: v_dual_sub_f32 v5, v5, v7
	s_delay_alu instid0(VALU_DEP_1) | instskip(SKIP_1) | instid1(VALU_DEP_2)
	v_add_f32_e32 v5, v5, v6
	v_cvt_i32_f32_e32 v6, v7
	v_exp_f32_e32 v5, v5
	s_waitcnt_depctr 0xfff
	v_ldexp_f32 v5, v5, v6
	s_delay_alu instid0(VALU_DEP_1) | instskip(SKIP_1) | instid1(VALU_DEP_2)
	v_cndmask_b32_e32 v5, 0, v5, vcc_lo
	v_cmp_nlt_f32_e32 vcc_lo, 0x42b17218, v4
	v_cndmask_b32_e32 v6, 0x7f800000, v5, vcc_lo
	v_lshlrev_b64 v[4:5], 2, v[1:2]
	v_add_nc_u32_e32 v1, s0, v1
	s_delay_alu instid0(VALU_DEP_2) | instskip(NEXT) | instid1(VALU_DEP_3)
	v_add_co_u32 v4, vcc_lo, s6, v4
	v_add_co_ci_u32_e32 v5, vcc_lo, s7, v5, vcc_lo
	global_store_b32 v[4:5], v6, off
	v_fmaak_f32 v4, s1, v0, 0x41ff7b0e
	s_mov_b32 s1, 0xc3a8d446
	s_delay_alu instid0(VALU_DEP_1) | instskip(SKIP_1) | instid1(VALU_DEP_2)
	v_mul_f32_e32 v5, 0x3fb8aa3b, v4
	v_cmp_ngt_f32_e32 vcc_lo, 0xc2ce8ed0, v4
	v_fma_f32 v6, 0x3fb8aa3b, v4, -v5
	v_rndne_f32_e32 v7, v5
	s_delay_alu instid0(VALU_DEP_1) | instskip(NEXT) | instid1(VALU_DEP_1)
	v_dual_fmac_f32 v6, 0x32a5705f, v4 :: v_dual_sub_f32 v5, v5, v7
	;; [unrolled: 49-line block ×3, first 2 shown]
	v_add_f32_e32 v5, v5, v6
	v_cvt_i32_f32_e32 v6, v7
	s_delay_alu instid0(VALU_DEP_2) | instskip(SKIP_2) | instid1(VALU_DEP_1)
	v_exp_f32_e32 v5, v5
	s_waitcnt_depctr 0xfff
	v_ldexp_f32 v5, v5, v6
	v_cndmask_b32_e32 v5, 0, v5, vcc_lo
	v_cmp_nlt_f32_e32 vcc_lo, 0x42b17218, v4
	s_delay_alu instid0(VALU_DEP_2) | instskip(SKIP_2) | instid1(VALU_DEP_2)
	v_cndmask_b32_e32 v6, 0x7f800000, v5, vcc_lo
	v_lshlrev_b64 v[4:5], 2, v[1:2]
	v_add_nc_u32_e32 v1, s0, v1
	v_add_co_u32 v4, vcc_lo, s6, v4
	s_delay_alu instid0(VALU_DEP_3) | instskip(SKIP_3) | instid1(VALU_DEP_1)
	v_add_co_ci_u32_e32 v5, vcc_lo, s7, v5, vcc_lo
	global_store_b32 v[4:5], v6, off
	v_fmaak_f32 v4, s1, v3, 0x41ff2086
	s_mov_b32 s1, 0x437b9bbc
	v_mul_f32_e32 v5, 0x3fb8aa3b, v4
	v_cmp_ngt_f32_e32 vcc_lo, 0xc2ce8ed0, v4
	s_delay_alu instid0(VALU_DEP_2) | instskip(SKIP_1) | instid1(VALU_DEP_1)
	v_fma_f32 v6, 0x3fb8aa3b, v4, -v5
	v_rndne_f32_e32 v7, v5
	v_dual_fmac_f32 v6, 0x32a5705f, v4 :: v_dual_sub_f32 v5, v5, v7
	s_delay_alu instid0(VALU_DEP_1) | instskip(SKIP_1) | instid1(VALU_DEP_2)
	v_add_f32_e32 v5, v5, v6
	v_cvt_i32_f32_e32 v6, v7
	v_exp_f32_e32 v5, v5
	s_waitcnt_depctr 0xfff
	v_ldexp_f32 v5, v5, v6
	s_delay_alu instid0(VALU_DEP_1) | instskip(SKIP_1) | instid1(VALU_DEP_2)
	v_cndmask_b32_e32 v5, 0, v5, vcc_lo
	v_cmp_nlt_f32_e32 vcc_lo, 0x42b17218, v4
	v_cndmask_b32_e32 v6, 0x7f800000, v5, vcc_lo
	v_lshlrev_b64 v[4:5], 2, v[1:2]
	v_add_nc_u32_e32 v1, s0, v1
	s_delay_alu instid0(VALU_DEP_2) | instskip(NEXT) | instid1(VALU_DEP_3)
	v_add_co_u32 v4, vcc_lo, s6, v4
	v_add_co_ci_u32_e32 v5, vcc_lo, s7, v5, vcc_lo
	global_store_b32 v[4:5], v6, off
	v_lshlrev_b64 v[4:5], 2, v[1:2]
	v_add_nc_u32_e32 v1, s0, v1
	s_delay_alu instid0(VALU_DEP_2) | instskip(NEXT) | instid1(VALU_DEP_3)
	v_add_co_u32 v6, vcc_lo, s6, v4
	v_add_co_ci_u32_e32 v7, vcc_lo, s7, v5, vcc_lo
	v_mov_b32_e32 v5, 0x559184e7
	v_fmaak_f32 v4, s1, v3, 0x41fbbf1f
	s_mov_b32 s1, 0x444d0f90
	global_store_b32 v[6:7], v5, off
	v_mul_f32_e32 v6, 0x3fb8aa3b, v4
	v_cmp_ngt_f32_e32 vcc_lo, 0xc2ce8ed0, v4
	s_delay_alu instid0(VALU_DEP_2) | instskip(SKIP_1) | instid1(VALU_DEP_2)
	v_fma_f32 v7, 0x3fb8aa3b, v4, -v6
	v_rndne_f32_e32 v8, v6
	v_fmac_f32_e32 v7, 0x32a5705f, v4
	s_delay_alu instid0(VALU_DEP_2) | instskip(NEXT) | instid1(VALU_DEP_1)
	v_sub_f32_e32 v6, v6, v8
	v_add_f32_e32 v6, v6, v7
	v_cvt_i32_f32_e32 v7, v8
	s_delay_alu instid0(VALU_DEP_2) | instskip(SKIP_2) | instid1(VALU_DEP_1)
	v_exp_f32_e32 v6, v6
	s_waitcnt_depctr 0xfff
	v_ldexp_f32 v6, v6, v7
	v_cndmask_b32_e32 v6, 0, v6, vcc_lo
	v_cmp_nlt_f32_e32 vcc_lo, 0x42b17218, v4
	s_delay_alu instid0(VALU_DEP_2) | instskip(SKIP_2) | instid1(VALU_DEP_2)
	v_cndmask_b32_e32 v4, 0x7f800000, v6, vcc_lo
	v_lshlrev_b64 v[6:7], 2, v[1:2]
	v_add_nc_u32_e32 v1, s0, v1
	v_add_co_u32 v6, vcc_lo, s6, v6
	s_delay_alu instid0(VALU_DEP_3) | instskip(SKIP_3) | instid1(VALU_DEP_1)
	v_add_co_ci_u32_e32 v7, vcc_lo, s7, v7, vcc_lo
	global_store_b32 v[6:7], v4, off
	v_fmaak_f32 v4, s1, v3, 0x41ccb9f6
	s_mov_b32 s1, 0xc5bcb4cd
	v_mul_f32_e32 v6, 0x3fb8aa3b, v4
	v_cmp_ngt_f32_e32 vcc_lo, 0xc2ce8ed0, v4
	s_delay_alu instid0(VALU_DEP_2) | instskip(SKIP_1) | instid1(VALU_DEP_2)
	v_fma_f32 v7, 0x3fb8aa3b, v4, -v6
	v_rndne_f32_e32 v8, v6
	v_fmac_f32_e32 v7, 0x32a5705f, v4
	s_delay_alu instid0(VALU_DEP_2) | instskip(NEXT) | instid1(VALU_DEP_1)
	v_sub_f32_e32 v6, v6, v8
	v_add_f32_e32 v6, v6, v7
	v_cvt_i32_f32_e32 v7, v8
	s_delay_alu instid0(VALU_DEP_2) | instskip(SKIP_2) | instid1(VALU_DEP_1)
	v_exp_f32_e32 v6, v6
	s_waitcnt_depctr 0xfff
	v_ldexp_f32 v6, v6, v7
	v_cndmask_b32_e32 v6, 0, v6, vcc_lo
	v_cmp_nlt_f32_e32 vcc_lo, 0x42b17218, v4
	s_delay_alu instid0(VALU_DEP_2) | instskip(SKIP_2) | instid1(VALU_DEP_2)
	v_cndmask_b32_e32 v4, 0x7f800000, v6, vcc_lo
	v_lshlrev_b64 v[6:7], 2, v[1:2]
	v_add_nc_u32_e32 v1, s0, v1
	v_add_co_u32 v6, vcc_lo, s6, v6
	s_delay_alu instid0(VALU_DEP_3) | instskip(SKIP_3) | instid1(VALU_DEP_1)
	v_add_co_ci_u32_e32 v7, vcc_lo, s7, v7, vcc_lo
	global_store_b32 v[6:7], v4, off
	v_fmaak_f32 v4, s1, v3, 0x4206af63
	s_mov_b32 s1, 0xc4e2728f
	v_mul_f32_e32 v6, 0x3fb8aa3b, v4
	v_cmp_ngt_f32_e32 vcc_lo, 0xc2ce8ed0, v4
	s_delay_alu instid0(VALU_DEP_2) | instskip(SKIP_1) | instid1(VALU_DEP_2)
	v_fma_f32 v7, 0x3fb8aa3b, v4, -v6
	v_rndne_f32_e32 v8, v6
	v_fmac_f32_e32 v7, 0x32a5705f, v4
	s_delay_alu instid0(VALU_DEP_2) | instskip(NEXT) | instid1(VALU_DEP_1)
	v_sub_f32_e32 v6, v6, v8
	v_add_f32_e32 v6, v6, v7
	v_cvt_i32_f32_e32 v7, v8
	s_delay_alu instid0(VALU_DEP_2) | instskip(SKIP_2) | instid1(VALU_DEP_1)
	v_exp_f32_e32 v6, v6
	s_waitcnt_depctr 0xfff
	v_ldexp_f32 v6, v6, v7
	v_cndmask_b32_e32 v6, 0, v6, vcc_lo
	v_cmp_nlt_f32_e32 vcc_lo, 0x42b17218, v4
	s_delay_alu instid0(VALU_DEP_2) | instskip(SKIP_2) | instid1(VALU_DEP_2)
	v_cndmask_b32_e32 v4, 0x7f800000, v6, vcc_lo
	v_lshlrev_b64 v[6:7], 2, v[1:2]
	v_add_nc_u32_e32 v1, s0, v1
	v_add_co_u32 v6, vcc_lo, s6, v6
	s_delay_alu instid0(VALU_DEP_3) | instskip(SKIP_2) | instid1(VALU_DEP_1)
	v_add_co_ci_u32_e32 v7, vcc_lo, s7, v7, vcc_lo
	global_store_b32 v[6:7], v4, off
	v_fmaak_f32 v4, 2.0, v0, 0x41827840
	v_dual_add_f32 v7, v0, v0 :: v_dual_fmamk_f32 v4, v3, 0xc5238ba0, v4
	s_delay_alu instid0(VALU_DEP_1) | instskip(NEXT) | instid1(VALU_DEP_2)
	v_fmamk_f32 v7, v3, 0xc46f0726, v7
	v_mul_f32_e32 v6, 0x3fb8aa3b, v4
	v_cmp_ngt_f32_e32 vcc_lo, 0xc2ce8ed0, v4
	s_delay_alu instid0(VALU_DEP_2) | instskip(SKIP_1) | instid1(VALU_DEP_2)
	v_fma_f32 v8, 0x3fb8aa3b, v4, -v6
	v_rndne_f32_e32 v9, v6
	v_fmac_f32_e32 v8, 0x32a5705f, v4
	s_delay_alu instid0(VALU_DEP_2) | instskip(NEXT) | instid1(VALU_DEP_1)
	v_sub_f32_e32 v6, v6, v9
	v_add_f32_e32 v6, v6, v8
	v_cvt_i32_f32_e32 v8, v9
	s_delay_alu instid0(VALU_DEP_2) | instskip(SKIP_3) | instid1(VALU_DEP_2)
	v_exp_f32_e32 v6, v6
	s_waitcnt_depctr 0xfff
	v_ldexp_f32 v6, v6, v8
	v_lshlrev_b64 v[8:9], 2, v[1:2]
	v_dual_cndmask_b32 v6, 0, v6 :: v_dual_add_nc_u32 v1, s0, v1
	v_cmp_nlt_f32_e32 vcc_lo, 0x42b17218, v4
	s_delay_alu instid0(VALU_DEP_2) | instskip(NEXT) | instid1(VALU_DEP_4)
	v_cndmask_b32_e32 v4, 0x7f800000, v6, vcc_lo
	v_add_co_u32 v8, vcc_lo, s6, v8
	v_add_co_ci_u32_e32 v9, vcc_lo, s7, v9, vcc_lo
	global_store_b32 v[8:9], v4, off
	v_fmaak_f32 v4, s1, v3, 0x41ef7807
	s_mov_b32 s1, 0xc3210782
	s_delay_alu instid0(VALU_DEP_1) | instskip(SKIP_1) | instid1(VALU_DEP_2)
	v_mul_f32_e32 v6, 0x3fb8aa3b, v4
	v_cmp_ngt_f32_e32 vcc_lo, 0xc2ce8ed0, v4
	v_fma_f32 v8, 0x3fb8aa3b, v4, -v6
	v_rndne_f32_e32 v9, v6
	s_delay_alu instid0(VALU_DEP_2) | instskip(NEXT) | instid1(VALU_DEP_2)
	v_fmac_f32_e32 v8, 0x32a5705f, v4
	v_sub_f32_e32 v6, v6, v9
	s_delay_alu instid0(VALU_DEP_1) | instskip(SKIP_1) | instid1(VALU_DEP_2)
	v_add_f32_e32 v6, v6, v8
	v_cvt_i32_f32_e32 v8, v9
	v_exp_f32_e32 v6, v6
	s_waitcnt_depctr 0xfff
	v_ldexp_f32 v6, v6, v8
	v_lshlrev_b64 v[8:9], 2, v[1:2]
	s_delay_alu instid0(VALU_DEP_2) | instskip(SKIP_1) | instid1(VALU_DEP_2)
	v_dual_cndmask_b32 v6, 0, v6 :: v_dual_add_nc_u32 v1, s0, v1
	v_cmp_nlt_f32_e32 vcc_lo, 0x42b17218, v4
	v_cndmask_b32_e32 v4, 0x7f800000, v6, vcc_lo
	s_delay_alu instid0(VALU_DEP_4) | instskip(SKIP_3) | instid1(VALU_DEP_1)
	v_add_co_u32 v8, vcc_lo, s6, v8
	v_add_co_ci_u32_e32 v9, vcc_lo, s7, v9, vcc_lo
	global_store_b32 v[8:9], v4, off
	v_fmaak_f32 v4, 2.0, v0, 0x4180a4a6
	v_fmac_f32_e32 v4, 0xc4fb9bbc, v3
	s_delay_alu instid0(VALU_DEP_1) | instskip(SKIP_1) | instid1(VALU_DEP_2)
	v_mul_f32_e32 v6, 0x3fb8aa3b, v4
	v_cmp_ngt_f32_e32 vcc_lo, 0xc2ce8ed0, v4
	v_fma_f32 v8, 0x3fb8aa3b, v4, -v6
	v_rndne_f32_e32 v9, v6
	s_delay_alu instid0(VALU_DEP_2) | instskip(NEXT) | instid1(VALU_DEP_2)
	v_fmac_f32_e32 v8, 0x32a5705f, v4
	v_sub_f32_e32 v6, v6, v9
	s_delay_alu instid0(VALU_DEP_1) | instskip(SKIP_1) | instid1(VALU_DEP_2)
	v_add_f32_e32 v6, v6, v8
	v_cvt_i32_f32_e32 v8, v9
	v_exp_f32_e32 v6, v6
	s_waitcnt_depctr 0xfff
	v_ldexp_f32 v6, v6, v8
	v_lshlrev_b64 v[8:9], 2, v[1:2]
	s_delay_alu instid0(VALU_DEP_2) | instskip(SKIP_1) | instid1(VALU_DEP_2)
	v_dual_cndmask_b32 v6, 0, v6 :: v_dual_add_nc_u32 v1, s0, v1
	v_cmp_nlt_f32_e32 vcc_lo, 0x42b17218, v4
	v_cndmask_b32_e32 v4, 0x7f800000, v6, vcc_lo
	s_delay_alu instid0(VALU_DEP_4) | instskip(SKIP_4) | instid1(VALU_DEP_1)
	v_add_co_u32 v8, vcc_lo, s6, v8
	v_add_co_ci_u32_e32 v9, vcc_lo, s7, v9, vcc_lo
	global_store_b32 v[8:9], v4, off
	v_fmaak_f32 v4, s1, v3, 0x41e1866d
	s_mov_b32 s1, 0xc5965603
	v_mul_f32_e32 v6, 0x3fb8aa3b, v4
	v_cmp_ngt_f32_e32 vcc_lo, 0xc2ce8ed0, v4
	s_delay_alu instid0(VALU_DEP_2) | instskip(SKIP_1) | instid1(VALU_DEP_2)
	v_fma_f32 v8, 0x3fb8aa3b, v4, -v6
	v_rndne_f32_e32 v9, v6
	v_fmac_f32_e32 v8, 0x32a5705f, v4
	s_delay_alu instid0(VALU_DEP_2) | instskip(NEXT) | instid1(VALU_DEP_1)
	v_sub_f32_e32 v6, v6, v9
	v_add_f32_e32 v6, v6, v8
	v_cvt_i32_f32_e32 v8, v9
	s_delay_alu instid0(VALU_DEP_2) | instskip(SKIP_3) | instid1(VALU_DEP_2)
	v_exp_f32_e32 v6, v6
	s_waitcnt_depctr 0xfff
	v_ldexp_f32 v6, v6, v8
	v_lshlrev_b64 v[8:9], 2, v[1:2]
	v_dual_cndmask_b32 v6, 0, v6 :: v_dual_add_nc_u32 v1, s0, v1
	v_cmp_nlt_f32_e32 vcc_lo, 0x42b17218, v4
	s_delay_alu instid0(VALU_DEP_2) | instskip(NEXT) | instid1(VALU_DEP_4)
	v_cndmask_b32_e32 v4, 0x7f800000, v6, vcc_lo
	v_add_co_u32 v8, vcc_lo, s6, v8
	v_add_co_ci_u32_e32 v9, vcc_lo, s7, v9, vcc_lo
	global_store_b32 v[8:9], v4, off
	v_fmaak_f32 v4, s1, v3, 0x4207f9e8
	s_mov_b32 s1, 0xc4bcb4cd
	s_delay_alu instid0(VALU_DEP_1) | instskip(SKIP_1) | instid1(VALU_DEP_2)
	v_mul_f32_e32 v6, 0x3fb8aa3b, v4
	v_cmp_ngt_f32_e32 vcc_lo, 0xc2ce8ed0, v4
	v_fma_f32 v8, 0x3fb8aa3b, v4, -v6
	v_rndne_f32_e32 v9, v6
	s_delay_alu instid0(VALU_DEP_2) | instskip(NEXT) | instid1(VALU_DEP_2)
	v_fmac_f32_e32 v8, 0x32a5705f, v4
	v_sub_f32_e32 v6, v6, v9
	s_delay_alu instid0(VALU_DEP_1) | instskip(SKIP_1) | instid1(VALU_DEP_2)
	v_add_f32_e32 v6, v6, v8
	v_cvt_i32_f32_e32 v8, v9
	v_exp_f32_e32 v6, v6
	s_waitcnt_depctr 0xfff
	v_ldexp_f32 v6, v6, v8
	v_lshlrev_b64 v[8:9], 2, v[1:2]
	s_delay_alu instid0(VALU_DEP_2) | instskip(SKIP_1) | instid1(VALU_DEP_2)
	v_dual_cndmask_b32 v6, 0, v6 :: v_dual_add_nc_u32 v1, s0, v1
	v_cmp_nlt_f32_e32 vcc_lo, 0x42b17218, v4
	v_cndmask_b32_e32 v4, 0x7f800000, v6, vcc_lo
	s_delay_alu instid0(VALU_DEP_4) | instskip(SKIP_4) | instid1(VALU_DEP_1)
	v_add_co_u32 v8, vcc_lo, s6, v8
	v_add_co_ci_u32_e32 v9, vcc_lo, s7, v9, vcc_lo
	global_store_b32 v[8:9], v4, off
	v_fmaak_f32 v4, s1, v3, 0x42082007
	s_mov_b32 s1, 0x3f9d2f1b
	v_mul_f32_e32 v6, 0x3fb8aa3b, v4
	v_cmp_ngt_f32_e32 vcc_lo, 0xc2ce8ed0, v4
	s_delay_alu instid0(VALU_DEP_2) | instskip(SKIP_1) | instid1(VALU_DEP_2)
	v_fma_f32 v8, 0x3fb8aa3b, v4, -v6
	v_rndne_f32_e32 v9, v6
	v_fmac_f32_e32 v8, 0x32a5705f, v4
	s_delay_alu instid0(VALU_DEP_2) | instskip(NEXT) | instid1(VALU_DEP_1)
	v_sub_f32_e32 v6, v6, v9
	v_add_f32_e32 v6, v6, v8
	v_cvt_i32_f32_e32 v8, v9
	s_delay_alu instid0(VALU_DEP_2) | instskip(SKIP_3) | instid1(VALU_DEP_2)
	v_exp_f32_e32 v6, v6
	s_waitcnt_depctr 0xfff
	v_ldexp_f32 v6, v6, v8
	v_lshlrev_b64 v[8:9], 2, v[1:2]
	v_dual_cndmask_b32 v6, 0, v6 :: v_dual_add_nc_u32 v1, s0, v1
	v_cmp_nlt_f32_e32 vcc_lo, 0x42b17218, v4
	s_delay_alu instid0(VALU_DEP_2) | instskip(NEXT) | instid1(VALU_DEP_4)
	v_cndmask_b32_e32 v4, 0x7f800000, v6, vcc_lo
	v_add_co_u32 v8, vcc_lo, s6, v8
	v_add_co_ci_u32_e32 v9, vcc_lo, s7, v9, vcc_lo
	global_store_b32 v[8:9], v4, off
	v_fmaak_f32 v4, s1, v0, 0x418d6d3f
	s_mov_b32 s1, 0xc6bbeb83
	s_delay_alu instid0(VALU_DEP_1) | instskip(NEXT) | instid1(VALU_DEP_1)
	v_fmamk_f32 v4, v3, 0xc20ce692, v4
	v_mul_f32_e32 v6, 0x3fb8aa3b, v4
	v_cmp_ngt_f32_e32 vcc_lo, 0xc2ce8ed0, v4
	s_delay_alu instid0(VALU_DEP_2) | instskip(SKIP_1) | instid1(VALU_DEP_2)
	v_fma_f32 v8, 0x3fb8aa3b, v4, -v6
	v_rndne_f32_e32 v9, v6
	v_fmac_f32_e32 v8, 0x32a5705f, v4
	s_delay_alu instid0(VALU_DEP_2) | instskip(NEXT) | instid1(VALU_DEP_1)
	v_sub_f32_e32 v6, v6, v9
	v_add_f32_e32 v6, v6, v8
	v_cvt_i32_f32_e32 v8, v9
	s_delay_alu instid0(VALU_DEP_2) | instskip(SKIP_3) | instid1(VALU_DEP_2)
	v_exp_f32_e32 v6, v6
	s_waitcnt_depctr 0xfff
	v_ldexp_f32 v6, v6, v8
	v_lshlrev_b64 v[8:9], 2, v[1:2]
	v_cndmask_b32_e32 v6, 0, v6, vcc_lo
	v_cmp_nlt_f32_e32 vcc_lo, 0x42b17218, v4
	s_delay_alu instid0(VALU_DEP_2) | instskip(NEXT) | instid1(VALU_DEP_4)
	v_cndmask_b32_e32 v4, 0x7f800000, v6, vcc_lo
	v_add_co_u32 v8, vcc_lo, s6, v8
	v_add_co_ci_u32_e32 v9, vcc_lo, s7, v9, vcc_lo
	global_store_b32 v[8:9], v4, off
	v_fmaak_f32 v4, s3, v0, 0x418c9d1a
	s_delay_alu instid0(VALU_DEP_1) | instskip(NEXT) | instid1(VALU_DEP_1)
	v_fmamk_f32 v4, v3, 0xc71c780c, v4
	v_mul_f32_e32 v6, 0x3fb8aa3b, v4
	v_cmp_ngt_f32_e32 vcc_lo, 0xc2ce8ed0, v4
	s_delay_alu instid0(VALU_DEP_2) | instskip(SKIP_1) | instid1(VALU_DEP_2)
	v_fma_f32 v8, 0x3fb8aa3b, v4, -v6
	v_rndne_f32_e32 v9, v6
	v_fmac_f32_e32 v8, 0x32a5705f, v4
	s_delay_alu instid0(VALU_DEP_2) | instskip(NEXT) | instid1(VALU_DEP_1)
	v_sub_f32_e32 v6, v6, v9
	v_add_f32_e32 v6, v6, v8
	v_cvt_i32_f32_e32 v8, v9
	v_add_nc_u32_e32 v1, s0, v1
	s_delay_alu instid0(VALU_DEP_3) | instskip(SKIP_3) | instid1(VALU_DEP_2)
	v_exp_f32_e32 v6, v6
	s_waitcnt_depctr 0xfff
	v_ldexp_f32 v6, v6, v8
	v_lshlrev_b64 v[8:9], 2, v[1:2]
	v_dual_cndmask_b32 v6, 0, v6 :: v_dual_add_nc_u32 v1, s0, v1
	v_cmp_nlt_f32_e32 vcc_lo, 0x42b17218, v4
	s_delay_alu instid0(VALU_DEP_2) | instskip(NEXT) | instid1(VALU_DEP_4)
	v_cndmask_b32_e32 v4, 0x7f800000, v6, vcc_lo
	v_add_co_u32 v8, vcc_lo, s6, v8
	v_add_co_ci_u32_e32 v9, vcc_lo, s7, v9, vcc_lo
	global_store_b32 v[8:9], v4, off
	v_fmaak_f32 v4, s1, v3, 0x41e460e5
	s_mov_b32 s1, 0xc6398fa7
	s_delay_alu instid0(VALU_DEP_1) | instskip(SKIP_1) | instid1(VALU_DEP_2)
	v_mul_f32_e32 v6, 0x3fb8aa3b, v4
	v_cmp_ngt_f32_e32 vcc_lo, 0xc2ce8ed0, v4
	v_fma_f32 v8, 0x3fb8aa3b, v4, -v6
	v_rndne_f32_e32 v9, v6
	s_delay_alu instid0(VALU_DEP_2) | instskip(NEXT) | instid1(VALU_DEP_2)
	v_fmac_f32_e32 v8, 0x32a5705f, v4
	v_sub_f32_e32 v6, v6, v9
	s_delay_alu instid0(VALU_DEP_1) | instskip(SKIP_1) | instid1(VALU_DEP_2)
	v_add_f32_e32 v6, v6, v8
	v_cvt_i32_f32_e32 v8, v9
	v_exp_f32_e32 v6, v6
	s_waitcnt_depctr 0xfff
	v_ldexp_f32 v6, v6, v8
	v_lshlrev_b64 v[8:9], 2, v[1:2]
	s_delay_alu instid0(VALU_DEP_2) | instskip(SKIP_1) | instid1(VALU_DEP_2)
	v_dual_cndmask_b32 v6, 0, v6 :: v_dual_add_nc_u32 v1, s0, v1
	v_cmp_nlt_f32_e32 vcc_lo, 0x42b17218, v4
	v_cndmask_b32_e32 v4, 0x7f800000, v6, vcc_lo
	s_delay_alu instid0(VALU_DEP_4) | instskip(SKIP_4) | instid1(VALU_DEP_1)
	v_add_co_u32 v8, vcc_lo, s6, v8
	v_add_co_ci_u32_e32 v9, vcc_lo, s7, v9, vcc_lo
	global_store_b32 v[8:9], v4, off
	v_fmaak_f32 v4, s1, v3, 0x4202910e
	s_mov_b32 s1, 0x3fe51eb8
	v_mul_f32_e32 v6, 0x3fb8aa3b, v4
	v_cmp_ngt_f32_e32 vcc_lo, 0xc2ce8ed0, v4
	s_delay_alu instid0(VALU_DEP_2) | instskip(SKIP_1) | instid1(VALU_DEP_2)
	v_fma_f32 v8, 0x3fb8aa3b, v4, -v6
	v_rndne_f32_e32 v9, v6
	v_fmac_f32_e32 v8, 0x32a5705f, v4
	s_delay_alu instid0(VALU_DEP_2) | instskip(NEXT) | instid1(VALU_DEP_1)
	v_sub_f32_e32 v6, v6, v9
	v_add_f32_e32 v6, v6, v8
	v_cvt_i32_f32_e32 v8, v9
	s_delay_alu instid0(VALU_DEP_2) | instskip(SKIP_3) | instid1(VALU_DEP_2)
	v_exp_f32_e32 v6, v6
	s_waitcnt_depctr 0xfff
	v_ldexp_f32 v6, v6, v8
	v_lshlrev_b64 v[8:9], 2, v[1:2]
	v_dual_cndmask_b32 v6, 0, v6 :: v_dual_add_nc_u32 v1, s0, v1
	v_cmp_nlt_f32_e32 vcc_lo, 0x42b17218, v4
	s_delay_alu instid0(VALU_DEP_2) | instskip(NEXT) | instid1(VALU_DEP_4)
	v_cndmask_b32_e32 v4, 0x7f800000, v6, vcc_lo
	v_add_co_u32 v8, vcc_lo, s6, v8
	v_add_co_ci_u32_e32 v9, vcc_lo, s7, v9, vcc_lo
	v_mov_b32_e32 v6, 0x55da475b
	global_store_b32 v[8:9], v4, off
	v_lshlrev_b64 v[8:9], 2, v[1:2]
	v_dual_mov_b32 v4, 0x564f5d63 :: v_dual_add_nc_u32 v1, s0, v1
	s_delay_alu instid0(VALU_DEP_2) | instskip(NEXT) | instid1(VALU_DEP_3)
	v_add_co_u32 v8, vcc_lo, s6, v8
	v_add_co_ci_u32_e32 v9, vcc_lo, s7, v9, vcc_lo
	global_store_b32 v[8:9], v4, off
	v_lshlrev_b64 v[8:9], 2, v[1:2]
	v_fmaak_f32 v4, s1, v0, 0x41942dbe
	v_add_nc_u32_e32 v1, s0, v1
	s_mov_b32 s1, 0x43bdf6dc
	s_delay_alu instid0(VALU_DEP_3) | instskip(NEXT) | instid1(VALU_DEP_4)
	v_add_co_u32 v8, vcc_lo, s6, v8
	v_add_co_ci_u32_e32 v9, vcc_lo, s7, v9, vcc_lo
	v_fmamk_f32 v4, v3, 0xc45217cc, v4
	global_store_b32 v[8:9], v6, off
	v_mul_f32_e32 v8, 0x3fb8aa3b, v4
	v_cmp_ngt_f32_e32 vcc_lo, 0xc2ce8ed0, v4
	s_delay_alu instid0(VALU_DEP_2) | instskip(SKIP_1) | instid1(VALU_DEP_1)
	v_fma_f32 v9, 0x3fb8aa3b, v4, -v8
	v_rndne_f32_e32 v10, v8
	v_dual_fmac_f32 v9, 0x32a5705f, v4 :: v_dual_sub_f32 v8, v8, v10
	s_delay_alu instid0(VALU_DEP_1) | instskip(SKIP_1) | instid1(VALU_DEP_2)
	v_add_f32_e32 v8, v8, v9
	v_cvt_i32_f32_e32 v9, v10
	v_exp_f32_e32 v8, v8
	s_waitcnt_depctr 0xfff
	v_ldexp_f32 v8, v8, v9
	s_delay_alu instid0(VALU_DEP_1) | instskip(SKIP_1) | instid1(VALU_DEP_2)
	v_cndmask_b32_e32 v8, 0, v8, vcc_lo
	v_cmp_nlt_f32_e32 vcc_lo, 0x42b17218, v4
	v_cndmask_b32_e32 v4, 0x7f800000, v8, vcc_lo
	v_lshlrev_b64 v[8:9], 2, v[1:2]
	v_add_nc_u32_e32 v1, s0, v1
	s_delay_alu instid0(VALU_DEP_2) | instskip(NEXT) | instid1(VALU_DEP_3)
	v_add_co_u32 v8, vcc_lo, s6, v8
	v_add_co_ci_u32_e32 v9, vcc_lo, s7, v9, vcc_lo
	global_store_b32 v[8:9], v4, off
	v_fmaak_f32 v4, s1, v3, 0x41eafc65
	s_mov_b32 s1, 0xc3ad9c19
	s_delay_alu instid0(VALU_DEP_1) | instskip(SKIP_1) | instid1(VALU_DEP_2)
	v_mul_f32_e32 v8, 0x3fb8aa3b, v4
	v_cmp_ngt_f32_e32 vcc_lo, 0xc2ce8ed0, v4
	v_fma_f32 v9, 0x3fb8aa3b, v4, -v8
	v_rndne_f32_e32 v10, v8
	s_delay_alu instid0(VALU_DEP_1) | instskip(NEXT) | instid1(VALU_DEP_1)
	v_dual_fmac_f32 v9, 0x32a5705f, v4 :: v_dual_sub_f32 v8, v8, v10
	v_add_f32_e32 v8, v8, v9
	v_cvt_i32_f32_e32 v9, v10
	s_delay_alu instid0(VALU_DEP_2) | instskip(SKIP_2) | instid1(VALU_DEP_1)
	v_exp_f32_e32 v8, v8
	s_waitcnt_depctr 0xfff
	v_ldexp_f32 v8, v8, v9
	v_cndmask_b32_e32 v8, 0, v8, vcc_lo
	v_cmp_nlt_f32_e32 vcc_lo, 0x42b17218, v4
	s_delay_alu instid0(VALU_DEP_2) | instskip(SKIP_2) | instid1(VALU_DEP_2)
	v_cndmask_b32_e32 v4, 0x7f800000, v8, vcc_lo
	v_lshlrev_b64 v[8:9], 2, v[1:2]
	v_add_nc_u32_e32 v1, s0, v1
	v_add_co_u32 v8, vcc_lo, s6, v8
	s_delay_alu instid0(VALU_DEP_3) | instskip(SKIP_3) | instid1(VALU_DEP_2)
	v_add_co_ci_u32_e32 v9, vcc_lo, s7, v9, vcc_lo
	global_store_b32 v[8:9], v4, off
	v_lshlrev_b64 v[8:9], 2, v[1:2]
	v_dual_mov_b32 v4, 0x55f01b4a :: v_dual_add_nc_u32 v1, s0, v1
	v_add_co_u32 v8, vcc_lo, s6, v8
	s_delay_alu instid0(VALU_DEP_3) | instskip(SKIP_3) | instid1(VALU_DEP_2)
	v_add_co_ci_u32_e32 v9, vcc_lo, s7, v9, vcc_lo
	global_store_b32 v[8:9], v4, off
	v_lshlrev_b64 v[8:9], 2, v[1:2]
	v_dual_mov_b32 v4, 0x5635e621 :: v_dual_add_nc_u32 v1, s0, v1
	v_add_co_u32 v8, vcc_lo, s6, v8
	s_delay_alu instid0(VALU_DEP_3) | instskip(SKIP_3) | instid1(VALU_DEP_1)
	v_add_co_ci_u32_e32 v9, vcc_lo, s7, v9, vcc_lo
	global_store_b32 v[8:9], v4, off
	v_fmaak_f32 v8, s1, v3, 0x41e6d6a0
	s_mov_b32 s1, 0x3ef5c28f
	v_mul_f32_e32 v9, 0x3fb8aa3b, v8
	v_cmp_ngt_f32_e32 vcc_lo, 0xc2ce8ed0, v8
	s_delay_alu instid0(VALU_DEP_2) | instskip(SKIP_1) | instid1(VALU_DEP_1)
	v_fma_f32 v10, 0x3fb8aa3b, v8, -v9
	v_rndne_f32_e32 v11, v9
	v_dual_fmac_f32 v10, 0x32a5705f, v8 :: v_dual_sub_f32 v9, v9, v11
	s_delay_alu instid0(VALU_DEP_1) | instskip(SKIP_1) | instid1(VALU_DEP_2)
	v_add_f32_e32 v9, v9, v10
	v_cvt_i32_f32_e32 v10, v11
	v_exp_f32_e32 v9, v9
	s_waitcnt_depctr 0xfff
	v_ldexp_f32 v9, v9, v10
	s_delay_alu instid0(VALU_DEP_1) | instskip(SKIP_1) | instid1(VALU_DEP_2)
	v_cndmask_b32_e32 v9, 0, v9, vcc_lo
	v_cmp_nlt_f32_e32 vcc_lo, 0x42b17218, v8
	v_cndmask_b32_e32 v10, 0x7f800000, v9, vcc_lo
	v_lshlrev_b64 v[8:9], 2, v[1:2]
	v_add_nc_u32_e32 v1, s0, v1
	s_delay_alu instid0(VALU_DEP_2) | instskip(NEXT) | instid1(VALU_DEP_3)
	v_add_co_u32 v8, vcc_lo, s6, v8
	v_add_co_ci_u32_e32 v9, vcc_lo, s7, v9, vcc_lo
	global_store_b32 v[8:9], v10, off
	v_fmaak_f32 v8, s1, v0, 0x41ddbcd3
	s_mov_b32 s1, 0xc3494963
	s_delay_alu instid0(VALU_DEP_1) | instskip(NEXT) | instid1(VALU_DEP_1)
	v_fmamk_f32 v8, v3, 0x4302d61a, v8
	v_mul_f32_e32 v9, 0x3fb8aa3b, v8
	v_cmp_ngt_f32_e32 vcc_lo, 0xc2ce8ed0, v8
	s_delay_alu instid0(VALU_DEP_2) | instskip(SKIP_1) | instid1(VALU_DEP_1)
	v_fma_f32 v10, 0x3fb8aa3b, v8, -v9
	v_rndne_f32_e32 v11, v9
	v_dual_fmac_f32 v10, 0x32a5705f, v8 :: v_dual_sub_f32 v9, v9, v11
	s_delay_alu instid0(VALU_DEP_1) | instskip(SKIP_1) | instid1(VALU_DEP_2)
	v_add_f32_e32 v9, v9, v10
	v_cvt_i32_f32_e32 v10, v11
	v_exp_f32_e32 v9, v9
	s_waitcnt_depctr 0xfff
	v_ldexp_f32 v9, v9, v10
	s_delay_alu instid0(VALU_DEP_1) | instskip(SKIP_1) | instid1(VALU_DEP_2)
	v_cndmask_b32_e32 v9, 0, v9, vcc_lo
	v_cmp_nlt_f32_e32 vcc_lo, 0x42b17218, v8
	v_cndmask_b32_e32 v10, 0x7f800000, v9, vcc_lo
	v_lshlrev_b64 v[8:9], 2, v[1:2]
	v_add_nc_u32_e32 v1, s0, v1
	s_delay_alu instid0(VALU_DEP_2) | instskip(NEXT) | instid1(VALU_DEP_3)
	v_add_co_u32 v8, vcc_lo, s6, v8
	v_add_co_ci_u32_e32 v9, vcc_lo, s7, v9, vcc_lo
	global_store_b32 v[8:9], v10, off
	v_lshlrev_b64 v[8:9], 2, v[1:2]
	v_dual_mov_b32 v10, 0x5685838a :: v_dual_add_nc_u32 v1, s0, v1
	s_delay_alu instid0(VALU_DEP_2) | instskip(NEXT) | instid1(VALU_DEP_3)
	v_add_co_u32 v8, vcc_lo, s6, v8
	v_add_co_ci_u32_e32 v9, vcc_lo, s7, v9, vcc_lo
	global_store_b32 v[8:9], v10, off
	v_lshlrev_b64 v[8:9], 2, v[1:2]
	v_add_nc_u32_e32 v1, s0, v1
	s_delay_alu instid0(VALU_DEP_2) | instskip(NEXT) | instid1(VALU_DEP_3)
	v_add_co_u32 v8, vcc_lo, s6, v8
	v_add_co_ci_u32_e32 v9, vcc_lo, s7, v9, vcc_lo
	global_store_b32 v[8:9], v6, off
	v_lshlrev_b64 v[8:9], 2, v[1:2]
	v_add_nc_u32_e32 v1, s0, v1
	s_delay_alu instid0(VALU_DEP_2) | instskip(NEXT) | instid1(VALU_DEP_3)
	v_add_co_u32 v8, vcc_lo, s6, v8
	v_add_co_ci_u32_e32 v9, vcc_lo, s7, v9, vcc_lo
	global_store_b32 v[8:9], v6, off
	v_lshlrev_b64 v[8:9], 2, v[1:2]
	v_add_nc_u32_e32 v1, s0, v1
	s_delay_alu instid0(VALU_DEP_2) | instskip(NEXT) | instid1(VALU_DEP_3)
	v_add_co_u32 v8, vcc_lo, s6, v8
	v_add_co_ci_u32_e32 v9, vcc_lo, s7, v9, vcc_lo
	global_store_b32 v[8:9], v4, off
	v_sub_f32_e32 v8, 0x421f145d, v0
	s_delay_alu instid0(VALU_DEP_1) | instskip(NEXT) | instid1(VALU_DEP_1)
	v_fmamk_f32 v8, v3, 0xc605aabc, v8
	v_mul_f32_e32 v9, 0x3fb8aa3b, v8
	v_cmp_ngt_f32_e32 vcc_lo, 0xc2ce8ed0, v8
	s_delay_alu instid0(VALU_DEP_2) | instskip(SKIP_1) | instid1(VALU_DEP_1)
	v_fma_f32 v10, 0x3fb8aa3b, v8, -v9
	v_rndne_f32_e32 v11, v9
	v_dual_fmac_f32 v10, 0x32a5705f, v8 :: v_dual_sub_f32 v9, v9, v11
	s_delay_alu instid0(VALU_DEP_1) | instskip(SKIP_1) | instid1(VALU_DEP_2)
	v_add_f32_e32 v9, v9, v10
	v_cvt_i32_f32_e32 v10, v11
	v_exp_f32_e32 v9, v9
	s_waitcnt_depctr 0xfff
	v_ldexp_f32 v9, v9, v10
	s_delay_alu instid0(VALU_DEP_1) | instskip(SKIP_1) | instid1(VALU_DEP_2)
	v_cndmask_b32_e32 v9, 0, v9, vcc_lo
	v_cmp_nlt_f32_e32 vcc_lo, 0x42b17218, v8
	v_cndmask_b32_e32 v10, 0x7f800000, v9, vcc_lo
	v_lshlrev_b64 v[8:9], 2, v[1:2]
	v_add_nc_u32_e32 v1, s0, v1
	s_delay_alu instid0(VALU_DEP_2) | instskip(NEXT) | instid1(VALU_DEP_3)
	v_add_co_u32 v8, vcc_lo, s6, v8
	v_add_co_ci_u32_e32 v9, vcc_lo, s7, v9, vcc_lo
	global_store_b32 v[8:9], v10, off
	v_fmaak_f32 v8, s1, v3, 0x41ed45fb
	s_mov_b32 s1, 0xbf4ccccd
	s_delay_alu instid0(VALU_DEP_1) | instskip(SKIP_1) | instid1(VALU_DEP_2)
	v_mul_f32_e32 v9, 0x3fb8aa3b, v8
	v_cmp_ngt_f32_e32 vcc_lo, 0xc2ce8ed0, v8
	v_fma_f32 v10, 0x3fb8aa3b, v8, -v9
	v_rndne_f32_e32 v11, v9
	s_delay_alu instid0(VALU_DEP_1) | instskip(NEXT) | instid1(VALU_DEP_1)
	v_dual_fmac_f32 v10, 0x32a5705f, v8 :: v_dual_sub_f32 v9, v9, v11
	v_add_f32_e32 v9, v9, v10
	v_cvt_i32_f32_e32 v10, v11
	s_delay_alu instid0(VALU_DEP_2) | instskip(SKIP_2) | instid1(VALU_DEP_1)
	v_exp_f32_e32 v9, v9
	s_waitcnt_depctr 0xfff
	v_ldexp_f32 v9, v9, v10
	v_cndmask_b32_e32 v9, 0, v9, vcc_lo
	v_cmp_nlt_f32_e32 vcc_lo, 0x42b17218, v8
	s_delay_alu instid0(VALU_DEP_2) | instskip(SKIP_2) | instid1(VALU_DEP_2)
	v_cndmask_b32_e32 v10, 0x7f800000, v9, vcc_lo
	v_lshlrev_b64 v[8:9], 2, v[1:2]
	v_add_nc_u32_e32 v1, s0, v1
	v_add_co_u32 v8, vcc_lo, s6, v8
	s_delay_alu instid0(VALU_DEP_3) | instskip(SKIP_3) | instid1(VALU_DEP_1)
	v_add_co_ci_u32_e32 v9, vcc_lo, s7, v9, vcc_lo
	global_store_b32 v[8:9], v10, off
	v_fmaak_f32 v8, s1, v0, 0x421707d6
	s_mov_b32 s1, 0xc396f70a
	v_mul_f32_e32 v9, 0x3fb8aa3b, v8
	v_cmp_ngt_f32_e32 vcc_lo, 0xc2ce8ed0, v8
	s_delay_alu instid0(VALU_DEP_2) | instskip(SKIP_1) | instid1(VALU_DEP_1)
	v_fma_f32 v10, 0x3fb8aa3b, v8, -v9
	v_rndne_f32_e32 v11, v9
	v_dual_fmac_f32 v10, 0x32a5705f, v8 :: v_dual_sub_f32 v9, v9, v11
	s_delay_alu instid0(VALU_DEP_1) | instskip(SKIP_1) | instid1(VALU_DEP_2)
	v_add_f32_e32 v9, v9, v10
	v_cvt_i32_f32_e32 v10, v11
	v_exp_f32_e32 v9, v9
	s_waitcnt_depctr 0xfff
	v_ldexp_f32 v9, v9, v10
	s_delay_alu instid0(VALU_DEP_1) | instskip(SKIP_1) | instid1(VALU_DEP_2)
	v_cndmask_b32_e32 v9, 0, v9, vcc_lo
	v_cmp_nlt_f32_e32 vcc_lo, 0x42b17218, v8
	v_cndmask_b32_e32 v10, 0x7f800000, v9, vcc_lo
	v_lshlrev_b64 v[8:9], 2, v[1:2]
	v_add_nc_u32_e32 v1, s0, v1
	s_delay_alu instid0(VALU_DEP_2) | instskip(NEXT) | instid1(VALU_DEP_3)
	v_add_co_u32 v8, vcc_lo, s6, v8
	v_add_co_ci_u32_e32 v9, vcc_lo, s7, v9, vcc_lo
	global_store_b32 v[8:9], v10, off
	v_fmaak_f32 v8, 2.0, v0, 0x4151f533
	s_delay_alu instid0(VALU_DEP_1) | instskip(NEXT) | instid1(VALU_DEP_1)
	v_fmamk_f32 v8, v3, 0xc563641b, v8
	v_mul_f32_e32 v9, 0x3fb8aa3b, v8
	v_cmp_ngt_f32_e32 vcc_lo, 0xc2ce8ed0, v8
	s_delay_alu instid0(VALU_DEP_2) | instskip(SKIP_1) | instid1(VALU_DEP_1)
	v_fma_f32 v10, 0x3fb8aa3b, v8, -v9
	v_rndne_f32_e32 v11, v9
	v_dual_fmac_f32 v10, 0x32a5705f, v8 :: v_dual_sub_f32 v9, v9, v11
	s_delay_alu instid0(VALU_DEP_1) | instskip(SKIP_1) | instid1(VALU_DEP_2)
	v_add_f32_e32 v9, v9, v10
	v_cvt_i32_f32_e32 v10, v11
	v_exp_f32_e32 v9, v9
	s_waitcnt_depctr 0xfff
	v_ldexp_f32 v9, v9, v10
	s_delay_alu instid0(VALU_DEP_1) | instskip(SKIP_1) | instid1(VALU_DEP_2)
	v_cndmask_b32_e32 v9, 0, v9, vcc_lo
	v_cmp_nlt_f32_e32 vcc_lo, 0x42b17218, v8
	v_cndmask_b32_e32 v10, 0x7f800000, v9, vcc_lo
	v_lshlrev_b64 v[8:9], 2, v[1:2]
	v_add_nc_u32_e32 v1, s0, v1
	s_delay_alu instid0(VALU_DEP_2) | instskip(NEXT) | instid1(VALU_DEP_3)
	v_add_co_u32 v8, vcc_lo, s6, v8
	v_add_co_ci_u32_e32 v9, vcc_lo, s7, v9, vcc_lo
	global_store_b32 v[8:9], v10, off
	v_lshlrev_b64 v[8:9], 2, v[1:2]
	v_dual_mov_b32 v10, 0x569184e7 :: v_dual_add_nc_u32 v1, s0, v1
	s_delay_alu instid0(VALU_DEP_2) | instskip(NEXT) | instid1(VALU_DEP_3)
	v_add_co_u32 v8, vcc_lo, s6, v8
	v_add_co_ci_u32_e32 v9, vcc_lo, s7, v9, vcc_lo
	global_store_b32 v[8:9], v10, off
	v_mul_f32_e32 v8, 0xc43cb4cd, v3
	s_delay_alu instid0(VALU_DEP_1) | instskip(SKIP_1) | instid1(VALU_DEP_2)
	v_mul_f32_e32 v9, 0x3fb8aa3b, v8
	v_cmp_ngt_f32_e32 vcc_lo, 0xc2ce8ed0, v8
	v_fma_f32 v10, 0x3fb8aa3b, v8, -v9
	v_rndne_f32_e32 v11, v9
	s_delay_alu instid0(VALU_DEP_1) | instskip(NEXT) | instid1(VALU_DEP_1)
	v_dual_fmac_f32 v10, 0x32a5705f, v8 :: v_dual_sub_f32 v9, v9, v11
	v_add_f32_e32 v9, v9, v10
	v_cvt_i32_f32_e32 v10, v11
	s_delay_alu instid0(VALU_DEP_2) | instskip(SKIP_2) | instid1(VALU_DEP_1)
	v_exp_f32_e32 v9, v9
	s_waitcnt_depctr 0xfff
	v_ldexp_f32 v9, v9, v10
	v_cndmask_b32_e32 v9, 0, v9, vcc_lo
	v_cmp_nlt_f32_e32 vcc_lo, 0x42b17218, v8
	s_delay_alu instid0(VALU_DEP_2) | instskip(SKIP_2) | instid1(VALU_DEP_3)
	v_cndmask_b32_e32 v10, 0x7f800000, v9, vcc_lo
	v_lshlrev_b64 v[8:9], 2, v[1:2]
	v_add_nc_u32_e32 v1, s0, v1
	v_mul_f32_e32 v11, 0x5519ab11, v10
	v_mul_f32_e32 v10, 0x5419ab11, v10
	s_delay_alu instid0(VALU_DEP_4) | instskip(SKIP_4) | instid1(VALU_DEP_2)
	v_add_co_u32 v8, vcc_lo, s6, v8
	v_add_co_ci_u32_e32 v9, vcc_lo, s7, v9, vcc_lo
	global_store_b32 v[8:9], v11, off
	v_lshlrev_b64 v[8:9], 2, v[1:2]
	v_add_nc_u32_e32 v1, s0, v1
	v_add_co_u32 v8, vcc_lo, s6, v8
	s_delay_alu instid0(VALU_DEP_3) | instskip(SKIP_3) | instid1(VALU_DEP_2)
	v_add_co_ci_u32_e32 v9, vcc_lo, s7, v9, vcc_lo
	global_store_b32 v[8:9], v10, off
	v_lshlrev_b64 v[8:9], 2, v[1:2]
	v_add_nc_u32_e32 v1, s0, v1
	v_add_co_u32 v8, vcc_lo, s6, v8
	s_delay_alu instid0(VALU_DEP_3) | instskip(SKIP_2) | instid1(VALU_DEP_1)
	v_add_co_ci_u32_e32 v9, vcc_lo, s7, v9, vcc_lo
	global_store_b32 v[8:9], v5, off
	v_fmaak_f32 v8, 2.0, v0, 0x4181ec29
	v_fmac_f32_e32 v8, 0xc4bcb4cd, v3
	s_delay_alu instid0(VALU_DEP_1) | instskip(SKIP_1) | instid1(VALU_DEP_2)
	v_mul_f32_e32 v9, 0x3fb8aa3b, v8
	v_cmp_ngt_f32_e32 vcc_lo, 0xc2ce8ed0, v8
	v_fma_f32 v10, 0x3fb8aa3b, v8, -v9
	v_rndne_f32_e32 v11, v9
	s_delay_alu instid0(VALU_DEP_1) | instskip(NEXT) | instid1(VALU_DEP_1)
	v_dual_fmac_f32 v10, 0x32a5705f, v8 :: v_dual_sub_f32 v9, v9, v11
	v_add_f32_e32 v9, v9, v10
	v_cvt_i32_f32_e32 v10, v11
	s_delay_alu instid0(VALU_DEP_2) | instskip(SKIP_2) | instid1(VALU_DEP_1)
	v_exp_f32_e32 v9, v9
	s_waitcnt_depctr 0xfff
	v_ldexp_f32 v9, v9, v10
	v_cndmask_b32_e32 v9, 0, v9, vcc_lo
	v_cmp_nlt_f32_e32 vcc_lo, 0x42b17218, v8
	s_delay_alu instid0(VALU_DEP_2) | instskip(SKIP_2) | instid1(VALU_DEP_2)
	v_cndmask_b32_e32 v10, 0x7f800000, v9, vcc_lo
	v_lshlrev_b64 v[8:9], 2, v[1:2]
	v_add_nc_u32_e32 v1, s0, v1
	v_add_co_u32 v8, vcc_lo, s6, v8
	s_delay_alu instid0(VALU_DEP_3) | instskip(SKIP_3) | instid1(VALU_DEP_2)
	v_add_co_ci_u32_e32 v9, vcc_lo, s7, v9, vcc_lo
	global_store_b32 v[8:9], v10, off
	v_lshlrev_b64 v[8:9], 2, v[1:2]
	v_add_nc_u32_e32 v1, s0, v1
	v_add_co_u32 v8, vcc_lo, s6, v8
	s_delay_alu instid0(VALU_DEP_3) | instskip(SKIP_2) | instid1(VALU_DEP_1)
	v_add_co_ci_u32_e32 v9, vcc_lo, s7, v9, vcc_lo
	global_store_b32 v[8:9], v5, off
	v_fmaak_f32 v8, 0.5, v0, 0x41db5cc6
	v_fmamk_f32 v8, v3, 0xc50dd81d, v8
	s_delay_alu instid0(VALU_DEP_1) | instskip(SKIP_1) | instid1(VALU_DEP_2)
	v_mul_f32_e32 v9, 0x3fb8aa3b, v8
	v_cmp_ngt_f32_e32 vcc_lo, 0xc2ce8ed0, v8
	v_fma_f32 v10, 0x3fb8aa3b, v8, -v9
	v_rndne_f32_e32 v11, v9
	s_delay_alu instid0(VALU_DEP_1) | instskip(NEXT) | instid1(VALU_DEP_1)
	v_dual_fmac_f32 v10, 0x32a5705f, v8 :: v_dual_sub_f32 v9, v9, v11
	v_add_f32_e32 v9, v9, v10
	v_cvt_i32_f32_e32 v10, v11
	s_delay_alu instid0(VALU_DEP_2) | instskip(SKIP_2) | instid1(VALU_DEP_1)
	v_exp_f32_e32 v9, v9
	s_waitcnt_depctr 0xfff
	v_ldexp_f32 v9, v9, v10
	v_cndmask_b32_e32 v9, 0, v9, vcc_lo
	v_cmp_nlt_f32_e32 vcc_lo, 0x42b17218, v8
	s_delay_alu instid0(VALU_DEP_2) | instskip(SKIP_2) | instid1(VALU_DEP_2)
	v_cndmask_b32_e32 v10, 0x7f800000, v9, vcc_lo
	v_lshlrev_b64 v[8:9], 2, v[1:2]
	v_add_nc_u32_e32 v1, s0, v1
	v_add_co_u32 v8, vcc_lo, s6, v8
	s_delay_alu instid0(VALU_DEP_3) | instskip(SKIP_3) | instid1(VALU_DEP_2)
	v_add_co_ci_u32_e32 v9, vcc_lo, s7, v9, vcc_lo
	global_store_b32 v[8:9], v10, off
	v_lshlrev_b64 v[8:9], 2, v[1:2]
	v_add_nc_u32_e32 v1, s0, v1
	v_add_co_u32 v10, vcc_lo, s6, v8
	s_delay_alu instid0(VALU_DEP_3)
	v_add_co_ci_u32_e32 v11, vcc_lo, s7, v9, vcc_lo
	v_mov_b32_e32 v9, 0x561184e7
	v_mov_b32_e32 v8, 0x55e8d4a5
	global_store_b32 v[10:11], v9, off
	v_lshlrev_b64 v[10:11], 2, v[1:2]
	v_add_nc_u32_e32 v1, s0, v1
	s_delay_alu instid0(VALU_DEP_2) | instskip(NEXT) | instid1(VALU_DEP_3)
	v_add_co_u32 v10, vcc_lo, s6, v10
	v_add_co_ci_u32_e32 v11, vcc_lo, s7, v11, vcc_lo
	global_store_b32 v[10:11], v8, off
	v_fmaak_f32 v10, s1, v3, 0x41f2b66b
	s_mov_b32 s1, 0x3f866666
	s_delay_alu instid0(VALU_DEP_1) | instskip(SKIP_1) | instid1(VALU_DEP_2)
	v_mul_f32_e32 v11, 0x3fb8aa3b, v10
	v_cmp_ngt_f32_e32 vcc_lo, 0xc2ce8ed0, v10
	v_fma_f32 v12, 0x3fb8aa3b, v10, -v11
	v_rndne_f32_e32 v13, v11
	s_delay_alu instid0(VALU_DEP_1) | instskip(NEXT) | instid1(VALU_DEP_1)
	v_dual_fmac_f32 v12, 0x32a5705f, v10 :: v_dual_sub_f32 v11, v11, v13
	v_add_f32_e32 v11, v11, v12
	v_cvt_i32_f32_e32 v12, v13
	s_delay_alu instid0(VALU_DEP_2) | instskip(SKIP_2) | instid1(VALU_DEP_1)
	v_exp_f32_e32 v11, v11
	s_waitcnt_depctr 0xfff
	v_ldexp_f32 v11, v11, v12
	v_cndmask_b32_e32 v11, 0, v11, vcc_lo
	v_cmp_nlt_f32_e32 vcc_lo, 0x42b17218, v10
	s_delay_alu instid0(VALU_DEP_2) | instskip(SKIP_2) | instid1(VALU_DEP_2)
	v_cndmask_b32_e32 v12, 0x7f800000, v11, vcc_lo
	v_lshlrev_b64 v[10:11], 2, v[1:2]
	v_add_nc_u32_e32 v1, s0, v1
	v_add_co_u32 v10, vcc_lo, s6, v10
	s_delay_alu instid0(VALU_DEP_3) | instskip(SKIP_3) | instid1(VALU_DEP_2)
	v_add_co_ci_u32_e32 v11, vcc_lo, s7, v11, vcc_lo
	global_store_b32 v[10:11], v12, off
	v_lshlrev_b64 v[10:11], 2, v[1:2]
	v_dual_mov_b32 v12, 0x555a475b :: v_dual_add_nc_u32 v1, s0, v1
	v_add_co_u32 v10, vcc_lo, s6, v10
	s_delay_alu instid0(VALU_DEP_3) | instskip(SKIP_3) | instid1(VALU_DEP_2)
	v_add_co_ci_u32_e32 v11, vcc_lo, s7, v11, vcc_lo
	global_store_b32 v[10:11], v6, off
	v_lshlrev_b64 v[10:11], 2, v[1:2]
	v_add_nc_u32_e32 v1, s0, v1
	v_add_co_u32 v10, vcc_lo, s6, v10
	s_delay_alu instid0(VALU_DEP_3) | instskip(SKIP_3) | instid1(VALU_DEP_2)
	v_add_co_ci_u32_e32 v11, vcc_lo, s7, v11, vcc_lo
	global_store_b32 v[10:11], v12, off
	v_lshlrev_b64 v[10:11], 2, v[1:2]
	v_add_nc_u32_e32 v1, s0, v1
	v_add_co_u32 v10, vcc_lo, s6, v10
	s_delay_alu instid0(VALU_DEP_3) | instskip(SKIP_3) | instid1(VALU_DEP_2)
	v_add_co_ci_u32_e32 v11, vcc_lo, s7, v11, vcc_lo
	global_store_b32 v[10:11], v12, off
	v_lshlrev_b64 v[10:11], 2, v[1:2]
	v_add_nc_u32_e32 v1, s0, v1
	v_add_co_u32 v10, vcc_lo, s6, v10
	s_delay_alu instid0(VALU_DEP_3) | instskip(SKIP_3) | instid1(VALU_DEP_2)
	v_add_co_ci_u32_e32 v11, vcc_lo, s7, v11, vcc_lo
	global_store_b32 v[10:11], v6, off
	v_lshlrev_b64 v[10:11], 2, v[1:2]
	v_dual_mov_b32 v12, 0x567ea895 :: v_dual_add_nc_u32 v1, s0, v1
	v_add_co_u32 v10, vcc_lo, s6, v10
	s_delay_alu instid0(VALU_DEP_3) | instskip(SKIP_3) | instid1(VALU_DEP_2)
	v_add_co_ci_u32_e32 v11, vcc_lo, s7, v11, vcc_lo
	global_store_b32 v[10:11], v12, off
	v_lshlrev_b64 v[10:11], 2, v[1:2]
	v_dual_mov_b32 v12, 0x55cbba10 :: v_dual_add_nc_u32 v1, s0, v1
	;; [unrolled: 6-line block ×4, first 2 shown]
	v_add_co_u32 v10, vcc_lo, s6, v10
	s_delay_alu instid0(VALU_DEP_3) | instskip(SKIP_3) | instid1(VALU_DEP_2)
	v_add_co_ci_u32_e32 v11, vcc_lo, s7, v11, vcc_lo
	global_store_b32 v[10:11], v6, off
	v_lshlrev_b64 v[10:11], 2, v[1:2]
	v_add_nc_u32_e32 v1, s0, v1
	v_add_co_u32 v10, vcc_lo, s6, v10
	s_delay_alu instid0(VALU_DEP_3) | instskip(SKIP_3) | instid1(VALU_DEP_2)
	v_add_co_ci_u32_e32 v11, vcc_lo, s7, v11, vcc_lo
	global_store_b32 v[10:11], v12, off
	v_lshlrev_b64 v[10:11], 2, v[1:2]
	v_dual_mov_b32 v12, 0x54cbba10 :: v_dual_add_nc_u32 v1, s0, v1
	v_add_co_u32 v10, vcc_lo, s6, v10
	s_delay_alu instid0(VALU_DEP_3) | instskip(SKIP_3) | instid1(VALU_DEP_2)
	v_add_co_ci_u32_e32 v11, vcc_lo, s7, v11, vcc_lo
	global_store_b32 v[10:11], v12, off
	v_lshlrev_b64 v[10:11], 2, v[1:2]
	v_dual_mov_b32 v12, 0x554bba10 :: v_dual_add_nc_u32 v1, s0, v1
	v_add_co_u32 v10, vcc_lo, s6, v10
	s_delay_alu instid0(VALU_DEP_3) | instskip(SKIP_2) | instid1(VALU_DEP_1)
	v_add_co_ci_u32_e32 v11, vcc_lo, s7, v11, vcc_lo
	global_store_b32 v[10:11], v12, off
	v_fmaak_f32 v10, s2, v0, 0x41d81e62
	v_fmamk_f32 v10, v3, 0xc4a38ba0, v10
	s_delay_alu instid0(VALU_DEP_1) | instskip(SKIP_1) | instid1(VALU_DEP_2)
	v_mul_f32_e32 v11, 0x3fb8aa3b, v10
	v_cmp_ngt_f32_e32 vcc_lo, 0xc2ce8ed0, v10
	v_fma_f32 v12, 0x3fb8aa3b, v10, -v11
	v_rndne_f32_e32 v13, v11
	s_delay_alu instid0(VALU_DEP_1) | instskip(NEXT) | instid1(VALU_DEP_1)
	v_dual_fmac_f32 v12, 0x32a5705f, v10 :: v_dual_sub_f32 v11, v11, v13
	v_add_f32_e32 v11, v11, v12
	v_cvt_i32_f32_e32 v12, v13
	s_delay_alu instid0(VALU_DEP_2) | instskip(SKIP_2) | instid1(VALU_DEP_1)
	v_exp_f32_e32 v11, v11
	s_waitcnt_depctr 0xfff
	v_ldexp_f32 v11, v11, v12
	v_cndmask_b32_e32 v11, 0, v11, vcc_lo
	v_cmp_nlt_f32_e32 vcc_lo, 0x42b17218, v10
	s_delay_alu instid0(VALU_DEP_2) | instskip(SKIP_2) | instid1(VALU_DEP_2)
	v_cndmask_b32_e32 v12, 0x7f800000, v11, vcc_lo
	v_lshlrev_b64 v[10:11], 2, v[1:2]
	v_add_nc_u32_e32 v1, s0, v1
	v_add_co_u32 v10, vcc_lo, s6, v10
	s_delay_alu instid0(VALU_DEP_3) | instskip(SKIP_3) | instid1(VALU_DEP_1)
	v_add_co_ci_u32_e32 v11, vcc_lo, s7, v11, vcc_lo
	global_store_b32 v[10:11], v12, off
	v_fmaak_f32 v10, s1, v0, 0x41bedebe
	s_mov_b32 s1, 0xc4deac62
	v_fmamk_f32 v10, v3, 0xc4ce011b, v10
	s_delay_alu instid0(VALU_DEP_1) | instskip(SKIP_1) | instid1(VALU_DEP_2)
	v_mul_f32_e32 v11, 0x3fb8aa3b, v10
	v_cmp_ngt_f32_e32 vcc_lo, 0xc2ce8ed0, v10
	v_fma_f32 v12, 0x3fb8aa3b, v10, -v11
	v_rndne_f32_e32 v13, v11
	s_delay_alu instid0(VALU_DEP_1) | instskip(NEXT) | instid1(VALU_DEP_1)
	v_dual_fmac_f32 v12, 0x32a5705f, v10 :: v_dual_sub_f32 v11, v11, v13
	v_add_f32_e32 v11, v11, v12
	v_cvt_i32_f32_e32 v12, v13
	s_delay_alu instid0(VALU_DEP_2) | instskip(SKIP_2) | instid1(VALU_DEP_1)
	v_exp_f32_e32 v11, v11
	s_waitcnt_depctr 0xfff
	v_ldexp_f32 v11, v11, v12
	v_cndmask_b32_e32 v11, 0, v11, vcc_lo
	v_cmp_nlt_f32_e32 vcc_lo, 0x42b17218, v10
	s_delay_alu instid0(VALU_DEP_2) | instskip(SKIP_2) | instid1(VALU_DEP_2)
	v_cndmask_b32_e32 v12, 0x7f800000, v11, vcc_lo
	v_lshlrev_b64 v[10:11], 2, v[1:2]
	v_add_nc_u32_e32 v1, s0, v1
	v_add_co_u32 v10, vcc_lo, s6, v10
	s_delay_alu instid0(VALU_DEP_3) | instskip(SKIP_3) | instid1(VALU_DEP_1)
	v_add_co_ci_u32_e32 v11, vcc_lo, s7, v11, vcc_lo
	global_store_b32 v[10:11], v12, off
	v_fmaak_f32 v10, s1, v3, 0x41fa5b4e
	s_mov_b32 s1, 0x3f970a3d
	v_mul_f32_e32 v11, 0x3fb8aa3b, v10
	v_cmp_ngt_f32_e32 vcc_lo, 0xc2ce8ed0, v10
	s_delay_alu instid0(VALU_DEP_2) | instskip(SKIP_1) | instid1(VALU_DEP_1)
	v_fma_f32 v12, 0x3fb8aa3b, v10, -v11
	v_rndne_f32_e32 v13, v11
	v_dual_fmac_f32 v12, 0x32a5705f, v10 :: v_dual_sub_f32 v11, v11, v13
	s_delay_alu instid0(VALU_DEP_1) | instskip(SKIP_1) | instid1(VALU_DEP_2)
	v_add_f32_e32 v11, v11, v12
	v_cvt_i32_f32_e32 v12, v13
	v_exp_f32_e32 v11, v11
	s_waitcnt_depctr 0xfff
	v_ldexp_f32 v11, v11, v12
	s_delay_alu instid0(VALU_DEP_1) | instskip(SKIP_1) | instid1(VALU_DEP_2)
	v_cndmask_b32_e32 v11, 0, v11, vcc_lo
	v_cmp_nlt_f32_e32 vcc_lo, 0x42b17218, v10
	v_cndmask_b32_e32 v12, 0x7f800000, v11, vcc_lo
	v_lshlrev_b64 v[10:11], 2, v[1:2]
	v_add_nc_u32_e32 v1, s0, v1
	s_delay_alu instid0(VALU_DEP_2) | instskip(NEXT) | instid1(VALU_DEP_3)
	v_add_co_u32 v10, vcc_lo, s6, v10
	v_add_co_ci_u32_e32 v11, vcc_lo, s7, v11, vcc_lo
	global_store_b32 v[10:11], v12, off
	v_fmaak_f32 v10, s1, v0, 0x41afa588
	s_mov_b32 s1, 0xc69d4155
	s_delay_alu instid0(VALU_DEP_1) | instskip(NEXT) | instid1(VALU_DEP_1)
	v_fmamk_f32 v10, v3, 0x4360f017, v10
	v_mul_f32_e32 v11, 0x3fb8aa3b, v10
	v_cmp_ngt_f32_e32 vcc_lo, 0xc2ce8ed0, v10
	s_delay_alu instid0(VALU_DEP_2) | instskip(SKIP_1) | instid1(VALU_DEP_1)
	v_fma_f32 v12, 0x3fb8aa3b, v10, -v11
	v_rndne_f32_e32 v13, v11
	v_dual_fmac_f32 v12, 0x32a5705f, v10 :: v_dual_sub_f32 v11, v11, v13
	s_delay_alu instid0(VALU_DEP_1) | instskip(SKIP_1) | instid1(VALU_DEP_2)
	v_add_f32_e32 v11, v11, v12
	v_cvt_i32_f32_e32 v12, v13
	v_exp_f32_e32 v11, v11
	s_waitcnt_depctr 0xfff
	v_ldexp_f32 v11, v11, v12
	s_delay_alu instid0(VALU_DEP_1) | instskip(SKIP_1) | instid1(VALU_DEP_2)
	v_cndmask_b32_e32 v11, 0, v11, vcc_lo
	v_cmp_nlt_f32_e32 vcc_lo, 0x42b17218, v10
	v_cndmask_b32_e32 v12, 0x7f800000, v11, vcc_lo
	v_lshlrev_b64 v[10:11], 2, v[1:2]
	v_add_nc_u32_e32 v1, s0, v1
	s_delay_alu instid0(VALU_DEP_2) | instskip(NEXT) | instid1(VALU_DEP_3)
	v_add_co_u32 v10, vcc_lo, s6, v10
	v_add_co_ci_u32_e32 v11, vcc_lo, s7, v11, vcc_lo
	global_store_b32 v[10:11], v12, off
	v_fmaak_f32 v10, s1, v3, 0x4200f1dc
	s_lshl_b32 s1, s0, 1
	s_delay_alu instid0(VALU_DEP_1) | instskip(SKIP_1) | instid1(VALU_DEP_2)
	v_mul_f32_e32 v11, 0x3fb8aa3b, v10
	v_cmp_ngt_f32_e32 vcc_lo, 0xc2ce8ed0, v10
	v_fma_f32 v12, 0x3fb8aa3b, v10, -v11
	v_rndne_f32_e32 v13, v11
	s_delay_alu instid0(VALU_DEP_1) | instskip(NEXT) | instid1(VALU_DEP_1)
	v_dual_fmac_f32 v12, 0x32a5705f, v10 :: v_dual_sub_f32 v11, v11, v13
	v_add_f32_e32 v11, v11, v12
	v_cvt_i32_f32_e32 v12, v13
	s_delay_alu instid0(VALU_DEP_2) | instskip(SKIP_2) | instid1(VALU_DEP_1)
	v_exp_f32_e32 v11, v11
	s_waitcnt_depctr 0xfff
	v_ldexp_f32 v11, v11, v12
	v_cndmask_b32_e32 v11, 0, v11, vcc_lo
	v_cmp_nlt_f32_e32 vcc_lo, 0x42b17218, v10
	s_delay_alu instid0(VALU_DEP_2) | instskip(SKIP_1) | instid1(VALU_DEP_1)
	v_cndmask_b32_e32 v12, 0x7f800000, v11, vcc_lo
	v_lshlrev_b64 v[10:11], 2, v[1:2]
	v_add_co_u32 v10, vcc_lo, s6, v10
	s_delay_alu instid0(VALU_DEP_2) | instskip(SKIP_2) | instid1(VALU_DEP_1)
	v_add_co_ci_u32_e32 v11, vcc_lo, s7, v11, vcc_lo
	global_store_b32 v[10:11], v12, off
	v_dual_mul_f32 v10, 0xc57b9bbc, v3 :: v_dual_add_nc_u32 v1, s0, v1
	v_mul_f32_e32 v11, 0x3fb8aa3b, v10
	v_cmp_ngt_f32_e32 vcc_lo, 0xc2ce8ed0, v10
	s_delay_alu instid0(VALU_DEP_2) | instskip(SKIP_1) | instid1(VALU_DEP_1)
	v_fma_f32 v12, 0x3fb8aa3b, v10, -v11
	v_rndne_f32_e32 v13, v11
	v_dual_fmac_f32 v12, 0x32a5705f, v10 :: v_dual_sub_f32 v11, v11, v13
	s_delay_alu instid0(VALU_DEP_1) | instskip(SKIP_1) | instid1(VALU_DEP_2)
	v_add_f32_e32 v11, v11, v12
	v_cvt_i32_f32_e32 v12, v13
	v_exp_f32_e32 v11, v11
	s_waitcnt_depctr 0xfff
	v_ldexp_f32 v11, v11, v12
	s_delay_alu instid0(VALU_DEP_1) | instskip(SKIP_1) | instid1(VALU_DEP_2)
	v_cndmask_b32_e32 v11, 0, v11, vcc_lo
	v_cmp_nlt_f32_e32 vcc_lo, 0x42b17218, v10
	v_cndmask_b32_e32 v13, 0x7f800000, v11, vcc_lo
	v_lshlrev_b64 v[10:11], 2, v[1:2]
	s_delay_alu instid0(VALU_DEP_2) | instskip(SKIP_1) | instid1(VALU_DEP_3)
	v_mul_f32_e32 v12, 0x5368d4a5, v13
	v_mul_f32_e32 v14, 0x5635e621, v13
	v_add_co_u32 v10, vcc_lo, s6, v10
	s_delay_alu instid0(VALU_DEP_4) | instskip(SKIP_3) | instid1(VALU_DEP_1)
	v_add_co_ci_u32_e32 v11, vcc_lo, s7, v11, vcc_lo
	global_store_b32 v[10:11], v12, off
	v_mad_u64_u32 v[10:11], null, s0, 51, v[1:2]
	v_mov_b32_e32 v11, v2
	v_lshlrev_b64 v[11:12], 2, v[10:11]
	v_add_nc_u32_e32 v1, s1, v10
	s_delay_alu instid0(VALU_DEP_2) | instskip(NEXT) | instid1(VALU_DEP_3)
	v_add_co_u32 v11, vcc_lo, s6, v11
	v_add_co_ci_u32_e32 v12, vcc_lo, s7, v12, vcc_lo
	global_store_b32 v[11:12], v14, off
	v_lshlrev_b64 v[10:11], 2, v[1:2]
	v_mul_f32_e32 v12, 0x551184e7, v13
	s_delay_alu instid0(VALU_DEP_2) | instskip(NEXT) | instid1(VALU_DEP_3)
	v_add_co_u32 v10, vcc_lo, s6, v10
	v_add_co_ci_u32_e32 v11, vcc_lo, s7, v11, vcc_lo
	global_store_b32 v[10:11], v12, off
	v_fmaak_f32 v10, s4, v3, 0x4200b904
	s_mov_b32 s4, 0xbf2147ae
	s_delay_alu instid0(VALU_DEP_1) | instskip(SKIP_1) | instid1(VALU_DEP_2)
	v_mul_f32_e32 v11, 0x3fb8aa3b, v10
	v_cmp_ngt_f32_e32 vcc_lo, 0xc2ce8ed0, v10
	v_fma_f32 v12, 0x3fb8aa3b, v10, -v11
	v_rndne_f32_e32 v13, v11
	s_delay_alu instid0(VALU_DEP_1) | instskip(NEXT) | instid1(VALU_DEP_1)
	v_dual_fmac_f32 v12, 0x32a5705f, v10 :: v_dual_sub_f32 v11, v11, v13
	v_add_f32_e32 v11, v11, v12
	v_cvt_i32_f32_e32 v12, v13
	s_delay_alu instid0(VALU_DEP_2) | instskip(SKIP_2) | instid1(VALU_DEP_1)
	v_exp_f32_e32 v11, v11
	s_waitcnt_depctr 0xfff
	v_ldexp_f32 v11, v11, v12
	v_cndmask_b32_e32 v11, 0, v11, vcc_lo
	v_cmp_nlt_f32_e32 vcc_lo, 0x42b17218, v10
	s_delay_alu instid0(VALU_DEP_2) | instskip(SKIP_4) | instid1(VALU_DEP_2)
	v_cndmask_b32_e32 v13, 0x7f800000, v11, vcc_lo
	v_mad_u64_u32 v[10:11], null, 0xffffffcc, s0, v[1:2]
	v_mov_b32_e32 v11, v2
	v_fmaak_f32 v1, s4, v0, 0x4214524f
	s_mov_b32 s4, 0x3fcccccd
	v_lshlrev_b64 v[11:12], 2, v[10:11]
	s_delay_alu instid0(VALU_DEP_2) | instskip(NEXT) | instid1(VALU_DEP_2)
	v_fmamk_f32 v1, v3, 0xc340bb63, v1
	v_add_co_u32 v11, vcc_lo, s6, v11
	s_delay_alu instid0(VALU_DEP_3) | instskip(NEXT) | instid1(VALU_DEP_3)
	v_add_co_ci_u32_e32 v12, vcc_lo, s7, v12, vcc_lo
	v_cmp_ngt_f32_e32 vcc_lo, 0xc2ce8ed0, v1
	global_store_b32 v[11:12], v13, off
	v_mul_f32_e32 v11, 0x3fb8aa3b, v1
	s_delay_alu instid0(VALU_DEP_1) | instskip(SKIP_1) | instid1(VALU_DEP_2)
	v_fma_f32 v12, 0x3fb8aa3b, v1, -v11
	v_rndne_f32_e32 v13, v11
	v_fmac_f32_e32 v12, 0x32a5705f, v1
	s_delay_alu instid0(VALU_DEP_2) | instskip(NEXT) | instid1(VALU_DEP_1)
	v_sub_f32_e32 v11, v11, v13
	v_add_f32_e32 v11, v11, v12
	v_cvt_i32_f32_e32 v12, v13
	s_delay_alu instid0(VALU_DEP_2) | instskip(SKIP_2) | instid1(VALU_DEP_1)
	v_exp_f32_e32 v11, v11
	s_waitcnt_depctr 0xfff
	v_ldexp_f32 v11, v11, v12
	v_cndmask_b32_e32 v11, 0, v11, vcc_lo
	v_cmp_nlt_f32_e32 vcc_lo, 0x42b17218, v1
	v_add_nc_u32_e32 v1, s0, v10
	s_delay_alu instid0(VALU_DEP_3) | instskip(NEXT) | instid1(VALU_DEP_2)
	v_cndmask_b32_e32 v12, 0x7f800000, v11, vcc_lo
	v_lshlrev_b64 v[10:11], 2, v[1:2]
	v_add_nc_u32_e32 v1, s0, v1
	s_delay_alu instid0(VALU_DEP_2) | instskip(NEXT) | instid1(VALU_DEP_3)
	v_add_co_u32 v10, vcc_lo, s6, v10
	v_add_co_ci_u32_e32 v11, vcc_lo, s7, v11, vcc_lo
	global_store_b32 v[10:11], v12, off
	v_mov_b32_e32 v12, 0x5699573f
	v_lshlrev_b64 v[10:11], 2, v[1:2]
	v_add_nc_u32_e32 v1, s0, v1
	s_delay_alu instid0(VALU_DEP_2) | instskip(NEXT) | instid1(VALU_DEP_3)
	v_add_co_u32 v10, vcc_lo, s6, v10
	v_add_co_ci_u32_e32 v11, vcc_lo, s7, v11, vcc_lo
	global_store_b32 v[10:11], v12, off
	v_fmaak_f32 v10, s4, v0, 0x418eba16
	s_delay_alu instid0(VALU_DEP_1) | instskip(NEXT) | instid1(VALU_DEP_1)
	v_fmamk_f32 v10, v3, 0xc52a76f3, v10
	v_mul_f32_e32 v11, 0x3fb8aa3b, v10
	v_cmp_ngt_f32_e32 vcc_lo, 0xc2ce8ed0, v10
	s_delay_alu instid0(VALU_DEP_2) | instskip(SKIP_1) | instid1(VALU_DEP_1)
	v_fma_f32 v12, 0x3fb8aa3b, v10, -v11
	v_rndne_f32_e32 v13, v11
	v_dual_fmac_f32 v12, 0x32a5705f, v10 :: v_dual_sub_f32 v11, v11, v13
	s_delay_alu instid0(VALU_DEP_1) | instskip(SKIP_1) | instid1(VALU_DEP_2)
	v_add_f32_e32 v11, v11, v12
	v_cvt_i32_f32_e32 v12, v13
	v_exp_f32_e32 v11, v11
	s_waitcnt_depctr 0xfff
	v_ldexp_f32 v11, v11, v12
	s_delay_alu instid0(VALU_DEP_1) | instskip(SKIP_1) | instid1(VALU_DEP_2)
	v_cndmask_b32_e32 v11, 0, v11, vcc_lo
	v_cmp_nlt_f32_e32 vcc_lo, 0x42b17218, v10
	v_cndmask_b32_e32 v12, 0x7f800000, v11, vcc_lo
	v_lshlrev_b64 v[10:11], 2, v[1:2]
	v_add_nc_u32_e32 v1, s0, v1
	s_delay_alu instid0(VALU_DEP_2) | instskip(NEXT) | instid1(VALU_DEP_3)
	v_add_co_u32 v10, vcc_lo, s6, v10
	v_add_co_ci_u32_e32 v11, vcc_lo, s7, v11, vcc_lo
	global_store_b32 v[10:11], v12, off
	v_mov_b32_e32 v12, 0x55b5f8c1
	v_lshlrev_b64 v[10:11], 2, v[1:2]
	v_add_nc_u32_e32 v1, s0, v1
	s_delay_alu instid0(VALU_DEP_2) | instskip(NEXT) | instid1(VALU_DEP_3)
	v_add_co_u32 v10, vcc_lo, s6, v10
	v_add_co_ci_u32_e32 v11, vcc_lo, s7, v11, vcc_lo
	global_store_b32 v[10:11], v12, off
	v_fmaak_f32 v10, s5, v3, 0x41f879e0
	s_mov_b32 s5, 0xc58c960e
	s_delay_alu instid0(VALU_DEP_1) | instskip(SKIP_1) | instid1(VALU_DEP_2)
	v_mul_f32_e32 v11, 0x3fb8aa3b, v10
	v_cmp_ngt_f32_e32 vcc_lo, 0xc2ce8ed0, v10
	v_fma_f32 v12, 0x3fb8aa3b, v10, -v11
	v_rndne_f32_e32 v13, v11
	s_delay_alu instid0(VALU_DEP_1) | instskip(NEXT) | instid1(VALU_DEP_1)
	v_dual_fmac_f32 v12, 0x32a5705f, v10 :: v_dual_sub_f32 v11, v11, v13
	v_add_f32_e32 v11, v11, v12
	v_cvt_i32_f32_e32 v12, v13
	s_delay_alu instid0(VALU_DEP_2) | instskip(SKIP_2) | instid1(VALU_DEP_1)
	v_exp_f32_e32 v11, v11
	s_waitcnt_depctr 0xfff
	v_ldexp_f32 v11, v11, v12
	v_cndmask_b32_e32 v11, 0, v11, vcc_lo
	v_cmp_nlt_f32_e32 vcc_lo, 0x42b17218, v10
	s_delay_alu instid0(VALU_DEP_2) | instskip(SKIP_1) | instid1(VALU_DEP_1)
	v_cndmask_b32_e32 v12, 0x7f800000, v11, vcc_lo
	v_lshlrev_b64 v[10:11], 2, v[1:2]
	v_add_co_u32 v10, vcc_lo, s6, v10
	s_delay_alu instid0(VALU_DEP_2) | instskip(SKIP_3) | instid1(VALU_DEP_1)
	v_add_co_ci_u32_e32 v11, vcc_lo, s7, v11, vcc_lo
	global_store_b32 v[10:11], v12, off
	v_fmaak_f32 v10, s5, v3, 0x41c2744c
	s_mov_b32 s5, 0x401e147b
	v_mul_f32_e32 v11, 0x3fb8aa3b, v10
	v_cmp_ngt_f32_e32 vcc_lo, 0xc2ce8ed0, v10
	s_delay_alu instid0(VALU_DEP_2) | instskip(SKIP_1) | instid1(VALU_DEP_1)
	v_fma_f32 v12, 0x3fb8aa3b, v10, -v11
	v_rndne_f32_e32 v13, v11
	v_dual_fmac_f32 v12, 0x32a5705f, v10 :: v_dual_sub_f32 v11, v11, v13
	v_add_nc_u32_e32 v1, s0, v1
	s_delay_alu instid0(VALU_DEP_2) | instskip(SKIP_1) | instid1(VALU_DEP_2)
	v_add_f32_e32 v11, v11, v12
	v_cvt_i32_f32_e32 v12, v13
	v_exp_f32_e32 v11, v11
	s_waitcnt_depctr 0xfff
	v_ldexp_f32 v11, v11, v12
	s_delay_alu instid0(VALU_DEP_1) | instskip(SKIP_1) | instid1(VALU_DEP_2)
	v_cndmask_b32_e32 v11, 0, v11, vcc_lo
	v_cmp_nlt_f32_e32 vcc_lo, 0x42b17218, v10
	v_cndmask_b32_e32 v12, 0x7f800000, v11, vcc_lo
	v_lshlrev_b64 v[10:11], 2, v[1:2]
	v_add_nc_u32_e32 v1, s0, v1
	s_delay_alu instid0(VALU_DEP_2) | instskip(NEXT) | instid1(VALU_DEP_3)
	v_add_co_u32 v10, vcc_lo, s6, v10
	v_add_co_ci_u32_e32 v11, vcc_lo, s7, v11, vcc_lo
	global_store_b32 v[10:11], v12, off
	v_lshlrev_b64 v[10:11], 2, v[1:2]
	v_dual_mov_b32 v12, 0x5368d4a5 :: v_dual_add_nc_u32 v1, s0, v1
	s_delay_alu instid0(VALU_DEP_2) | instskip(NEXT) | instid1(VALU_DEP_3)
	v_add_co_u32 v10, vcc_lo, s6, v10
	v_add_co_ci_u32_e32 v11, vcc_lo, s7, v11, vcc_lo
	global_store_b32 v[10:11], v12, off
	v_lshlrev_b64 v[10:11], 2, v[1:2]
	v_mov_b32_e32 v12, 0x5542fee4
	s_delay_alu instid0(VALU_DEP_2) | instskip(NEXT) | instid1(VALU_DEP_3)
	v_add_co_u32 v10, vcc_lo, s6, v10
	v_add_co_ci_u32_e32 v11, vcc_lo, s7, v11, vcc_lo
	global_store_b32 v[10:11], v12, off
	v_fmaak_f32 v10, s5, v0, 0x4121b3ee
	s_mov_b32 s5, 0x4033d70a
	s_delay_alu instid0(VALU_DEP_1) | instskip(NEXT) | instid1(VALU_DEP_1)
	v_fmamk_f32 v10, v3, 0xc522ea99, v10
	v_mul_f32_e32 v11, 0x3fb8aa3b, v10
	v_cmp_ngt_f32_e32 vcc_lo, 0xc2ce8ed0, v10
	s_delay_alu instid0(VALU_DEP_2) | instskip(SKIP_1) | instid1(VALU_DEP_1)
	v_fma_f32 v12, 0x3fb8aa3b, v10, -v11
	v_rndne_f32_e32 v13, v11
	v_dual_fmac_f32 v12, 0x32a5705f, v10 :: v_dual_sub_f32 v11, v11, v13
	v_add_nc_u32_e32 v1, s0, v1
	s_delay_alu instid0(VALU_DEP_2) | instskip(SKIP_1) | instid1(VALU_DEP_2)
	v_add_f32_e32 v11, v11, v12
	v_cvt_i32_f32_e32 v12, v13
	v_exp_f32_e32 v11, v11
	s_waitcnt_depctr 0xfff
	v_ldexp_f32 v11, v11, v12
	s_delay_alu instid0(VALU_DEP_1) | instskip(SKIP_1) | instid1(VALU_DEP_2)
	v_cndmask_b32_e32 v11, 0, v11, vcc_lo
	v_cmp_nlt_f32_e32 vcc_lo, 0x42b17218, v10
	v_cndmask_b32_e32 v12, 0x7f800000, v11, vcc_lo
	v_lshlrev_b64 v[10:11], 2, v[1:2]
	v_add_nc_u32_e32 v1, s0, v1
	s_delay_alu instid0(VALU_DEP_2) | instskip(NEXT) | instid1(VALU_DEP_3)
	v_add_co_u32 v10, vcc_lo, s6, v10
	v_add_co_ci_u32_e32 v11, vcc_lo, s7, v11, vcc_lo
	global_store_b32 v[10:11], v12, off
	v_lshlrev_b64 v[10:11], 2, v[1:2]
	v_dual_mov_b32 v12, 0x54f6ccec :: v_dual_add_nc_u32 v1, s0, v1
	s_delay_alu instid0(VALU_DEP_2) | instskip(NEXT) | instid1(VALU_DEP_3)
	v_add_co_u32 v10, vcc_lo, s6, v10
	v_add_co_ci_u32_e32 v11, vcc_lo, s7, v11, vcc_lo
	global_store_b32 v[10:11], v6, off
	v_lshlrev_b64 v[10:11], 2, v[1:2]
	v_add_nc_u32_e32 v1, s0, v1
	s_delay_alu instid0(VALU_DEP_2) | instskip(NEXT) | instid1(VALU_DEP_3)
	v_add_co_u32 v10, vcc_lo, s6, v10
	v_add_co_ci_u32_e32 v11, vcc_lo, s7, v11, vcc_lo
	global_store_b32 v[10:11], v12, off
	v_lshlrev_b64 v[10:11], 2, v[1:2]
	v_dual_mov_b32 v12, 0x5582f79d :: v_dual_add_nc_u32 v1, s0, v1
	s_delay_alu instid0(VALU_DEP_2) | instskip(NEXT) | instid1(VALU_DEP_3)
	v_add_co_u32 v10, vcc_lo, s6, v10
	v_add_co_ci_u32_e32 v11, vcc_lo, s7, v11, vcc_lo
	global_store_b32 v[10:11], v12, off
	v_fmaak_f32 v10, s5, v0, 0x4101b939
	s_mov_b32 s5, 0xbf7851ec
	s_delay_alu instid0(VALU_DEP_1) | instskip(NEXT) | instid1(VALU_DEP_1)
	v_fmamk_f32 v10, v3, 0xc5384d98, v10
	v_mul_f32_e32 v11, 0x3fb8aa3b, v10
	v_cmp_ngt_f32_e32 vcc_lo, 0xc2ce8ed0, v10
	s_delay_alu instid0(VALU_DEP_2) | instskip(SKIP_1) | instid1(VALU_DEP_1)
	v_fma_f32 v12, 0x3fb8aa3b, v10, -v11
	v_rndne_f32_e32 v13, v11
	v_dual_fmac_f32 v12, 0x32a5705f, v10 :: v_dual_sub_f32 v11, v11, v13
	s_delay_alu instid0(VALU_DEP_1) | instskip(SKIP_1) | instid1(VALU_DEP_2)
	v_add_f32_e32 v11, v11, v12
	v_cvt_i32_f32_e32 v12, v13
	v_exp_f32_e32 v11, v11
	s_waitcnt_depctr 0xfff
	v_ldexp_f32 v11, v11, v12
	s_delay_alu instid0(VALU_DEP_1) | instskip(SKIP_1) | instid1(VALU_DEP_2)
	v_cndmask_b32_e32 v11, 0, v11, vcc_lo
	v_cmp_nlt_f32_e32 vcc_lo, 0x42b17218, v10
	v_cndmask_b32_e32 v12, 0x7f800000, v11, vcc_lo
	v_lshlrev_b64 v[10:11], 2, v[1:2]
	v_add_nc_u32_e32 v1, s0, v1
	s_delay_alu instid0(VALU_DEP_2) | instskip(NEXT) | instid1(VALU_DEP_3)
	v_add_co_u32 v10, vcc_lo, s6, v10
	v_add_co_ci_u32_e32 v11, vcc_lo, s7, v11, vcc_lo
	global_store_b32 v[10:11], v12, off
	v_lshlrev_b64 v[10:11], 2, v[1:2]
	v_add_nc_u32_e32 v1, s0, v1
	s_delay_alu instid0(VALU_DEP_2) | instskip(NEXT) | instid1(VALU_DEP_3)
	v_add_co_u32 v10, vcc_lo, s6, v10
	v_add_co_ci_u32_e32 v11, vcc_lo, s7, v11, vcc_lo
	global_store_b32 v[10:11], v9, off
	v_mul_f32_e32 v9, 0x438f6ab0, v3
	s_delay_alu instid0(VALU_DEP_1) | instskip(SKIP_1) | instid1(VALU_DEP_2)
	v_mul_f32_e32 v10, 0x3fb8aa3b, v9
	v_cmp_ngt_f32_e32 vcc_lo, 0xc2ce8ed0, v9
	v_fma_f32 v11, 0x3fb8aa3b, v9, -v10
	v_rndne_f32_e32 v12, v10
	s_delay_alu instid0(VALU_DEP_1) | instskip(NEXT) | instid1(VALU_DEP_1)
	v_dual_fmac_f32 v11, 0x32a5705f, v9 :: v_dual_sub_f32 v10, v10, v12
	v_add_f32_e32 v10, v10, v11
	v_cvt_i32_f32_e32 v11, v12
	s_delay_alu instid0(VALU_DEP_2) | instskip(SKIP_2) | instid1(VALU_DEP_1)
	v_exp_f32_e32 v10, v10
	s_waitcnt_depctr 0xfff
	v_ldexp_f32 v10, v10, v11
	v_cndmask_b32_e32 v10, 0, v10, vcc_lo
	v_cmp_nlt_f32_e32 vcc_lo, 0x42b17218, v9
	s_delay_alu instid0(VALU_DEP_2) | instskip(SKIP_1) | instid1(VALU_DEP_2)
	v_cndmask_b32_e32 v11, 0x7f800000, v10, vcc_lo
	v_lshlrev_b64 v[9:10], 2, v[1:2]
	v_mul_f32_e32 v12, 0x552e9f7c, v11
	s_delay_alu instid0(VALU_DEP_2) | instskip(NEXT) | instid1(VALU_DEP_3)
	v_add_co_u32 v9, vcc_lo, s6, v9
	v_add_co_ci_u32_e32 v10, vcc_lo, s7, v10, vcc_lo
	global_store_b32 v[9:10], v12, off
	v_mad_u64_u32 v[9:10], null, s0, 15, v[1:2]
	v_mov_b32_e32 v10, v2
	v_mul_f32_e32 v12, 0x5568d4a5, v11
	v_fmaak_f32 v1, s5, v0, 0x42165f01
	s_mov_b32 s5, 0x3dcccccd
	s_delay_alu instid0(VALU_DEP_3) | instskip(NEXT) | instid1(VALU_DEP_2)
	v_lshlrev_b64 v[10:11], 2, v[9:10]
	v_fmamk_f32 v1, v3, 0xc39bff46, v1
	s_delay_alu instid0(VALU_DEP_2) | instskip(NEXT) | instid1(VALU_DEP_3)
	v_add_co_u32 v10, vcc_lo, s6, v10
	v_add_co_ci_u32_e32 v11, vcc_lo, s7, v11, vcc_lo
	s_delay_alu instid0(VALU_DEP_3) | instskip(SKIP_2) | instid1(VALU_DEP_1)
	v_cmp_ngt_f32_e32 vcc_lo, 0xc2ce8ed0, v1
	global_store_b32 v[10:11], v12, off
	v_mul_f32_e32 v10, 0x3fb8aa3b, v1
	v_fma_f32 v11, 0x3fb8aa3b, v1, -v10
	v_rndne_f32_e32 v12, v10
	s_delay_alu instid0(VALU_DEP_1) | instskip(NEXT) | instid1(VALU_DEP_1)
	v_dual_fmac_f32 v11, 0x32a5705f, v1 :: v_dual_sub_f32 v10, v10, v12
	v_add_f32_e32 v10, v10, v11
	v_cvt_i32_f32_e32 v11, v12
	s_delay_alu instid0(VALU_DEP_2) | instskip(SKIP_2) | instid1(VALU_DEP_1)
	v_exp_f32_e32 v10, v10
	s_waitcnt_depctr 0xfff
	v_ldexp_f32 v10, v10, v11
	v_cndmask_b32_e32 v10, 0, v10, vcc_lo
	v_cmp_nlt_f32_e32 vcc_lo, 0x42b17218, v1
	s_delay_alu instid0(VALU_DEP_2) | instskip(SKIP_2) | instid1(VALU_DEP_1)
	v_cndmask_b32_e32 v1, 0x7f800000, v10, vcc_lo
	v_mad_u64_u32 v[10:11], null, s0, -14, v[9:10]
	v_mov_b32_e32 v11, v2
	v_lshlrev_b64 v[11:12], 2, v[10:11]
	s_delay_alu instid0(VALU_DEP_1) | instskip(NEXT) | instid1(VALU_DEP_2)
	v_add_co_u32 v11, vcc_lo, s6, v11
	v_add_co_ci_u32_e32 v12, vcc_lo, s7, v12, vcc_lo
	global_store_b32 v[11:12], v1, off
	v_fmaak_f32 v1, s5, v0, 0x41e9e85c
	s_mov_b32 s5, 0x40f33333
	s_delay_alu instid0(VALU_DEP_1) | instskip(NEXT) | instid1(VALU_DEP_1)
	v_fmamk_f32 v1, v3, 0xc5a6b0c6, v1
	v_mul_f32_e32 v9, 0x3fb8aa3b, v1
	v_cmp_ngt_f32_e32 vcc_lo, 0xc2ce8ed0, v1
	s_delay_alu instid0(VALU_DEP_2) | instskip(SKIP_1) | instid1(VALU_DEP_2)
	v_fma_f32 v11, 0x3fb8aa3b, v1, -v9
	v_rndne_f32_e32 v12, v9
	v_fmac_f32_e32 v11, 0x32a5705f, v1
	s_delay_alu instid0(VALU_DEP_2) | instskip(NEXT) | instid1(VALU_DEP_1)
	v_sub_f32_e32 v9, v9, v12
	v_add_f32_e32 v9, v9, v11
	v_cvt_i32_f32_e32 v11, v12
	s_delay_alu instid0(VALU_DEP_2) | instskip(SKIP_2) | instid1(VALU_DEP_1)
	v_exp_f32_e32 v9, v9
	s_waitcnt_depctr 0xfff
	v_ldexp_f32 v9, v9, v11
	v_cndmask_b32_e32 v9, 0, v9, vcc_lo
	v_cmp_nlt_f32_e32 vcc_lo, 0x42b17218, v1
	v_add_nc_u32_e32 v1, s0, v10
	s_delay_alu instid0(VALU_DEP_3) | instskip(NEXT) | instid1(VALU_DEP_2)
	v_cndmask_b32_e32 v11, 0x7f800000, v9, vcc_lo
	v_lshlrev_b64 v[9:10], 2, v[1:2]
	v_add_nc_u32_e32 v1, s0, v1
	s_delay_alu instid0(VALU_DEP_2) | instskip(NEXT) | instid1(VALU_DEP_3)
	v_add_co_u32 v9, vcc_lo, s6, v9
	v_add_co_ci_u32_e32 v10, vcc_lo, s7, v10, vcc_lo
	global_store_b32 v[9:10], v11, off
	v_lshlrev_b64 v[9:10], 2, v[1:2]
	v_add_nc_u32_e32 v1, s0, v1
	s_delay_alu instid0(VALU_DEP_2) | instskip(NEXT) | instid1(VALU_DEP_3)
	v_add_co_u32 v9, vcc_lo, s6, v9
	v_add_co_ci_u32_e32 v10, vcc_lo, s7, v10, vcc_lo
	global_store_b32 v[9:10], v4, off
	;; [unrolled: 6-line block ×4, first 2 shown]
	v_lshlrev_b64 v[8:9], 2, v[1:2]
	v_dual_mov_b32 v10, 0x5568d4a5 :: v_dual_add_nc_u32 v1, s0, v1
	s_delay_alu instid0(VALU_DEP_2) | instskip(NEXT) | instid1(VALU_DEP_3)
	v_add_co_u32 v8, vcc_lo, s6, v8
	v_add_co_ci_u32_e32 v9, vcc_lo, s7, v9, vcc_lo
	global_store_b32 v[8:9], v10, off
	v_lshlrev_b64 v[8:9], 2, v[1:2]
	v_add_nc_u32_e32 v1, s0, v1
	s_delay_alu instid0(VALU_DEP_2) | instskip(NEXT) | instid1(VALU_DEP_3)
	v_add_co_u32 v10, vcc_lo, s6, v8
	v_add_co_ci_u32_e32 v11, vcc_lo, s7, v9, vcc_lo
	v_mov_b32_e32 v9, 0x551184e7
	v_mov_b32_e32 v8, 0x549184e7
	global_store_b32 v[10:11], v9, off
	v_lshlrev_b64 v[10:11], 2, v[1:2]
	v_add_nc_u32_e32 v1, s0, v1
	s_delay_alu instid0(VALU_DEP_2) | instskip(NEXT) | instid1(VALU_DEP_3)
	v_add_co_u32 v10, vcc_lo, s6, v10
	v_add_co_ci_u32_e32 v11, vcc_lo, s7, v11, vcc_lo
	global_store_b32 v[10:11], v8, off
	v_fmaak_f32 v8, s5, v0, 0xc1e3d654
	s_mov_b32 s5, 0x3fcf5c29
	s_delay_alu instid0(VALU_DEP_1) | instskip(NEXT) | instid1(VALU_DEP_1)
	v_fmamk_f32 v8, v3, 0x44de0b5b, v8
	v_mul_f32_e32 v10, 0x3fb8aa3b, v8
	v_cmp_ngt_f32_e32 vcc_lo, 0xc2ce8ed0, v8
	s_delay_alu instid0(VALU_DEP_2) | instskip(SKIP_1) | instid1(VALU_DEP_2)
	v_fma_f32 v11, 0x3fb8aa3b, v8, -v10
	v_rndne_f32_e32 v12, v10
	v_fmac_f32_e32 v11, 0x32a5705f, v8
	s_delay_alu instid0(VALU_DEP_2) | instskip(NEXT) | instid1(VALU_DEP_1)
	v_sub_f32_e32 v10, v10, v12
	v_add_f32_e32 v10, v10, v11
	v_cvt_i32_f32_e32 v11, v12
	s_delay_alu instid0(VALU_DEP_2) | instskip(SKIP_2) | instid1(VALU_DEP_1)
	v_exp_f32_e32 v10, v10
	s_waitcnt_depctr 0xfff
	v_ldexp_f32 v10, v10, v11
	v_cndmask_b32_e32 v10, 0, v10, vcc_lo
	v_cmp_nlt_f32_e32 vcc_lo, 0x42b17218, v8
	s_delay_alu instid0(VALU_DEP_2) | instskip(SKIP_2) | instid1(VALU_DEP_2)
	v_cndmask_b32_e32 v8, 0x7f800000, v10, vcc_lo
	v_lshlrev_b64 v[10:11], 2, v[1:2]
	v_add_nc_u32_e32 v1, s0, v1
	v_add_co_u32 v10, vcc_lo, s6, v10
	s_delay_alu instid0(VALU_DEP_3) | instskip(SKIP_2) | instid1(VALU_DEP_1)
	v_add_co_ci_u32_e32 v11, vcc_lo, s7, v11, vcc_lo
	global_store_b32 v[10:11], v8, off
	v_fmaak_f32 v8, s5, v0, 0x41a27646
	v_fmamk_f32 v8, v3, 0xc5aa76f3, v8
	s_delay_alu instid0(VALU_DEP_1) | instskip(SKIP_1) | instid1(VALU_DEP_2)
	v_mul_f32_e32 v10, 0x3fb8aa3b, v8
	v_cmp_ngt_f32_e32 vcc_lo, 0xc2ce8ed0, v8
	v_fma_f32 v11, 0x3fb8aa3b, v8, -v10
	v_rndne_f32_e32 v12, v10
	s_delay_alu instid0(VALU_DEP_2) | instskip(NEXT) | instid1(VALU_DEP_2)
	v_fmac_f32_e32 v11, 0x32a5705f, v8
	v_sub_f32_e32 v10, v10, v12
	s_delay_alu instid0(VALU_DEP_1) | instskip(SKIP_1) | instid1(VALU_DEP_2)
	v_add_f32_e32 v10, v10, v11
	v_cvt_i32_f32_e32 v11, v12
	v_exp_f32_e32 v10, v10
	s_waitcnt_depctr 0xfff
	v_ldexp_f32 v10, v10, v11
	s_delay_alu instid0(VALU_DEP_1) | instskip(SKIP_1) | instid1(VALU_DEP_2)
	v_cndmask_b32_e32 v10, 0, v10, vcc_lo
	v_cmp_nlt_f32_e32 vcc_lo, 0x42b17218, v8
	v_cndmask_b32_e32 v8, 0x7f800000, v10, vcc_lo
	v_lshlrev_b64 v[10:11], 2, v[1:2]
	v_add_nc_u32_e32 v1, s0, v1
	s_delay_alu instid0(VALU_DEP_2) | instskip(NEXT) | instid1(VALU_DEP_3)
	v_add_co_u32 v10, vcc_lo, s6, v10
	v_add_co_ci_u32_e32 v11, vcc_lo, s7, v11, vcc_lo
	global_store_b32 v[10:11], v8, off
	v_fmaak_f32 v8, s3, v0, 0x41a5f1ce
	s_mov_b32 s3, 0xc3d6df9f
	s_delay_alu instid0(VALU_DEP_1) | instskip(NEXT) | instid1(VALU_DEP_1)
	v_fmamk_f32 v8, v3, 0xc5873d4f, v8
	v_mul_f32_e32 v10, 0x3fb8aa3b, v8
	v_cmp_ngt_f32_e32 vcc_lo, 0xc2ce8ed0, v8
	s_delay_alu instid0(VALU_DEP_2) | instskip(SKIP_1) | instid1(VALU_DEP_2)
	v_fma_f32 v11, 0x3fb8aa3b, v8, -v10
	v_rndne_f32_e32 v12, v10
	v_fmac_f32_e32 v11, 0x32a5705f, v8
	s_delay_alu instid0(VALU_DEP_2) | instskip(NEXT) | instid1(VALU_DEP_1)
	v_sub_f32_e32 v10, v10, v12
	v_add_f32_e32 v10, v10, v11
	v_cvt_i32_f32_e32 v11, v12
	s_delay_alu instid0(VALU_DEP_2) | instskip(SKIP_2) | instid1(VALU_DEP_1)
	v_exp_f32_e32 v10, v10
	s_waitcnt_depctr 0xfff
	v_ldexp_f32 v10, v10, v11
	v_cndmask_b32_e32 v10, 0, v10, vcc_lo
	v_cmp_nlt_f32_e32 vcc_lo, 0x42b17218, v8
	s_delay_alu instid0(VALU_DEP_2) | instskip(SKIP_2) | instid1(VALU_DEP_2)
	v_cndmask_b32_e32 v8, 0x7f800000, v10, vcc_lo
	v_lshlrev_b64 v[10:11], 2, v[1:2]
	v_add_nc_u32_e32 v1, s0, v1
	v_add_co_u32 v10, vcc_lo, s6, v10
	s_delay_alu instid0(VALU_DEP_3) | instskip(SKIP_3) | instid1(VALU_DEP_1)
	v_add_co_ci_u32_e32 v11, vcc_lo, s7, v11, vcc_lo
	global_store_b32 v[10:11], v8, off
	v_fmaak_f32 v8, s4, v0, 0x41935d8e
	s_mov_b32 s4, 0xc13d1eb8
	v_fmamk_f32 v8, v3, 0xc4c44127, v8
	s_delay_alu instid0(VALU_DEP_1) | instskip(SKIP_1) | instid1(VALU_DEP_2)
	v_mul_f32_e32 v10, 0x3fb8aa3b, v8
	v_cmp_ngt_f32_e32 vcc_lo, 0xc2ce8ed0, v8
	v_fma_f32 v11, 0x3fb8aa3b, v8, -v10
	v_rndne_f32_e32 v12, v10
	s_delay_alu instid0(VALU_DEP_2) | instskip(NEXT) | instid1(VALU_DEP_2)
	v_fmac_f32_e32 v11, 0x32a5705f, v8
	v_sub_f32_e32 v10, v10, v12
	s_delay_alu instid0(VALU_DEP_1) | instskip(SKIP_1) | instid1(VALU_DEP_2)
	v_add_f32_e32 v10, v10, v11
	v_cvt_i32_f32_e32 v11, v12
	v_exp_f32_e32 v10, v10
	s_waitcnt_depctr 0xfff
	v_ldexp_f32 v10, v10, v11
	s_delay_alu instid0(VALU_DEP_1) | instskip(SKIP_1) | instid1(VALU_DEP_2)
	v_cndmask_b32_e32 v10, 0, v10, vcc_lo
	v_cmp_nlt_f32_e32 vcc_lo, 0x42b17218, v8
	v_cndmask_b32_e32 v8, 0x7f800000, v10, vcc_lo
	v_lshlrev_b64 v[10:11], 2, v[1:2]
	v_add_nc_u32_e32 v1, s0, v1
	s_delay_alu instid0(VALU_DEP_2) | instskip(NEXT) | instid1(VALU_DEP_3)
	v_add_co_u32 v10, vcc_lo, s6, v10
	v_add_co_ci_u32_e32 v11, vcc_lo, s7, v11, vcc_lo
	global_store_b32 v[10:11], v8, off
	v_lshlrev_b64 v[10:11], 2, v[1:2]
	v_dual_mov_b32 v8, 0x565a475b :: v_dual_add_nc_u32 v1, s0, v1
	s_delay_alu instid0(VALU_DEP_2) | instskip(NEXT) | instid1(VALU_DEP_3)
	v_add_co_u32 v10, vcc_lo, s6, v10
	v_add_co_ci_u32_e32 v11, vcc_lo, s7, v11, vcc_lo
	global_store_b32 v[10:11], v8, off
	v_fmaak_f32 v10, 2.0, v0, 0x416b7364
	s_delay_alu instid0(VALU_DEP_1) | instskip(NEXT) | instid1(VALU_DEP_1)
	v_fmamk_f32 v10, v3, 0xc5820cd1, v10
	v_mul_f32_e32 v11, 0x3fb8aa3b, v10
	v_cmp_ngt_f32_e32 vcc_lo, 0xc2ce8ed0, v10
	s_delay_alu instid0(VALU_DEP_2) | instskip(SKIP_1) | instid1(VALU_DEP_1)
	v_fma_f32 v12, 0x3fb8aa3b, v10, -v11
	v_rndne_f32_e32 v13, v11
	v_dual_fmac_f32 v12, 0x32a5705f, v10 :: v_dual_sub_f32 v11, v11, v13
	s_delay_alu instid0(VALU_DEP_1) | instskip(SKIP_1) | instid1(VALU_DEP_2)
	v_add_f32_e32 v11, v11, v12
	v_cvt_i32_f32_e32 v12, v13
	v_exp_f32_e32 v11, v11
	s_waitcnt_depctr 0xfff
	v_ldexp_f32 v11, v11, v12
	s_delay_alu instid0(VALU_DEP_1) | instskip(SKIP_1) | instid1(VALU_DEP_2)
	v_cndmask_b32_e32 v11, 0, v11, vcc_lo
	v_cmp_nlt_f32_e32 vcc_lo, 0x42b17218, v10
	v_cndmask_b32_e32 v12, 0x7f800000, v11, vcc_lo
	v_lshlrev_b64 v[10:11], 2, v[1:2]
	v_add_nc_u32_e32 v1, s1, v1
	s_delay_alu instid0(VALU_DEP_2) | instskip(NEXT) | instid1(VALU_DEP_3)
	v_add_co_u32 v10, vcc_lo, s6, v10
	v_add_co_ci_u32_e32 v11, vcc_lo, s7, v11, vcc_lo
	global_store_b32 v[10:11], v12, off
	v_lshlrev_b64 v[10:11], 2, v[1:2]
	v_add_nc_u32_e32 v1, s0, v1
	s_delay_alu instid0(VALU_DEP_2) | instskip(NEXT) | instid1(VALU_DEP_3)
	v_add_co_u32 v12, vcc_lo, s6, v10
	v_add_co_ci_u32_e32 v13, vcc_lo, s7, v11, vcc_lo
	v_mov_b32_e32 v10, 0x56b5e621
	global_store_b32 v[12:13], v10, off
	v_lshlrev_b64 v[11:12], 2, v[1:2]
	v_add_nc_u32_e32 v1, s0, v1
	s_delay_alu instid0(VALU_DEP_2) | instskip(NEXT) | instid1(VALU_DEP_3)
	v_add_co_u32 v11, vcc_lo, s6, v11
	v_add_co_ci_u32_e32 v12, vcc_lo, s7, v12, vcc_lo
	global_store_b32 v[11:12], v10, off
	v_fmaak_f32 v11, s3, v3, 0x41e0cee6
	s_mov_b32 s3, 0xbf051eb8
	s_delay_alu instid0(VALU_DEP_1) | instskip(SKIP_1) | instid1(VALU_DEP_2)
	v_mul_f32_e32 v12, 0x3fb8aa3b, v11
	v_cmp_ngt_f32_e32 vcc_lo, 0xc2ce8ed0, v11
	v_fma_f32 v13, 0x3fb8aa3b, v11, -v12
	v_rndne_f32_e32 v14, v12
	s_delay_alu instid0(VALU_DEP_1) | instskip(NEXT) | instid1(VALU_DEP_1)
	v_dual_fmac_f32 v13, 0x32a5705f, v11 :: v_dual_sub_f32 v12, v12, v14
	v_add_f32_e32 v12, v12, v13
	v_cvt_i32_f32_e32 v13, v14
	s_delay_alu instid0(VALU_DEP_2) | instskip(SKIP_2) | instid1(VALU_DEP_1)
	v_exp_f32_e32 v12, v12
	s_waitcnt_depctr 0xfff
	v_ldexp_f32 v12, v12, v13
	v_cndmask_b32_e32 v12, 0, v12, vcc_lo
	v_cmp_nlt_f32_e32 vcc_lo, 0x42b17218, v11
	s_delay_alu instid0(VALU_DEP_2) | instskip(SKIP_2) | instid1(VALU_DEP_2)
	v_cndmask_b32_e32 v13, 0x7f800000, v12, vcc_lo
	v_lshlrev_b64 v[11:12], 2, v[1:2]
	v_add_nc_u32_e32 v1, s0, v1
	v_add_co_u32 v11, vcc_lo, s6, v11
	s_delay_alu instid0(VALU_DEP_3) | instskip(SKIP_3) | instid1(VALU_DEP_2)
	v_add_co_ci_u32_e32 v12, vcc_lo, s7, v12, vcc_lo
	global_store_b32 v[11:12], v13, off
	v_lshlrev_b64 v[11:12], 2, v[1:2]
	v_add_nc_u32_e32 v1, s0, v1
	v_add_co_u32 v11, vcc_lo, s6, v11
	s_delay_alu instid0(VALU_DEP_3) | instskip(SKIP_3) | instid1(VALU_DEP_2)
	v_add_co_ci_u32_e32 v12, vcc_lo, s7, v12, vcc_lo
	global_store_b32 v[11:12], v4, off
	;; [unrolled: 6-line block ×3, first 2 shown]
	v_lshlrev_b64 v[11:12], 2, v[1:2]
	v_add_nc_u32_e32 v1, s0, v1
	v_add_co_u32 v11, vcc_lo, s6, v11
	s_delay_alu instid0(VALU_DEP_3) | instskip(SKIP_3) | instid1(VALU_DEP_1)
	v_add_co_ci_u32_e32 v12, vcc_lo, s7, v12, vcc_lo
	global_store_b32 v[11:12], v9, off
	v_fmaak_f32 v11, s3, v0, 0x42094335
	s_mov_b32 s3, 0x40900000
	v_fmamk_f32 v11, v3, 0xc6c7847e, v11
	s_delay_alu instid0(VALU_DEP_1) | instskip(SKIP_1) | instid1(VALU_DEP_2)
	v_mul_f32_e32 v12, 0x3fb8aa3b, v11
	v_cmp_ngt_f32_e32 vcc_lo, 0xc2ce8ed0, v11
	v_fma_f32 v13, 0x3fb8aa3b, v11, -v12
	v_rndne_f32_e32 v14, v12
	s_delay_alu instid0(VALU_DEP_1) | instskip(NEXT) | instid1(VALU_DEP_1)
	v_dual_fmac_f32 v13, 0x32a5705f, v11 :: v_dual_sub_f32 v12, v12, v14
	v_add_f32_e32 v12, v12, v13
	v_cvt_i32_f32_e32 v13, v14
	s_delay_alu instid0(VALU_DEP_2) | instskip(SKIP_2) | instid1(VALU_DEP_1)
	v_exp_f32_e32 v12, v12
	s_waitcnt_depctr 0xfff
	v_ldexp_f32 v12, v12, v13
	v_cndmask_b32_e32 v12, 0, v12, vcc_lo
	v_cmp_nlt_f32_e32 vcc_lo, 0x42b17218, v11
	s_delay_alu instid0(VALU_DEP_2) | instskip(SKIP_2) | instid1(VALU_DEP_2)
	v_cndmask_b32_e32 v13, 0x7f800000, v12, vcc_lo
	v_lshlrev_b64 v[11:12], 2, v[1:2]
	v_add_nc_u32_e32 v1, s0, v1
	v_add_co_u32 v11, vcc_lo, s6, v11
	s_delay_alu instid0(VALU_DEP_3) | instskip(SKIP_2) | instid1(VALU_DEP_1)
	v_add_co_ci_u32_e32 v12, vcc_lo, s7, v12, vcc_lo
	global_store_b32 v[11:12], v13, off
	v_fmaak_f32 v11, s5, v0, 0x419e2bb8
	v_fmamk_f32 v11, v3, 0xc691a690, v11
	s_delay_alu instid0(VALU_DEP_1) | instskip(SKIP_1) | instid1(VALU_DEP_2)
	v_mul_f32_e32 v12, 0x3fb8aa3b, v11
	v_cmp_ngt_f32_e32 vcc_lo, 0xc2ce8ed0, v11
	v_fma_f32 v13, 0x3fb8aa3b, v11, -v12
	v_rndne_f32_e32 v14, v12
	s_delay_alu instid0(VALU_DEP_1) | instskip(NEXT) | instid1(VALU_DEP_1)
	v_dual_fmac_f32 v13, 0x32a5705f, v11 :: v_dual_sub_f32 v12, v12, v14
	v_add_f32_e32 v12, v12, v13
	v_cvt_i32_f32_e32 v13, v14
	s_delay_alu instid0(VALU_DEP_2) | instskip(SKIP_2) | instid1(VALU_DEP_1)
	v_exp_f32_e32 v12, v12
	s_waitcnt_depctr 0xfff
	v_ldexp_f32 v12, v12, v13
	v_cndmask_b32_e32 v12, 0, v12, vcc_lo
	v_cmp_nlt_f32_e32 vcc_lo, 0x42b17218, v11
	s_delay_alu instid0(VALU_DEP_2) | instskip(SKIP_2) | instid1(VALU_DEP_2)
	v_cndmask_b32_e32 v13, 0x7f800000, v12, vcc_lo
	v_lshlrev_b64 v[11:12], 2, v[1:2]
	v_add_nc_u32_e32 v1, s0, v1
	v_add_co_u32 v11, vcc_lo, s6, v11
	s_delay_alu instid0(VALU_DEP_3) | instskip(SKIP_3) | instid1(VALU_DEP_1)
	v_add_co_ci_u32_e32 v12, vcc_lo, s7, v12, vcc_lo
	v_cmp_ngt_f32_e32 vcc_lo, 0xc2ce8ed0, v7
	global_store_b32 v[11:12], v13, off
	v_mul_f32_e32 v11, 0x3fb8aa3b, v7
	v_fma_f32 v12, 0x3fb8aa3b, v7, -v11
	v_rndne_f32_e32 v13, v11
	s_delay_alu instid0(VALU_DEP_1) | instskip(NEXT) | instid1(VALU_DEP_1)
	v_dual_fmac_f32 v12, 0x32a5705f, v7 :: v_dual_sub_f32 v11, v11, v13
	v_add_f32_e32 v11, v11, v12
	v_cvt_i32_f32_e32 v12, v13
	s_delay_alu instid0(VALU_DEP_2) | instskip(SKIP_2) | instid1(VALU_DEP_1)
	v_exp_f32_e32 v11, v11
	s_waitcnt_depctr 0xfff
	v_ldexp_f32 v11, v11, v12
	v_cndmask_b32_e32 v11, 0, v11, vcc_lo
	v_cmp_nlt_f32_e32 vcc_lo, 0x42b17218, v7
	s_delay_alu instid0(VALU_DEP_2) | instskip(SKIP_2) | instid1(VALU_DEP_3)
	v_cndmask_b32_e32 v7, 0x7f800000, v11, vcc_lo
	v_lshlrev_b64 v[11:12], 2, v[1:2]
	v_add_nc_u32_e32 v1, s0, v1
	v_mul_f32_e32 v13, 0x4b790600, v7
	v_mul_f32_e32 v7, 0x4a790600, v7
	s_delay_alu instid0(VALU_DEP_4) | instskip(SKIP_4) | instid1(VALU_DEP_2)
	v_add_co_u32 v11, vcc_lo, s6, v11
	v_add_co_ci_u32_e32 v12, vcc_lo, s7, v12, vcc_lo
	global_store_b32 v[11:12], v13, off
	v_lshlrev_b64 v[11:12], 2, v[1:2]
	v_add_nc_u32_e32 v1, s0, v1
	v_add_co_u32 v11, vcc_lo, s6, v11
	s_delay_alu instid0(VALU_DEP_3) | instskip(SKIP_3) | instid1(VALU_DEP_1)
	v_add_co_ci_u32_e32 v12, vcc_lo, s7, v12, vcc_lo
	global_store_b32 v[11:12], v7, off
	v_fmaak_f32 v7, s3, v0, 0xc106e571
	s_mov_b32 s3, 0xc53cb4cd
	v_fmamk_f32 v7, v3, 0x43fb9bbc, v7
	s_delay_alu instid0(VALU_DEP_1) | instskip(SKIP_1) | instid1(VALU_DEP_2)
	v_mul_f32_e32 v11, 0x3fb8aa3b, v7
	v_cmp_ngt_f32_e32 vcc_lo, 0xc2ce8ed0, v7
	v_fma_f32 v12, 0x3fb8aa3b, v7, -v11
	v_rndne_f32_e32 v13, v11
	s_delay_alu instid0(VALU_DEP_1) | instskip(NEXT) | instid1(VALU_DEP_1)
	v_dual_fmac_f32 v12, 0x32a5705f, v7 :: v_dual_sub_f32 v11, v11, v13
	v_add_f32_e32 v11, v11, v12
	v_cvt_i32_f32_e32 v12, v13
	s_delay_alu instid0(VALU_DEP_2) | instskip(SKIP_2) | instid1(VALU_DEP_1)
	v_exp_f32_e32 v11, v11
	s_waitcnt_depctr 0xfff
	v_ldexp_f32 v11, v11, v12
	v_cndmask_b32_e32 v11, 0, v11, vcc_lo
	v_cmp_nlt_f32_e32 vcc_lo, 0x42b17218, v7
	s_delay_alu instid0(VALU_DEP_2) | instskip(SKIP_2) | instid1(VALU_DEP_2)
	v_cndmask_b32_e32 v7, 0x7f800000, v11, vcc_lo
	v_lshlrev_b64 v[11:12], 2, v[1:2]
	v_add_nc_u32_e32 v1, s0, v1
	v_add_co_u32 v11, vcc_lo, s6, v11
	s_delay_alu instid0(VALU_DEP_3) | instskip(SKIP_2) | instid1(VALU_DEP_1)
	v_add_co_ci_u32_e32 v12, vcc_lo, s7, v12, vcc_lo
	global_store_b32 v[11:12], v7, off
	v_fmaak_f32 v7, 4.0, v0, 0xc0f455f7
	v_fmamk_f32 v7, v3, 0x447b9bbc, v7
	s_delay_alu instid0(VALU_DEP_1) | instskip(SKIP_1) | instid1(VALU_DEP_2)
	v_mul_f32_e32 v11, 0x3fb8aa3b, v7
	v_cmp_ngt_f32_e32 vcc_lo, 0xc2ce8ed0, v7
	v_fma_f32 v12, 0x3fb8aa3b, v7, -v11
	v_rndne_f32_e32 v13, v11
	s_delay_alu instid0(VALU_DEP_1) | instskip(NEXT) | instid1(VALU_DEP_1)
	v_dual_fmac_f32 v12, 0x32a5705f, v7 :: v_dual_sub_f32 v11, v11, v13
	v_add_f32_e32 v11, v11, v12
	v_cvt_i32_f32_e32 v12, v13
	s_delay_alu instid0(VALU_DEP_2) | instskip(SKIP_2) | instid1(VALU_DEP_1)
	v_exp_f32_e32 v11, v11
	s_waitcnt_depctr 0xfff
	v_ldexp_f32 v11, v11, v12
	v_cndmask_b32_e32 v11, 0, v11, vcc_lo
	v_cmp_nlt_f32_e32 vcc_lo, 0x42b17218, v7
	s_delay_alu instid0(VALU_DEP_2) | instskip(SKIP_2) | instid1(VALU_DEP_2)
	v_cndmask_b32_e32 v7, 0x7f800000, v11, vcc_lo
	v_lshlrev_b64 v[11:12], 2, v[1:2]
	v_add_nc_u32_e32 v1, s0, v1
	v_add_co_u32 v11, vcc_lo, s6, v11
	s_delay_alu instid0(VALU_DEP_3) | instskip(SKIP_2) | instid1(VALU_DEP_1)
	v_add_co_ci_u32_e32 v12, vcc_lo, s7, v12, vcc_lo
	global_store_b32 v[11:12], v7, off
	v_fmaak_f32 v7, 2.0, v0, 0x4180f1dc
	v_fmamk_f32 v11, v3, 0xc53cb4cd, v7
	s_delay_alu instid0(VALU_DEP_1) | instskip(SKIP_1) | instid1(VALU_DEP_2)
	v_mul_f32_e32 v12, 0x3fb8aa3b, v11
	v_cmp_ngt_f32_e32 vcc_lo, 0xc2ce8ed0, v11
	v_fma_f32 v13, 0x3fb8aa3b, v11, -v12
	v_rndne_f32_e32 v14, v12
	s_delay_alu instid0(VALU_DEP_1) | instskip(NEXT) | instid1(VALU_DEP_1)
	v_dual_fmac_f32 v13, 0x32a5705f, v11 :: v_dual_sub_f32 v12, v12, v14
	v_add_f32_e32 v12, v12, v13
	v_cvt_i32_f32_e32 v13, v14
	s_delay_alu instid0(VALU_DEP_2) | instskip(SKIP_2) | instid1(VALU_DEP_1)
	v_exp_f32_e32 v12, v12
	s_waitcnt_depctr 0xfff
	v_ldexp_f32 v12, v12, v13
	v_cndmask_b32_e32 v12, 0, v12, vcc_lo
	v_cmp_nlt_f32_e32 vcc_lo, 0x42b17218, v11
	s_delay_alu instid0(VALU_DEP_2) | instskip(SKIP_2) | instid1(VALU_DEP_2)
	v_cndmask_b32_e32 v13, 0x7f800000, v12, vcc_lo
	v_lshlrev_b64 v[11:12], 2, v[1:2]
	v_add_nc_u32_e32 v1, s0, v1
	v_add_co_u32 v11, vcc_lo, s6, v11
	s_delay_alu instid0(VALU_DEP_3) | instskip(SKIP_3) | instid1(VALU_DEP_1)
	v_add_co_ci_u32_e32 v12, vcc_lo, s7, v12, vcc_lo
	global_store_b32 v[11:12], v13, off
	v_fmaak_f32 v11, s4, v0, 0x42fedc7c
	s_mov_b32 s4, 0xbd75c28f
	v_fmamk_f32 v11, v3, 0xc68c77dd, v11
	s_delay_alu instid0(VALU_DEP_1) | instskip(SKIP_1) | instid1(VALU_DEP_2)
	v_mul_f32_e32 v12, 0x3fb8aa3b, v11
	v_cmp_ngt_f32_e32 vcc_lo, 0xc2ce8ed0, v11
	v_fma_f32 v13, 0x3fb8aa3b, v11, -v12
	v_rndne_f32_e32 v14, v12
	s_delay_alu instid0(VALU_DEP_1) | instskip(NEXT) | instid1(VALU_DEP_1)
	v_dual_fmac_f32 v13, 0x32a5705f, v11 :: v_dual_sub_f32 v12, v12, v14
	v_add_f32_e32 v12, v12, v13
	v_cvt_i32_f32_e32 v13, v14
	s_delay_alu instid0(VALU_DEP_2) | instskip(SKIP_2) | instid1(VALU_DEP_1)
	v_exp_f32_e32 v12, v12
	s_waitcnt_depctr 0xfff
	v_ldexp_f32 v12, v12, v13
	v_cndmask_b32_e32 v12, 0, v12, vcc_lo
	v_cmp_nlt_f32_e32 vcc_lo, 0x42b17218, v11
	s_delay_alu instid0(VALU_DEP_2) | instskip(SKIP_2) | instid1(VALU_DEP_2)
	v_cndmask_b32_e32 v13, 0x7f800000, v12, vcc_lo
	v_lshlrev_b64 v[11:12], 2, v[1:2]
	v_add_nc_u32_e32 v1, s0, v1
	v_add_co_u32 v11, vcc_lo, s6, v11
	s_delay_alu instid0(VALU_DEP_3) | instskip(SKIP_3) | instid1(VALU_DEP_2)
	v_add_co_ci_u32_e32 v12, vcc_lo, s7, v12, vcc_lo
	global_store_b32 v[11:12], v13, off
	v_lshlrev_b64 v[11:12], 2, v[1:2]
	v_add_nc_u32_e32 v1, s0, v1
	v_add_co_u32 v11, vcc_lo, s6, v11
	s_delay_alu instid0(VALU_DEP_3) | instskip(SKIP_3) | instid1(VALU_DEP_2)
	v_add_co_ci_u32_e32 v12, vcc_lo, s7, v12, vcc_lo
	global_store_b32 v[11:12], v10, off
	;; [unrolled: 6-line block ×3, first 2 shown]
	v_lshlrev_b64 v[11:12], 2, v[1:2]
	v_add_nc_u32_e32 v1, s0, v1
	v_add_co_u32 v11, vcc_lo, s6, v11
	s_delay_alu instid0(VALU_DEP_3)
	v_add_co_ci_u32_e32 v12, vcc_lo, s7, v12, vcc_lo
	global_store_b32 v[11:12], v5, off
	v_lshlrev_b64 v[11:12], 2, v[1:2]
	v_fmaak_f32 v5, s4, v0, 0x4205b870
	v_add_nc_u32_e32 v1, s0, v1
	s_mov_b32 s4, 0x3fb70a3d
	s_delay_alu instid0(VALU_DEP_3) | instskip(NEXT) | instid1(VALU_DEP_4)
	v_add_co_u32 v11, vcc_lo, s6, v11
	v_add_co_ci_u32_e32 v12, vcc_lo, s7, v12, vcc_lo
	v_fmamk_f32 v5, v3, 0xc585aabc, v5
	global_store_b32 v[11:12], v9, off
	v_mul_f32_e32 v11, 0x3fb8aa3b, v5
	v_cmp_ngt_f32_e32 vcc_lo, 0xc2ce8ed0, v5
	s_delay_alu instid0(VALU_DEP_2) | instskip(SKIP_1) | instid1(VALU_DEP_2)
	v_fma_f32 v12, 0x3fb8aa3b, v5, -v11
	v_rndne_f32_e32 v13, v11
	v_fmac_f32_e32 v12, 0x32a5705f, v5
	s_delay_alu instid0(VALU_DEP_2) | instskip(NEXT) | instid1(VALU_DEP_1)
	v_sub_f32_e32 v11, v11, v13
	v_add_f32_e32 v11, v11, v12
	v_cvt_i32_f32_e32 v12, v13
	s_delay_alu instid0(VALU_DEP_2) | instskip(SKIP_2) | instid1(VALU_DEP_1)
	v_exp_f32_e32 v11, v11
	s_waitcnt_depctr 0xfff
	v_ldexp_f32 v11, v11, v12
	v_cndmask_b32_e32 v11, 0, v11, vcc_lo
	v_cmp_nlt_f32_e32 vcc_lo, 0x42b17218, v5
	s_delay_alu instid0(VALU_DEP_2) | instskip(SKIP_2) | instid1(VALU_DEP_2)
	v_cndmask_b32_e32 v5, 0x7f800000, v11, vcc_lo
	v_lshlrev_b64 v[11:12], 2, v[1:2]
	v_add_nc_u32_e32 v1, s1, v1
	v_add_co_u32 v11, vcc_lo, s6, v11
	s_delay_alu instid0(VALU_DEP_3) | instskip(SKIP_3) | instid1(VALU_DEP_1)
	v_add_co_ci_u32_e32 v12, vcc_lo, s7, v12, vcc_lo
	global_store_b32 v[11:12], v5, off
	v_fmaak_f32 v5, s4, v0, 0x41a907a4
	s_mov_b32 s4, 0xc429d5ec
	v_fmamk_f32 v5, v3, 0xc4a934e4, v5
	s_delay_alu instid0(VALU_DEP_1) | instskip(SKIP_1) | instid1(VALU_DEP_2)
	v_mul_f32_e32 v11, 0x3fb8aa3b, v5
	v_cmp_ngt_f32_e32 vcc_lo, 0xc2ce8ed0, v5
	v_fma_f32 v12, 0x3fb8aa3b, v5, -v11
	v_rndne_f32_e32 v13, v11
	s_delay_alu instid0(VALU_DEP_2) | instskip(NEXT) | instid1(VALU_DEP_2)
	v_fmac_f32_e32 v12, 0x32a5705f, v5
	v_sub_f32_e32 v11, v11, v13
	s_delay_alu instid0(VALU_DEP_1) | instskip(SKIP_1) | instid1(VALU_DEP_2)
	v_add_f32_e32 v11, v11, v12
	v_cvt_i32_f32_e32 v12, v13
	v_exp_f32_e32 v11, v11
	s_waitcnt_depctr 0xfff
	v_ldexp_f32 v11, v11, v12
	s_delay_alu instid0(VALU_DEP_1) | instskip(SKIP_1) | instid1(VALU_DEP_2)
	v_cndmask_b32_e32 v11, 0, v11, vcc_lo
	v_cmp_nlt_f32_e32 vcc_lo, 0x42b17218, v5
	v_cndmask_b32_e32 v5, 0x7f800000, v11, vcc_lo
	v_lshlrev_b64 v[11:12], 2, v[1:2]
	v_add_nc_u32_e32 v1, s1, v1
	s_delay_alu instid0(VALU_DEP_2) | instskip(NEXT) | instid1(VALU_DEP_3)
	v_add_co_u32 v11, vcc_lo, s6, v11
	v_add_co_ci_u32_e32 v12, vcc_lo, s7, v12, vcc_lo
	global_store_b32 v[11:12], v5, off
	v_fmaak_f32 v5, s4, v3, 0x41e1866d
	s_mov_b32 s4, 0x3e8a3d71
	s_delay_alu instid0(VALU_DEP_1) | instskip(SKIP_1) | instid1(VALU_DEP_2)
	v_mul_f32_e32 v11, 0x3fb8aa3b, v5
	v_cmp_ngt_f32_e32 vcc_lo, 0xc2ce8ed0, v5
	v_fma_f32 v12, 0x3fb8aa3b, v5, -v11
	v_rndne_f32_e32 v13, v11
	s_delay_alu instid0(VALU_DEP_2) | instskip(NEXT) | instid1(VALU_DEP_2)
	v_fmac_f32_e32 v12, 0x32a5705f, v5
	v_sub_f32_e32 v11, v11, v13
	s_delay_alu instid0(VALU_DEP_1) | instskip(SKIP_1) | instid1(VALU_DEP_2)
	v_add_f32_e32 v11, v11, v12
	v_cvt_i32_f32_e32 v12, v13
	v_exp_f32_e32 v11, v11
	s_waitcnt_depctr 0xfff
	v_ldexp_f32 v11, v11, v12
	s_delay_alu instid0(VALU_DEP_1) | instskip(SKIP_1) | instid1(VALU_DEP_2)
	v_cndmask_b32_e32 v11, 0, v11, vcc_lo
	v_cmp_nlt_f32_e32 vcc_lo, 0x42b17218, v5
	v_cndmask_b32_e32 v5, 0x7f800000, v11, vcc_lo
	v_lshlrev_b64 v[11:12], 2, v[1:2]
	v_add_nc_u32_e32 v1, s0, v1
	s_delay_alu instid0(VALU_DEP_2) | instskip(NEXT) | instid1(VALU_DEP_3)
	v_add_co_u32 v11, vcc_lo, s6, v11
	v_add_co_ci_u32_e32 v12, vcc_lo, s7, v12, vcc_lo
	global_store_b32 v[11:12], v5, off
	v_mul_f32_e32 v5, 0xc47b9bbc, v3
	s_delay_alu instid0(VALU_DEP_1) | instskip(SKIP_1) | instid1(VALU_DEP_2)
	v_mul_f32_e32 v11, 0x3fb8aa3b, v5
	v_cmp_ngt_f32_e32 vcc_lo, 0xc2ce8ed0, v5
	v_fma_f32 v12, 0x3fb8aa3b, v5, -v11
	v_rndne_f32_e32 v13, v11
	s_delay_alu instid0(VALU_DEP_2) | instskip(NEXT) | instid1(VALU_DEP_2)
	v_fmac_f32_e32 v12, 0x32a5705f, v5
	v_sub_f32_e32 v11, v11, v13
	s_delay_alu instid0(VALU_DEP_1) | instskip(SKIP_1) | instid1(VALU_DEP_2)
	v_add_f32_e32 v11, v11, v12
	v_cvt_i32_f32_e32 v12, v13
	v_exp_f32_e32 v11, v11
	s_waitcnt_depctr 0xfff
	v_ldexp_f32 v11, v11, v12
	s_delay_alu instid0(VALU_DEP_1) | instskip(SKIP_1) | instid1(VALU_DEP_2)
	v_cndmask_b32_e32 v11, 0, v11, vcc_lo
	v_cmp_nlt_f32_e32 vcc_lo, 0x42b17218, v5
	v_cndmask_b32_e32 v5, 0x7f800000, v11, vcc_lo
	v_lshlrev_b64 v[11:12], 2, v[1:2]
	s_delay_alu instid0(VALU_DEP_2) | instskip(SKIP_1) | instid1(VALU_DEP_3)
	v_mul_f32_e32 v13, 0x54da475b, v5
	v_mul_f32_e32 v14, 0x551184e7, v5
	v_add_co_u32 v11, vcc_lo, s6, v11
	s_delay_alu instid0(VALU_DEP_4) | instskip(SKIP_3) | instid1(VALU_DEP_1)
	v_add_co_ci_u32_e32 v12, vcc_lo, s7, v12, vcc_lo
	global_store_b32 v[11:12], v13, off
	v_mad_u64_u32 v[11:12], null, s0, 21, v[1:2]
	v_dual_mov_b32 v12, v2 :: v_dual_mul_f32 v1, 0x559184e7, v5
	v_lshlrev_b64 v[12:13], 2, v[11:12]
	s_delay_alu instid0(VALU_DEP_1) | instskip(NEXT) | instid1(VALU_DEP_2)
	v_add_co_u32 v12, vcc_lo, s6, v12
	v_add_co_ci_u32_e32 v13, vcc_lo, s7, v13, vcc_lo
	global_store_b32 v[12:13], v14, off
	v_mad_u64_u32 v[12:13], null, s0, 34, v[11:12]
	v_mov_b32_e32 v13, v2
	s_delay_alu instid0(VALU_DEP_1) | instskip(NEXT) | instid1(VALU_DEP_1)
	v_lshlrev_b64 v[13:14], 2, v[12:13]
	v_add_co_u32 v13, vcc_lo, s6, v13
	s_delay_alu instid0(VALU_DEP_2) | instskip(SKIP_3) | instid1(VALU_DEP_1)
	v_add_co_ci_u32_e32 v14, vcc_lo, s7, v14, vcc_lo
	global_store_b32 v[13:14], v1, off
	v_fmaak_f32 v1, s4, v0, 0x41eb7cfb
	s_mov_b32 s4, 0x3fce147b
	v_fmamk_f32 v1, v3, 0xc30ce692, v1
	s_delay_alu instid0(VALU_DEP_1) | instskip(SKIP_1) | instid1(VALU_DEP_2)
	v_mul_f32_e32 v5, 0x3fb8aa3b, v1
	v_cmp_ngt_f32_e32 vcc_lo, 0xc2ce8ed0, v1
	v_fma_f32 v11, 0x3fb8aa3b, v1, -v5
	v_rndne_f32_e32 v13, v5
	s_delay_alu instid0(VALU_DEP_2) | instskip(NEXT) | instid1(VALU_DEP_2)
	v_fmac_f32_e32 v11, 0x32a5705f, v1
	v_sub_f32_e32 v5, v5, v13
	s_delay_alu instid0(VALU_DEP_1) | instskip(SKIP_3) | instid1(VALU_DEP_4)
	v_add_f32_e32 v5, v5, v11
	v_cvt_i32_f32_e32 v11, v13
	v_mad_u64_u32 v[13:14], null, 0xffffffca, s0, v[12:13]
	v_mov_b32_e32 v14, v2
	v_exp_f32_e32 v5, v5
	s_waitcnt_depctr 0xfff
	v_ldexp_f32 v5, v5, v11
	v_lshlrev_b64 v[11:12], 2, v[13:14]
	s_delay_alu instid0(VALU_DEP_2) | instskip(SKIP_1) | instid1(VALU_DEP_2)
	v_cndmask_b32_e32 v5, 0, v5, vcc_lo
	v_cmp_nlt_f32_e32 vcc_lo, 0x42b17218, v1
	v_cndmask_b32_e32 v1, 0x7f800000, v5, vcc_lo
	s_delay_alu instid0(VALU_DEP_4) | instskip(SKIP_3) | instid1(VALU_DEP_1)
	v_add_co_u32 v11, vcc_lo, s6, v11
	v_add_co_ci_u32_e32 v12, vcc_lo, s7, v12, vcc_lo
	global_store_b32 v[11:12], v1, off
	v_add_nc_u32_e32 v1, s0, v13
	v_lshlrev_b64 v[11:12], 2, v[1:2]
	v_add_nc_u32_e32 v1, s0, v1
	s_delay_alu instid0(VALU_DEP_2) | instskip(NEXT) | instid1(VALU_DEP_3)
	v_add_co_u32 v11, vcc_lo, s6, v11
	v_add_co_ci_u32_e32 v12, vcc_lo, s7, v12, vcc_lo
	global_store_b32 v[11:12], v6, off
	v_lshlrev_b64 v[5:6], 2, v[1:2]
	v_add_nc_u32_e32 v1, s0, v1
	v_mov_b32_e32 v11, 0x562e9f7c
	s_delay_alu instid0(VALU_DEP_3) | instskip(NEXT) | instid1(VALU_DEP_4)
	v_add_co_u32 v5, vcc_lo, s6, v5
	v_add_co_ci_u32_e32 v6, vcc_lo, s7, v6, vcc_lo
	global_store_b32 v[5:6], v8, off
	v_lshlrev_b64 v[5:6], 2, v[1:2]
	v_add_nc_u32_e32 v1, s0, v1
	s_delay_alu instid0(VALU_DEP_2) | instskip(NEXT) | instid1(VALU_DEP_3)
	v_add_co_u32 v5, vcc_lo, s6, v5
	v_add_co_ci_u32_e32 v6, vcc_lo, s7, v6, vcc_lo
	global_store_b32 v[5:6], v11, off
	v_lshlrev_b64 v[5:6], 2, v[1:2]
	v_add_nc_u32_e32 v1, s0, v1
	s_delay_alu instid0(VALU_DEP_2) | instskip(NEXT) | instid1(VALU_DEP_3)
	v_add_co_u32 v5, vcc_lo, s6, v5
	v_add_co_ci_u32_e32 v6, vcc_lo, s7, v6, vcc_lo
	global_store_b32 v[5:6], v11, off
	v_lshlrev_b64 v[5:6], 2, v[1:2]
	v_mov_b32_e32 v11, 0x55db143f
	v_add_nc_u32_e32 v1, s0, v1
	s_delay_alu instid0(VALU_DEP_3) | instskip(NEXT) | instid1(VALU_DEP_4)
	v_add_co_u32 v5, vcc_lo, s6, v5
	v_add_co_ci_u32_e32 v6, vcc_lo, s7, v6, vcc_lo
	global_store_b32 v[5:6], v11, off
	v_fmaak_f32 v5, s4, v0, 0x4161bb1b
	s_mov_b32 s4, 0x3e947ae1
	s_delay_alu instid0(VALU_DEP_1) | instskip(NEXT) | instid1(VALU_DEP_1)
	v_fmamk_f32 v5, v3, 0x4340eeeb, v5
	v_mul_f32_e32 v6, 0x3fb8aa3b, v5
	v_cmp_ngt_f32_e32 vcc_lo, 0xc2ce8ed0, v5
	s_delay_alu instid0(VALU_DEP_2) | instskip(SKIP_1) | instid1(VALU_DEP_1)
	v_fma_f32 v11, 0x3fb8aa3b, v5, -v6
	v_rndne_f32_e32 v12, v6
	v_dual_fmac_f32 v11, 0x32a5705f, v5 :: v_dual_sub_f32 v6, v6, v12
	s_delay_alu instid0(VALU_DEP_1) | instskip(SKIP_1) | instid1(VALU_DEP_2)
	v_add_f32_e32 v6, v6, v11
	v_cvt_i32_f32_e32 v11, v12
	v_exp_f32_e32 v6, v6
	s_waitcnt_depctr 0xfff
	v_ldexp_f32 v6, v6, v11
	s_delay_alu instid0(VALU_DEP_1) | instskip(SKIP_1) | instid1(VALU_DEP_2)
	v_cndmask_b32_e32 v6, 0, v6, vcc_lo
	v_cmp_nlt_f32_e32 vcc_lo, 0x42b17218, v5
	v_cndmask_b32_e32 v11, 0x7f800000, v6, vcc_lo
	v_lshlrev_b64 v[5:6], 2, v[1:2]
	v_add_nc_u32_e32 v1, s0, v1
	s_delay_alu instid0(VALU_DEP_2) | instskip(NEXT) | instid1(VALU_DEP_3)
	v_add_co_u32 v5, vcc_lo, s6, v5
	v_add_co_ci_u32_e32 v6, vcc_lo, s7, v6, vcc_lo
	global_store_b32 v[5:6], v11, off
	v_fmaak_f32 v5, s4, v0, 0x41d36a98
	s_mov_b32 s4, 0xbfb1eb85
	s_delay_alu instid0(VALU_DEP_1) | instskip(NEXT) | instid1(VALU_DEP_1)
	v_fmamk_f32 v5, v3, 0xc0b121dc, v5
	v_mul_f32_e32 v6, 0x3fb8aa3b, v5
	v_cmp_ngt_f32_e32 vcc_lo, 0xc2ce8ed0, v5
	s_delay_alu instid0(VALU_DEP_2) | instskip(SKIP_1) | instid1(VALU_DEP_1)
	v_fma_f32 v11, 0x3fb8aa3b, v5, -v6
	v_rndne_f32_e32 v12, v6
	v_dual_fmac_f32 v11, 0x32a5705f, v5 :: v_dual_sub_f32 v6, v6, v12
	s_delay_alu instid0(VALU_DEP_1) | instskip(SKIP_1) | instid1(VALU_DEP_2)
	v_add_f32_e32 v6, v6, v11
	v_cvt_i32_f32_e32 v11, v12
	v_exp_f32_e32 v6, v6
	s_waitcnt_depctr 0xfff
	v_ldexp_f32 v6, v6, v11
	s_delay_alu instid0(VALU_DEP_1) | instskip(SKIP_1) | instid1(VALU_DEP_2)
	v_cndmask_b32_e32 v6, 0, v6, vcc_lo
	v_cmp_nlt_f32_e32 vcc_lo, 0x42b17218, v5
	v_cndmask_b32_e32 v11, 0x7f800000, v6, vcc_lo
	v_lshlrev_b64 v[5:6], 2, v[1:2]
	v_add_nc_u32_e32 v1, s0, v1
	s_delay_alu instid0(VALU_DEP_2) | instskip(NEXT) | instid1(VALU_DEP_3)
	;; [unrolled: 26-line block ×3, first 2 shown]
	v_add_co_u32 v5, vcc_lo, s6, v5
	v_add_co_ci_u32_e32 v6, vcc_lo, s7, v6, vcc_lo
	global_store_b32 v[5:6], v11, off
	v_lshlrev_b64 v[5:6], 2, v[1:2]
	v_add_nc_u32_e32 v1, s0, v1
	s_delay_alu instid0(VALU_DEP_2) | instskip(NEXT) | instid1(VALU_DEP_3)
	v_add_co_u32 v5, vcc_lo, s6, v5
	v_add_co_ci_u32_e32 v6, vcc_lo, s7, v6, vcc_lo
	global_store_b32 v[5:6], v9, off
	v_fmaak_f32 v5, s4, v3, 0x41b9bb55
	s_mov_b32 s4, 0xc0351eb8
	s_delay_alu instid0(VALU_DEP_1) | instskip(SKIP_1) | instid1(VALU_DEP_2)
	v_mul_f32_e32 v6, 0x3fb8aa3b, v5
	v_cmp_ngt_f32_e32 vcc_lo, 0xc2ce8ed0, v5
	v_fma_f32 v9, 0x3fb8aa3b, v5, -v6
	v_rndne_f32_e32 v11, v6
	s_delay_alu instid0(VALU_DEP_1) | instskip(NEXT) | instid1(VALU_DEP_1)
	v_dual_fmac_f32 v9, 0x32a5705f, v5 :: v_dual_sub_f32 v6, v6, v11
	v_add_f32_e32 v6, v6, v9
	v_cvt_i32_f32_e32 v9, v11
	s_delay_alu instid0(VALU_DEP_2) | instskip(SKIP_2) | instid1(VALU_DEP_1)
	v_exp_f32_e32 v6, v6
	s_waitcnt_depctr 0xfff
	v_ldexp_f32 v6, v6, v9
	v_cndmask_b32_e32 v6, 0, v6, vcc_lo
	v_cmp_nlt_f32_e32 vcc_lo, 0x42b17218, v5
	s_delay_alu instid0(VALU_DEP_2) | instskip(SKIP_2) | instid1(VALU_DEP_2)
	v_cndmask_b32_e32 v9, 0x7f800000, v6, vcc_lo
	v_lshlrev_b64 v[5:6], 2, v[1:2]
	v_add_nc_u32_e32 v1, s0, v1
	v_add_co_u32 v5, vcc_lo, s6, v5
	s_delay_alu instid0(VALU_DEP_3) | instskip(SKIP_4) | instid1(VALU_DEP_3)
	v_add_co_ci_u32_e32 v6, vcc_lo, s7, v6, vcc_lo
	global_store_b32 v[5:6], v9, off
	v_lshlrev_b64 v[5:6], 2, v[1:2]
	v_mov_b32_e32 v9, 0x56a44f2f
	v_add_nc_u32_e32 v1, s0, v1
	v_add_co_u32 v5, vcc_lo, s6, v5
	s_delay_alu instid0(VALU_DEP_4) | instskip(SKIP_4) | instid1(VALU_DEP_3)
	v_add_co_ci_u32_e32 v6, vcc_lo, s7, v6, vcc_lo
	global_store_b32 v[5:6], v9, off
	v_lshlrev_b64 v[5:6], 2, v[1:2]
	v_mov_b32_e32 v9, 0x52b68a0b
	v_add_nc_u32_e32 v1, s0, v1
	v_add_co_u32 v5, vcc_lo, s6, v5
	s_delay_alu instid0(VALU_DEP_4) | instskip(SKIP_4) | instid1(VALU_DEP_3)
	v_add_co_ci_u32_e32 v6, vcc_lo, s7, v6, vcc_lo
	global_store_b32 v[5:6], v9, off
	v_lshlrev_b64 v[5:6], 2, v[1:2]
	v_mov_b32_e32 v9, 0x55b5e621
	v_add_nc_u32_e32 v1, s0, v1
	v_add_co_u32 v5, vcc_lo, s6, v5
	s_delay_alu instid0(VALU_DEP_4) | instskip(SKIP_3) | instid1(VALU_DEP_1)
	v_add_co_ci_u32_e32 v6, vcc_lo, s7, v6, vcc_lo
	global_store_b32 v[5:6], v9, off
	v_fmaak_f32 v5, s4, v0, 0x425eab87
	s_mov_b32 s4, 0xc1125a1d
	v_fmamk_f32 v5, v3, 0xc612638d, v5
	s_delay_alu instid0(VALU_DEP_1) | instskip(SKIP_1) | instid1(VALU_DEP_2)
	v_mul_f32_e32 v6, 0x3fb8aa3b, v5
	v_cmp_ngt_f32_e32 vcc_lo, 0xc2ce8ed0, v5
	v_fma_f32 v9, 0x3fb8aa3b, v5, -v6
	v_rndne_f32_e32 v11, v6
	s_delay_alu instid0(VALU_DEP_1) | instskip(NEXT) | instid1(VALU_DEP_1)
	v_dual_fmac_f32 v9, 0x32a5705f, v5 :: v_dual_sub_f32 v6, v6, v11
	v_add_f32_e32 v6, v6, v9
	v_cvt_i32_f32_e32 v9, v11
	s_delay_alu instid0(VALU_DEP_2) | instskip(SKIP_2) | instid1(VALU_DEP_1)
	v_exp_f32_e32 v6, v6
	s_waitcnt_depctr 0xfff
	v_ldexp_f32 v6, v6, v9
	v_cndmask_b32_e32 v6, 0, v6, vcc_lo
	v_cmp_nlt_f32_e32 vcc_lo, 0x42b17218, v5
	s_delay_alu instid0(VALU_DEP_2) | instskip(SKIP_2) | instid1(VALU_DEP_2)
	v_cndmask_b32_e32 v9, 0x7f800000, v6, vcc_lo
	v_lshlrev_b64 v[5:6], 2, v[1:2]
	v_add_nc_u32_e32 v1, s0, v1
	v_add_co_u32 v5, vcc_lo, s6, v5
	s_delay_alu instid0(VALU_DEP_3) | instskip(SKIP_3) | instid1(VALU_DEP_1)
	v_add_co_ci_u32_e32 v6, vcc_lo, s7, v6, vcc_lo
	global_store_b32 v[5:6], v9, off
	v_fmaak_f32 v5, s4, v0, 0x42c0eb94
	s_mov_b32 s4, 0x3ee147ae
	v_fmamk_f32 v5, v3, 0xc6b861b9, v5
	s_delay_alu instid0(VALU_DEP_1) | instskip(SKIP_1) | instid1(VALU_DEP_2)
	v_mul_f32_e32 v6, 0x3fb8aa3b, v5
	v_cmp_ngt_f32_e32 vcc_lo, 0xc2ce8ed0, v5
	v_fma_f32 v9, 0x3fb8aa3b, v5, -v6
	v_rndne_f32_e32 v11, v6
	s_delay_alu instid0(VALU_DEP_1) | instskip(NEXT) | instid1(VALU_DEP_1)
	v_dual_fmac_f32 v9, 0x32a5705f, v5 :: v_dual_sub_f32 v6, v6, v11
	v_add_f32_e32 v6, v6, v9
	v_cvt_i32_f32_e32 v9, v11
	s_delay_alu instid0(VALU_DEP_2) | instskip(SKIP_2) | instid1(VALU_DEP_1)
	v_exp_f32_e32 v6, v6
	s_waitcnt_depctr 0xfff
	v_ldexp_f32 v6, v6, v9
	v_cndmask_b32_e32 v6, 0, v6, vcc_lo
	v_cmp_nlt_f32_e32 vcc_lo, 0x42b17218, v5
	s_delay_alu instid0(VALU_DEP_2) | instskip(SKIP_2) | instid1(VALU_DEP_2)
	v_cndmask_b32_e32 v9, 0x7f800000, v6, vcc_lo
	v_lshlrev_b64 v[5:6], 2, v[1:2]
	v_add_nc_u32_e32 v1, s0, v1
	v_add_co_u32 v5, vcc_lo, s6, v5
	s_delay_alu instid0(VALU_DEP_3) | instskip(SKIP_4) | instid1(VALU_DEP_3)
	v_add_co_ci_u32_e32 v6, vcc_lo, s7, v6, vcc_lo
	global_store_b32 v[5:6], v9, off
	v_lshlrev_b64 v[5:6], 2, v[1:2]
	v_add_nc_u32_e32 v1, s0, v1
	v_mov_b32_e32 v9, 0x56a3b584
	v_add_co_u32 v5, vcc_lo, s6, v5
	s_delay_alu instid0(VALU_DEP_4) | instskip(SKIP_3) | instid1(VALU_DEP_2)
	v_add_co_ci_u32_e32 v6, vcc_lo, s7, v6, vcc_lo
	global_store_b32 v[5:6], v10, off
	v_lshlrev_b64 v[5:6], 2, v[1:2]
	v_add_nc_u32_e32 v1, s0, v1
	v_add_co_u32 v5, vcc_lo, s6, v5
	s_delay_alu instid0(VALU_DEP_3) | instskip(SKIP_2) | instid1(VALU_DEP_1)
	v_add_co_ci_u32_e32 v6, vcc_lo, s7, v6, vcc_lo
	global_store_b32 v[5:6], v9, off
	v_mul_f32_e32 v5, 0xc4fb9bbc, v3
	v_mul_f32_e32 v6, 0x3fb8aa3b, v5
	v_cmp_ngt_f32_e32 vcc_lo, 0xc2ce8ed0, v5
	s_delay_alu instid0(VALU_DEP_2) | instskip(SKIP_1) | instid1(VALU_DEP_1)
	v_fma_f32 v9, 0x3fb8aa3b, v5, -v6
	v_rndne_f32_e32 v10, v6
	v_dual_fmac_f32 v9, 0x32a5705f, v5 :: v_dual_sub_f32 v6, v6, v10
	s_delay_alu instid0(VALU_DEP_1) | instskip(SKIP_1) | instid1(VALU_DEP_2)
	v_add_f32_e32 v6, v6, v9
	v_cvt_i32_f32_e32 v9, v10
	v_exp_f32_e32 v6, v6
	s_waitcnt_depctr 0xfff
	v_ldexp_f32 v6, v6, v9
	s_delay_alu instid0(VALU_DEP_1) | instskip(SKIP_1) | instid1(VALU_DEP_2)
	v_cndmask_b32_e32 v6, 0, v6, vcc_lo
	v_cmp_nlt_f32_e32 vcc_lo, 0x42b17218, v5
	v_cndmask_b32_e32 v5, 0x7f800000, v6, vcc_lo
	s_delay_alu instid0(VALU_DEP_1) | instskip(SKIP_2) | instid1(VALU_DEP_2)
	v_mul_f32_e32 v9, 0x559184e7, v5
	v_lshlrev_b64 v[5:6], 2, v[1:2]
	v_add_nc_u32_e32 v1, s0, v1
	v_add_co_u32 v5, vcc_lo, s6, v5
	s_delay_alu instid0(VALU_DEP_3) | instskip(SKIP_3) | instid1(VALU_DEP_2)
	v_add_co_ci_u32_e32 v6, vcc_lo, s7, v6, vcc_lo
	global_store_b32 v[5:6], v9, off
	v_lshlrev_b64 v[5:6], 2, v[1:2]
	v_add_nc_u32_e32 v1, s1, v1
	v_add_co_u32 v5, vcc_lo, s6, v5
	s_delay_alu instid0(VALU_DEP_3) | instskip(SKIP_4) | instid1(VALU_DEP_3)
	v_add_co_ci_u32_e32 v6, vcc_lo, s7, v6, vcc_lo
	global_store_b32 v[5:6], v9, off
	v_lshlrev_b64 v[5:6], 2, v[1:2]
	v_mov_b32_e32 v9, 0x5202629a
	v_add_nc_u32_e32 v1, s0, v1
	v_add_co_u32 v5, vcc_lo, s6, v5
	s_delay_alu instid0(VALU_DEP_4) | instskip(SKIP_4) | instid1(VALU_DEP_3)
	v_add_co_ci_u32_e32 v6, vcc_lo, s7, v6, vcc_lo
	global_store_b32 v[5:6], v9, off
	v_lshlrev_b64 v[5:6], 2, v[1:2]
	v_mov_b32_e32 v9, 0x50861c46
	v_add_nc_u32_e32 v1, s0, v1
	v_add_co_u32 v5, vcc_lo, s6, v5
	s_delay_alu instid0(VALU_DEP_4) | instskip(SKIP_2) | instid1(VALU_DEP_1)
	v_add_co_ci_u32_e32 v6, vcc_lo, s7, v6, vcc_lo
	global_store_b32 v[5:6], v9, off
	v_fmaak_f32 v5, s4, v0, 0x41edaf07
	v_fmamk_f32 v5, v3, 0xc72e7e8b, v5
	s_delay_alu instid0(VALU_DEP_1) | instskip(SKIP_1) | instid1(VALU_DEP_2)
	v_mul_f32_e32 v6, 0x3fb8aa3b, v5
	v_cmp_ngt_f32_e32 vcc_lo, 0xc2ce8ed0, v5
	v_fma_f32 v9, 0x3fb8aa3b, v5, -v6
	v_rndne_f32_e32 v10, v6
	s_delay_alu instid0(VALU_DEP_1) | instskip(NEXT) | instid1(VALU_DEP_1)
	v_dual_fmac_f32 v9, 0x32a5705f, v5 :: v_dual_sub_f32 v6, v6, v10
	v_add_f32_e32 v6, v6, v9
	v_cvt_i32_f32_e32 v9, v10
	s_delay_alu instid0(VALU_DEP_2) | instskip(SKIP_2) | instid1(VALU_DEP_1)
	v_exp_f32_e32 v6, v6
	s_waitcnt_depctr 0xfff
	v_ldexp_f32 v6, v6, v9
	v_cndmask_b32_e32 v6, 0, v6, vcc_lo
	v_cmp_nlt_f32_e32 vcc_lo, 0x42b17218, v5
	s_delay_alu instid0(VALU_DEP_2) | instskip(SKIP_2) | instid1(VALU_DEP_2)
	v_cndmask_b32_e32 v9, 0x7f800000, v6, vcc_lo
	v_lshlrev_b64 v[5:6], 2, v[1:2]
	v_add_nc_u32_e32 v1, s0, v1
	v_add_co_u32 v5, vcc_lo, s6, v5
	s_delay_alu instid0(VALU_DEP_3) | instskip(SKIP_3) | instid1(VALU_DEP_1)
	v_add_co_ci_u32_e32 v6, vcc_lo, s7, v6, vcc_lo
	global_store_b32 v[5:6], v9, off
	v_fmaak_f32 v5, s2, v0, 0x41dda9f3
	s_mov_b32 s2, 0x3ff70a3d
	v_fmamk_f32 v5, v3, 0xc464f6ad, v5
	s_delay_alu instid0(VALU_DEP_1) | instskip(SKIP_1) | instid1(VALU_DEP_2)
	v_mul_f32_e32 v6, 0x3fb8aa3b, v5
	v_cmp_ngt_f32_e32 vcc_lo, 0xc2ce8ed0, v5
	v_fma_f32 v9, 0x3fb8aa3b, v5, -v6
	v_rndne_f32_e32 v10, v6
	s_delay_alu instid0(VALU_DEP_1) | instskip(NEXT) | instid1(VALU_DEP_1)
	v_dual_fmac_f32 v9, 0x32a5705f, v5 :: v_dual_sub_f32 v6, v6, v10
	v_add_f32_e32 v6, v6, v9
	v_cvt_i32_f32_e32 v9, v10
	s_delay_alu instid0(VALU_DEP_2) | instskip(SKIP_2) | instid1(VALU_DEP_1)
	v_exp_f32_e32 v6, v6
	s_waitcnt_depctr 0xfff
	v_ldexp_f32 v6, v6, v9
	v_cndmask_b32_e32 v6, 0, v6, vcc_lo
	v_cmp_nlt_f32_e32 vcc_lo, 0x42b17218, v5
	s_delay_alu instid0(VALU_DEP_2) | instskip(SKIP_2) | instid1(VALU_DEP_2)
	v_cndmask_b32_e32 v9, 0x7f800000, v6, vcc_lo
	v_lshlrev_b64 v[5:6], 2, v[1:2]
	v_add_nc_u32_e32 v1, s0, v1
	v_add_co_u32 v5, vcc_lo, s6, v5
	s_delay_alu instid0(VALU_DEP_3) | instskip(SKIP_3) | instid1(VALU_DEP_1)
	v_add_co_ci_u32_e32 v6, vcc_lo, s7, v6, vcc_lo
	global_store_b32 v[5:6], v9, off
	v_fmaak_f32 v5, s2, v0, 0x418dee76
	s_mov_b32 s2, 0x3ff47ae1
	;; [unrolled: 26-line block ×3, first 2 shown]
	v_fmamk_f32 v5, v3, 0xc4eb40f9, v5
	s_delay_alu instid0(VALU_DEP_1) | instskip(SKIP_1) | instid1(VALU_DEP_2)
	v_mul_f32_e32 v6, 0x3fb8aa3b, v5
	v_cmp_ngt_f32_e32 vcc_lo, 0xc2ce8ed0, v5
	v_fma_f32 v9, 0x3fb8aa3b, v5, -v6
	v_rndne_f32_e32 v10, v6
	s_delay_alu instid0(VALU_DEP_1) | instskip(NEXT) | instid1(VALU_DEP_1)
	v_dual_fmac_f32 v9, 0x32a5705f, v5 :: v_dual_sub_f32 v6, v6, v10
	v_add_f32_e32 v6, v6, v9
	v_cvt_i32_f32_e32 v9, v10
	v_fmac_f32_e32 v7, 0xc57b9bbc, v3
	s_delay_alu instid0(VALU_DEP_3) | instskip(SKIP_2) | instid1(VALU_DEP_1)
	v_exp_f32_e32 v6, v6
	s_waitcnt_depctr 0xfff
	v_ldexp_f32 v6, v6, v9
	v_cndmask_b32_e32 v6, 0, v6, vcc_lo
	v_cmp_nlt_f32_e32 vcc_lo, 0x42b17218, v5
	s_delay_alu instid0(VALU_DEP_2) | instskip(SKIP_2) | instid1(VALU_DEP_2)
	v_cndmask_b32_e32 v9, 0x7f800000, v6, vcc_lo
	v_lshlrev_b64 v[5:6], 2, v[1:2]
	v_add_nc_u32_e32 v1, s0, v1
	v_add_co_u32 v5, vcc_lo, s6, v5
	s_delay_alu instid0(VALU_DEP_3) | instskip(SKIP_2) | instid1(VALU_DEP_1)
	v_add_co_ci_u32_e32 v6, vcc_lo, s7, v6, vcc_lo
	global_store_b32 v[5:6], v9, off
	v_mul_f32_e32 v5, 0xc2dd6a53, v3
	v_fmamk_f32 v5, v0, 0x3fea3d71, v5
	s_delay_alu instid0(VALU_DEP_1) | instskip(SKIP_1) | instid1(VALU_DEP_2)
	v_mul_f32_e32 v6, 0x3fb8aa3b, v5
	v_cmp_ngt_f32_e32 vcc_lo, 0xc2ce8ed0, v5
	v_fma_f32 v9, 0x3fb8aa3b, v5, -v6
	v_rndne_f32_e32 v10, v6
	s_delay_alu instid0(VALU_DEP_1) | instskip(NEXT) | instid1(VALU_DEP_1)
	v_dual_fmac_f32 v9, 0x32a5705f, v5 :: v_dual_sub_f32 v6, v6, v10
	v_add_f32_e32 v6, v6, v9
	v_cvt_i32_f32_e32 v9, v10
	s_delay_alu instid0(VALU_DEP_2) | instskip(SKIP_2) | instid1(VALU_DEP_1)
	v_exp_f32_e32 v6, v6
	s_waitcnt_depctr 0xfff
	v_ldexp_f32 v6, v6, v9
	v_cndmask_b32_e32 v6, 0, v6, vcc_lo
	v_cmp_nlt_f32_e32 vcc_lo, 0x42b17218, v5
	s_delay_alu instid0(VALU_DEP_2) | instskip(SKIP_2) | instid1(VALU_DEP_3)
	v_cndmask_b32_e32 v9, 0x7f800000, v6, vcc_lo
	v_lshlrev_b64 v[5:6], 2, v[1:2]
	v_add_nc_u32_e32 v1, s0, v1
	v_mul_f32_e32 v10, 0x4b927c00, v9
	v_mul_f32_e32 v9, 0x48bb8000, v9
	s_delay_alu instid0(VALU_DEP_4) | instskip(SKIP_4) | instid1(VALU_DEP_2)
	v_add_co_u32 v5, vcc_lo, s6, v5
	v_add_co_ci_u32_e32 v6, vcc_lo, s7, v6, vcc_lo
	global_store_b32 v[5:6], v10, off
	v_lshlrev_b64 v[5:6], 2, v[1:2]
	v_add_nc_u32_e32 v1, s0, v1
	v_add_co_u32 v5, vcc_lo, s6, v5
	s_delay_alu instid0(VALU_DEP_3) | instskip(SKIP_2) | instid1(VALU_DEP_1)
	v_add_co_ci_u32_e32 v6, vcc_lo, s7, v6, vcc_lo
	global_store_b32 v[5:6], v9, off
	v_fmaak_f32 v5, 2.0, v0, 0x41718b09
	v_fmamk_f32 v5, v3, 0xc49d4155, v5
	s_delay_alu instid0(VALU_DEP_1) | instskip(SKIP_1) | instid1(VALU_DEP_2)
	v_mul_f32_e32 v6, 0x3fb8aa3b, v5
	v_cmp_ngt_f32_e32 vcc_lo, 0xc2ce8ed0, v5
	v_fma_f32 v9, 0x3fb8aa3b, v5, -v6
	v_rndne_f32_e32 v10, v6
	s_delay_alu instid0(VALU_DEP_1) | instskip(NEXT) | instid1(VALU_DEP_1)
	v_dual_fmac_f32 v9, 0x32a5705f, v5 :: v_dual_sub_f32 v6, v6, v10
	v_add_f32_e32 v6, v6, v9
	v_cvt_i32_f32_e32 v9, v10
	s_delay_alu instid0(VALU_DEP_2) | instskip(SKIP_2) | instid1(VALU_DEP_1)
	v_exp_f32_e32 v6, v6
	s_waitcnt_depctr 0xfff
	v_ldexp_f32 v6, v6, v9
	v_cndmask_b32_e32 v6, 0, v6, vcc_lo
	v_cmp_nlt_f32_e32 vcc_lo, 0x42b17218, v5
	s_delay_alu instid0(VALU_DEP_2) | instskip(SKIP_2) | instid1(VALU_DEP_2)
	v_cndmask_b32_e32 v9, 0x7f800000, v6, vcc_lo
	v_lshlrev_b64 v[5:6], 2, v[1:2]
	v_add_nc_u32_e32 v1, s0, v1
	v_add_co_u32 v5, vcc_lo, s6, v5
	s_delay_alu instid0(VALU_DEP_3) | instskip(SKIP_3) | instid1(VALU_DEP_1)
	v_add_co_ci_u32_e32 v6, vcc_lo, s7, v6, vcc_lo
	global_store_b32 v[5:6], v9, off
	v_fmaak_f32 v5, s2, v3, 0x41fafccf
	s_mov_b32 s2, 0xc5dc2844
	v_mul_f32_e32 v6, 0x3fb8aa3b, v5
	v_cmp_ngt_f32_e32 vcc_lo, 0xc2ce8ed0, v5
	s_delay_alu instid0(VALU_DEP_2) | instskip(SKIP_1) | instid1(VALU_DEP_1)
	v_fma_f32 v9, 0x3fb8aa3b, v5, -v6
	v_rndne_f32_e32 v10, v6
	v_dual_fmac_f32 v9, 0x32a5705f, v5 :: v_dual_sub_f32 v6, v6, v10
	s_delay_alu instid0(VALU_DEP_1) | instskip(SKIP_1) | instid1(VALU_DEP_2)
	v_add_f32_e32 v6, v6, v9
	v_cvt_i32_f32_e32 v9, v10
	v_exp_f32_e32 v6, v6
	s_waitcnt_depctr 0xfff
	v_ldexp_f32 v6, v6, v9
	s_delay_alu instid0(VALU_DEP_1) | instskip(SKIP_1) | instid1(VALU_DEP_2)
	v_cndmask_b32_e32 v6, 0, v6, vcc_lo
	v_cmp_nlt_f32_e32 vcc_lo, 0x42b17218, v5
	v_cndmask_b32_e32 v9, 0x7f800000, v6, vcc_lo
	v_lshlrev_b64 v[5:6], 2, v[1:2]
	v_add_nc_u32_e32 v1, s0, v1
	s_delay_alu instid0(VALU_DEP_2) | instskip(NEXT) | instid1(VALU_DEP_3)
	v_add_co_u32 v5, vcc_lo, s6, v5
	v_add_co_ci_u32_e32 v6, vcc_lo, s7, v6, vcc_lo
	global_store_b32 v[5:6], v9, off
	v_fmaak_f32 v5, s2, v3, 0x41e297e6
	s_mov_b32 s2, 0xc5722c4b
	s_delay_alu instid0(VALU_DEP_1) | instskip(SKIP_1) | instid1(VALU_DEP_2)
	v_mul_f32_e32 v6, 0x3fb8aa3b, v5
	v_cmp_ngt_f32_e32 vcc_lo, 0xc2ce8ed0, v5
	v_fma_f32 v9, 0x3fb8aa3b, v5, -v6
	v_rndne_f32_e32 v10, v6
	s_delay_alu instid0(VALU_DEP_1) | instskip(NEXT) | instid1(VALU_DEP_1)
	v_dual_fmac_f32 v9, 0x32a5705f, v5 :: v_dual_sub_f32 v6, v6, v10
	v_add_f32_e32 v6, v6, v9
	v_cvt_i32_f32_e32 v9, v10
	s_delay_alu instid0(VALU_DEP_2) | instskip(SKIP_2) | instid1(VALU_DEP_1)
	v_exp_f32_e32 v6, v6
	s_waitcnt_depctr 0xfff
	v_ldexp_f32 v6, v6, v9
	v_cndmask_b32_e32 v6, 0, v6, vcc_lo
	v_cmp_nlt_f32_e32 vcc_lo, 0x42b17218, v5
	s_delay_alu instid0(VALU_DEP_2) | instskip(SKIP_2) | instid1(VALU_DEP_2)
	v_cndmask_b32_e32 v9, 0x7f800000, v6, vcc_lo
	v_lshlrev_b64 v[5:6], 2, v[1:2]
	v_add_nc_u32_e32 v1, s0, v1
	v_add_co_u32 v5, vcc_lo, s6, v5
	s_delay_alu instid0(VALU_DEP_3) | instskip(SKIP_3) | instid1(VALU_DEP_1)
	v_add_co_ci_u32_e32 v6, vcc_lo, s7, v6, vcc_lo
	v_cmp_ngt_f32_e32 vcc_lo, 0xc2ce8ed0, v7
	global_store_b32 v[5:6], v9, off
	v_mul_f32_e32 v5, 0x3fb8aa3b, v7
	v_fma_f32 v6, 0x3fb8aa3b, v7, -v5
	v_rndne_f32_e32 v9, v5
	s_delay_alu instid0(VALU_DEP_1) | instskip(NEXT) | instid1(VALU_DEP_1)
	v_dual_fmac_f32 v6, 0x32a5705f, v7 :: v_dual_sub_f32 v5, v5, v9
	v_add_f32_e32 v5, v5, v6
	v_cvt_i32_f32_e32 v6, v9
	s_delay_alu instid0(VALU_DEP_2) | instskip(SKIP_2) | instid1(VALU_DEP_1)
	v_exp_f32_e32 v5, v5
	s_waitcnt_depctr 0xfff
	v_ldexp_f32 v5, v5, v6
	v_cndmask_b32_e32 v5, 0, v5, vcc_lo
	v_cmp_nlt_f32_e32 vcc_lo, 0x42b17218, v7
	s_delay_alu instid0(VALU_DEP_2) | instskip(SKIP_2) | instid1(VALU_DEP_2)
	v_cndmask_b32_e32 v7, 0x7f800000, v5, vcc_lo
	v_lshlrev_b64 v[5:6], 2, v[1:2]
	v_add_nc_u32_e32 v1, s0, v1
	v_add_co_u32 v5, vcc_lo, s6, v5
	s_delay_alu instid0(VALU_DEP_3) | instskip(SKIP_2) | instid1(VALU_DEP_1)
	v_add_co_ci_u32_e32 v6, vcc_lo, s7, v6, vcc_lo
	global_store_b32 v[5:6], v7, off
	v_fmaak_f32 v5, s3, v3, 0x41f50397
	v_mul_f32_e32 v6, 0x3fb8aa3b, v5
	v_cmp_ngt_f32_e32 vcc_lo, 0xc2ce8ed0, v5
	s_delay_alu instid0(VALU_DEP_2) | instskip(SKIP_1) | instid1(VALU_DEP_2)
	v_fma_f32 v7, 0x3fb8aa3b, v5, -v6
	v_rndne_f32_e32 v9, v6
	v_fmac_f32_e32 v7, 0x32a5705f, v5
	s_delay_alu instid0(VALU_DEP_2) | instskip(NEXT) | instid1(VALU_DEP_1)
	v_sub_f32_e32 v6, v6, v9
	v_add_f32_e32 v6, v6, v7
	v_cvt_i32_f32_e32 v7, v9
	s_delay_alu instid0(VALU_DEP_2) | instskip(SKIP_2) | instid1(VALU_DEP_1)
	v_exp_f32_e32 v6, v6
	s_waitcnt_depctr 0xfff
	v_ldexp_f32 v6, v6, v7
	v_cndmask_b32_e32 v6, 0, v6, vcc_lo
	v_cmp_nlt_f32_e32 vcc_lo, 0x42b17218, v5
	s_delay_alu instid0(VALU_DEP_2) | instskip(SKIP_2) | instid1(VALU_DEP_2)
	v_cndmask_b32_e32 v7, 0x7f800000, v6, vcc_lo
	v_lshlrev_b64 v[5:6], 2, v[1:2]
	v_add_nc_u32_e32 v1, s0, v1
	v_add_co_u32 v5, vcc_lo, s6, v5
	s_delay_alu instid0(VALU_DEP_3) | instskip(SKIP_3) | instid1(VALU_DEP_2)
	v_add_co_ci_u32_e32 v6, vcc_lo, s7, v6, vcc_lo
	global_store_b32 v[5:6], v7, off
	v_lshlrev_b64 v[5:6], 2, v[1:2]
	v_add_nc_u32_e32 v1, s0, v1
	v_add_co_u32 v5, vcc_lo, s6, v5
	s_delay_alu instid0(VALU_DEP_3) | instskip(SKIP_3) | instid1(VALU_DEP_2)
	v_add_co_ci_u32_e32 v6, vcc_lo, s7, v6, vcc_lo
	global_store_b32 v[5:6], v4, off
	v_lshlrev_b64 v[5:6], 2, v[1:2]
	v_add_nc_u32_e32 v1, s0, v1
	v_add_co_u32 v5, vcc_lo, s6, v5
	s_delay_alu instid0(VALU_DEP_3) | instskip(SKIP_2) | instid1(VALU_DEP_1)
	v_add_co_ci_u32_e32 v6, vcc_lo, s7, v6, vcc_lo
	global_store_b32 v[5:6], v4, off
	v_fmaak_f32 v4, 2.0, v0, 0x414552c3
	v_fmamk_f32 v4, v3, 0xc590acbf, v4
	s_delay_alu instid0(VALU_DEP_1) | instskip(SKIP_1) | instid1(VALU_DEP_2)
	v_mul_f32_e32 v5, 0x3fb8aa3b, v4
	v_cmp_ngt_f32_e32 vcc_lo, 0xc2ce8ed0, v4
	v_fma_f32 v6, 0x3fb8aa3b, v4, -v5
	v_rndne_f32_e32 v7, v5
	s_delay_alu instid0(VALU_DEP_1) | instskip(NEXT) | instid1(VALU_DEP_1)
	v_dual_fmac_f32 v6, 0x32a5705f, v4 :: v_dual_sub_f32 v5, v5, v7
	v_add_f32_e32 v5, v5, v6
	v_cvt_i32_f32_e32 v6, v7
	s_delay_alu instid0(VALU_DEP_2) | instskip(SKIP_2) | instid1(VALU_DEP_1)
	v_exp_f32_e32 v5, v5
	s_waitcnt_depctr 0xfff
	v_ldexp_f32 v5, v5, v6
	v_cndmask_b32_e32 v5, 0, v5, vcc_lo
	v_cmp_nlt_f32_e32 vcc_lo, 0x42b17218, v4
	s_delay_alu instid0(VALU_DEP_2) | instskip(SKIP_2) | instid1(VALU_DEP_2)
	v_cndmask_b32_e32 v6, 0x7f800000, v5, vcc_lo
	v_lshlrev_b64 v[4:5], 2, v[1:2]
	v_add_nc_u32_e32 v1, s0, v1
	v_add_co_u32 v4, vcc_lo, s6, v4
	s_delay_alu instid0(VALU_DEP_3) | instskip(SKIP_3) | instid1(VALU_DEP_1)
	v_add_co_ci_u32_e32 v5, vcc_lo, s7, v5, vcc_lo
	global_store_b32 v[4:5], v6, off
	v_fmaak_f32 v4, s2, v3, 0x41d42dca
	s_mov_b32 s2, 0xbf7d70a4
	v_mul_f32_e32 v5, 0x3fb8aa3b, v4
	s_delay_alu instid0(VALU_DEP_1) | instskip(SKIP_1) | instid1(VALU_DEP_1)
	v_fma_f32 v6, 0x3fb8aa3b, v4, -v5
	v_rndne_f32_e32 v7, v5
	v_dual_fmac_f32 v6, 0x32a5705f, v4 :: v_dual_sub_f32 v5, v5, v7
	s_delay_alu instid0(VALU_DEP_1) | instskip(SKIP_2) | instid1(VALU_DEP_3)
	v_add_f32_e32 v5, v5, v6
	v_cvt_i32_f32_e32 v6, v7
	v_cmp_ngt_f32_e32 vcc_lo, 0xc2ce8ed0, v4
	v_exp_f32_e32 v5, v5
	s_waitcnt_depctr 0xfff
	v_ldexp_f32 v5, v5, v6
	s_delay_alu instid0(VALU_DEP_1) | instskip(SKIP_1) | instid1(VALU_DEP_2)
	v_cndmask_b32_e32 v5, 0, v5, vcc_lo
	v_cmp_nlt_f32_e32 vcc_lo, 0x42b17218, v4
	v_cndmask_b32_e32 v6, 0x7f800000, v5, vcc_lo
	v_lshlrev_b64 v[4:5], 2, v[1:2]
	v_add_nc_u32_e32 v1, s0, v1
	s_delay_alu instid0(VALU_DEP_2) | instskip(NEXT) | instid1(VALU_DEP_3)
	v_add_co_u32 v4, vcc_lo, s6, v4
	v_add_co_ci_u32_e32 v5, vcc_lo, s7, v5, vcc_lo
	global_store_b32 v[4:5], v6, off
	v_fmaak_f32 v4, s2, v0, 0x42232d98
	s_mov_b32 s2, 0xc3f51107
	s_delay_alu instid0(VALU_DEP_1) | instskip(NEXT) | instid1(VALU_DEP_1)
	v_fmamk_f32 v4, v3, 0xc446c545, v4
	v_mul_f32_e32 v5, 0x3fb8aa3b, v4
	v_cmp_ngt_f32_e32 vcc_lo, 0xc2ce8ed0, v4
	s_delay_alu instid0(VALU_DEP_2) | instskip(SKIP_1) | instid1(VALU_DEP_1)
	v_fma_f32 v6, 0x3fb8aa3b, v4, -v5
	v_rndne_f32_e32 v7, v5
	v_dual_fmac_f32 v6, 0x32a5705f, v4 :: v_dual_sub_f32 v5, v5, v7
	s_delay_alu instid0(VALU_DEP_1) | instskip(SKIP_1) | instid1(VALU_DEP_2)
	v_add_f32_e32 v5, v5, v6
	v_cvt_i32_f32_e32 v6, v7
	v_exp_f32_e32 v5, v5
	s_waitcnt_depctr 0xfff
	v_ldexp_f32 v5, v5, v6
	s_delay_alu instid0(VALU_DEP_1) | instskip(SKIP_1) | instid1(VALU_DEP_2)
	v_cndmask_b32_e32 v5, 0, v5, vcc_lo
	v_cmp_nlt_f32_e32 vcc_lo, 0x42b17218, v4
	v_cndmask_b32_e32 v6, 0x7f800000, v5, vcc_lo
	v_lshlrev_b64 v[4:5], 2, v[1:2]
	v_add_nc_u32_e32 v1, s0, v1
	s_delay_alu instid0(VALU_DEP_2) | instskip(NEXT) | instid1(VALU_DEP_3)
	v_add_co_u32 v4, vcc_lo, s6, v4
	v_add_co_ci_u32_e32 v5, vcc_lo, s7, v5, vcc_lo
	global_store_b32 v[4:5], v6, off
	v_lshlrev_b64 v[4:5], 2, v[1:2]
	v_dual_mov_b32 v6, 0x53e8d4a5 :: v_dual_add_nc_u32 v1, s0, v1
	s_delay_alu instid0(VALU_DEP_2) | instskip(NEXT) | instid1(VALU_DEP_3)
	v_add_co_u32 v4, vcc_lo, s6, v4
	v_add_co_ci_u32_e32 v5, vcc_lo, s7, v5, vcc_lo
	global_store_b32 v[4:5], v6, off
	v_lshlrev_b64 v[4:5], 2, v[1:2]
	v_dual_mov_b32 v6, 0x556969a8 :: v_dual_add_nc_u32 v1, s0, v1
	;; [unrolled: 6-line block ×5, first 2 shown]
	s_delay_alu instid0(VALU_DEP_2) | instskip(NEXT) | instid1(VALU_DEP_3)
	v_add_co_u32 v4, vcc_lo, s6, v4
	v_add_co_ci_u32_e32 v5, vcc_lo, s7, v5, vcc_lo
	global_store_b32 v[4:5], v6, off
	v_lshlrev_b64 v[4:5], 2, v[1:2]
	v_add_nc_u32_e32 v1, s0, v1
	s_delay_alu instid0(VALU_DEP_2) | instskip(NEXT) | instid1(VALU_DEP_3)
	v_add_co_u32 v4, vcc_lo, s6, v4
	v_add_co_ci_u32_e32 v5, vcc_lo, s7, v5, vcc_lo
	global_store_b32 v[4:5], v6, off
	v_lshlrev_b64 v[4:5], 2, v[1:2]
	v_add_nc_u32_e32 v1, s0, v1
	s_delay_alu instid0(VALU_DEP_2) | instskip(NEXT) | instid1(VALU_DEP_3)
	v_add_co_u32 v6, vcc_lo, s6, v4
	v_add_co_ci_u32_e32 v7, vcc_lo, s7, v5, vcc_lo
	v_mov_b32_e32 v4, 0x55ae9f7c
	v_fmaak_f32 v5, s2, v3, 0x41b717bc
	s_mov_b32 s2, 0x3ff33333
	global_store_b32 v[6:7], v4, off
	v_mul_f32_e32 v6, 0x3fb8aa3b, v5
	v_cmp_ngt_f32_e32 vcc_lo, 0xc2ce8ed0, v5
	s_delay_alu instid0(VALU_DEP_2) | instskip(SKIP_1) | instid1(VALU_DEP_2)
	v_fma_f32 v7, 0x3fb8aa3b, v5, -v6
	v_rndne_f32_e32 v9, v6
	v_fmac_f32_e32 v7, 0x32a5705f, v5
	s_delay_alu instid0(VALU_DEP_2) | instskip(NEXT) | instid1(VALU_DEP_1)
	v_sub_f32_e32 v6, v6, v9
	v_add_f32_e32 v6, v6, v7
	v_cvt_i32_f32_e32 v7, v9
	s_delay_alu instid0(VALU_DEP_2) | instskip(SKIP_2) | instid1(VALU_DEP_1)
	v_exp_f32_e32 v6, v6
	s_waitcnt_depctr 0xfff
	v_ldexp_f32 v6, v6, v7
	v_cndmask_b32_e32 v6, 0, v6, vcc_lo
	v_cmp_nlt_f32_e32 vcc_lo, 0x42b17218, v5
	s_delay_alu instid0(VALU_DEP_2) | instskip(SKIP_2) | instid1(VALU_DEP_2)
	v_cndmask_b32_e32 v7, 0x7f800000, v6, vcc_lo
	v_lshlrev_b64 v[5:6], 2, v[1:2]
	v_add_nc_u32_e32 v1, s0, v1
	v_add_co_u32 v5, vcc_lo, s6, v5
	s_delay_alu instid0(VALU_DEP_3) | instskip(SKIP_4) | instid1(VALU_DEP_3)
	v_add_co_ci_u32_e32 v6, vcc_lo, s7, v6, vcc_lo
	global_store_b32 v[5:6], v7, off
	v_lshlrev_b64 v[5:6], 2, v[1:2]
	v_mov_b32_e32 v7, 0x56da475b
	v_add_nc_u32_e32 v1, s0, v1
	v_add_co_u32 v5, vcc_lo, s6, v5
	s_delay_alu instid0(VALU_DEP_4) | instskip(SKIP_3) | instid1(VALU_DEP_1)
	v_add_co_ci_u32_e32 v6, vcc_lo, s7, v6, vcc_lo
	global_store_b32 v[5:6], v7, off
	v_fmaak_f32 v5, s2, v0, 0x41947bc9
	s_mov_b32 s2, 0x3ff5c28f
	v_fmamk_f32 v5, v3, 0xc56cd38b, v5
	s_delay_alu instid0(VALU_DEP_1) | instskip(SKIP_1) | instid1(VALU_DEP_2)
	v_mul_f32_e32 v6, 0x3fb8aa3b, v5
	v_cmp_ngt_f32_e32 vcc_lo, 0xc2ce8ed0, v5
	v_fma_f32 v7, 0x3fb8aa3b, v5, -v6
	v_rndne_f32_e32 v9, v6
	s_delay_alu instid0(VALU_DEP_2) | instskip(NEXT) | instid1(VALU_DEP_2)
	v_fmac_f32_e32 v7, 0x32a5705f, v5
	v_sub_f32_e32 v6, v6, v9
	s_delay_alu instid0(VALU_DEP_1) | instskip(SKIP_1) | instid1(VALU_DEP_2)
	v_add_f32_e32 v6, v6, v7
	v_cvt_i32_f32_e32 v7, v9
	v_exp_f32_e32 v6, v6
	s_waitcnt_depctr 0xfff
	v_ldexp_f32 v6, v6, v7
	s_delay_alu instid0(VALU_DEP_1) | instskip(SKIP_1) | instid1(VALU_DEP_2)
	v_cndmask_b32_e32 v6, 0, v6, vcc_lo
	v_cmp_nlt_f32_e32 vcc_lo, 0x42b17218, v5
	v_cndmask_b32_e32 v7, 0x7f800000, v6, vcc_lo
	v_lshlrev_b64 v[5:6], 2, v[1:2]
	v_add_nc_u32_e32 v1, s0, v1
	s_delay_alu instid0(VALU_DEP_2) | instskip(NEXT) | instid1(VALU_DEP_3)
	v_add_co_u32 v5, vcc_lo, s6, v5
	v_add_co_ci_u32_e32 v6, vcc_lo, s7, v6, vcc_lo
	global_store_b32 v[5:6], v7, off
	v_fmaak_f32 v5, s2, v0, 0x41928138
	s_mov_b32 s2, 0x4007ae14
	s_delay_alu instid0(VALU_DEP_1) | instskip(NEXT) | instid1(VALU_DEP_1)
	v_fmamk_f32 v5, v3, 0xc532f4d8, v5
	v_mul_f32_e32 v6, 0x3fb8aa3b, v5
	v_cmp_ngt_f32_e32 vcc_lo, 0xc2ce8ed0, v5
	s_delay_alu instid0(VALU_DEP_2) | instskip(SKIP_1) | instid1(VALU_DEP_2)
	v_fma_f32 v7, 0x3fb8aa3b, v5, -v6
	v_rndne_f32_e32 v9, v6
	v_fmac_f32_e32 v7, 0x32a5705f, v5
	s_delay_alu instid0(VALU_DEP_2) | instskip(NEXT) | instid1(VALU_DEP_1)
	v_sub_f32_e32 v6, v6, v9
	v_add_f32_e32 v6, v6, v7
	v_cvt_i32_f32_e32 v7, v9
	s_delay_alu instid0(VALU_DEP_2) | instskip(SKIP_2) | instid1(VALU_DEP_1)
	v_exp_f32_e32 v6, v6
	s_waitcnt_depctr 0xfff
	v_ldexp_f32 v6, v6, v7
	v_cndmask_b32_e32 v6, 0, v6, vcc_lo
	v_cmp_nlt_f32_e32 vcc_lo, 0x42b17218, v5
	s_delay_alu instid0(VALU_DEP_2) | instskip(SKIP_2) | instid1(VALU_DEP_2)
	v_cndmask_b32_e32 v7, 0x7f800000, v6, vcc_lo
	v_lshlrev_b64 v[5:6], 2, v[1:2]
	v_add_nc_u32_e32 v1, s0, v1
	v_add_co_u32 v5, vcc_lo, s6, v5
	s_delay_alu instid0(VALU_DEP_3) | instskip(SKIP_3) | instid1(VALU_DEP_1)
	v_add_co_ci_u32_e32 v6, vcc_lo, s7, v6, vcc_lo
	global_store_b32 v[5:6], v7, off
	v_fmaak_f32 v5, s2, v0, 0x41714632
	s_mov_b32 s2, 0x438a6274
	v_fmamk_f32 v5, v3, 0xc3dae635, v5
	s_delay_alu instid0(VALU_DEP_1) | instskip(SKIP_1) | instid1(VALU_DEP_2)
	v_mul_f32_e32 v6, 0x3fb8aa3b, v5
	v_cmp_ngt_f32_e32 vcc_lo, 0xc2ce8ed0, v5
	v_fma_f32 v7, 0x3fb8aa3b, v5, -v6
	v_rndne_f32_e32 v9, v6
	s_delay_alu instid0(VALU_DEP_2) | instskip(NEXT) | instid1(VALU_DEP_2)
	v_fmac_f32_e32 v7, 0x32a5705f, v5
	v_sub_f32_e32 v6, v6, v9
	s_delay_alu instid0(VALU_DEP_1) | instskip(SKIP_1) | instid1(VALU_DEP_2)
	v_add_f32_e32 v6, v6, v7
	v_cvt_i32_f32_e32 v7, v9
	v_exp_f32_e32 v6, v6
	s_waitcnt_depctr 0xfff
	v_ldexp_f32 v6, v6, v7
	s_delay_alu instid0(VALU_DEP_1) | instskip(SKIP_1) | instid1(VALU_DEP_2)
	v_cndmask_b32_e32 v6, 0, v6, vcc_lo
	v_cmp_nlt_f32_e32 vcc_lo, 0x42b17218, v5
	v_cndmask_b32_e32 v7, 0x7f800000, v6, vcc_lo
	v_lshlrev_b64 v[5:6], 2, v[1:2]
	v_add_nc_u32_e32 v1, s0, v1
	s_delay_alu instid0(VALU_DEP_2) | instskip(NEXT) | instid1(VALU_DEP_3)
	v_add_co_u32 v5, vcc_lo, s6, v5
	v_add_co_ci_u32_e32 v6, vcc_lo, s7, v6, vcc_lo
	global_store_b32 v[5:6], v7, off
	v_fmaak_f32 v5, s2, v3, 0x41fa8f28
	s_mov_b32 s2, 0x3fdeb852
	s_delay_alu instid0(VALU_DEP_1) | instskip(SKIP_1) | instid1(VALU_DEP_2)
	v_mul_f32_e32 v6, 0x3fb8aa3b, v5
	v_cmp_ngt_f32_e32 vcc_lo, 0xc2ce8ed0, v5
	v_fma_f32 v7, 0x3fb8aa3b, v5, -v6
	v_rndne_f32_e32 v9, v6
	s_delay_alu instid0(VALU_DEP_2) | instskip(NEXT) | instid1(VALU_DEP_2)
	v_fmac_f32_e32 v7, 0x32a5705f, v5
	v_sub_f32_e32 v6, v6, v9
	s_delay_alu instid0(VALU_DEP_1) | instskip(SKIP_1) | instid1(VALU_DEP_2)
	v_add_f32_e32 v6, v6, v7
	v_cvt_i32_f32_e32 v7, v9
	v_exp_f32_e32 v6, v6
	s_waitcnt_depctr 0xfff
	v_ldexp_f32 v6, v6, v7
	s_delay_alu instid0(VALU_DEP_1) | instskip(SKIP_1) | instid1(VALU_DEP_2)
	v_cndmask_b32_e32 v6, 0, v6, vcc_lo
	v_cmp_nlt_f32_e32 vcc_lo, 0x42b17218, v5
	v_cndmask_b32_e32 v7, 0x7f800000, v6, vcc_lo
	v_lshlrev_b64 v[5:6], 2, v[1:2]
	v_add_nc_u32_e32 v1, s0, v1
	s_delay_alu instid0(VALU_DEP_2) | instskip(NEXT) | instid1(VALU_DEP_3)
	v_add_co_u32 v5, vcc_lo, s6, v5
	v_add_co_ci_u32_e32 v6, vcc_lo, s7, v6, vcc_lo
	global_store_b32 v[5:6], v7, off
	v_fmaak_f32 v5, s2, v0, 0x417a15da
	s_delay_alu instid0(VALU_DEP_1) | instskip(NEXT) | instid1(VALU_DEP_1)
	v_fmamk_f32 v5, v3, 0xc5a454ea, v5
	v_mul_f32_e32 v6, 0x3fb8aa3b, v5
	v_cmp_ngt_f32_e32 vcc_lo, 0xc2ce8ed0, v5
	s_delay_alu instid0(VALU_DEP_2) | instskip(SKIP_1) | instid1(VALU_DEP_2)
	v_fma_f32 v7, 0x3fb8aa3b, v5, -v6
	v_rndne_f32_e32 v9, v6
	v_fmac_f32_e32 v7, 0x32a5705f, v5
	s_delay_alu instid0(VALU_DEP_2) | instskip(NEXT) | instid1(VALU_DEP_1)
	v_sub_f32_e32 v6, v6, v9
	v_add_f32_e32 v6, v6, v7
	v_cvt_i32_f32_e32 v7, v9
	s_delay_alu instid0(VALU_DEP_2) | instskip(SKIP_2) | instid1(VALU_DEP_1)
	v_exp_f32_e32 v6, v6
	s_waitcnt_depctr 0xfff
	v_ldexp_f32 v6, v6, v7
	v_cndmask_b32_e32 v6, 0, v6, vcc_lo
	v_cmp_nlt_f32_e32 vcc_lo, 0x42b17218, v5
	s_delay_alu instid0(VALU_DEP_2) | instskip(SKIP_2) | instid1(VALU_DEP_2)
	v_cndmask_b32_e32 v7, 0x7f800000, v6, vcc_lo
	v_lshlrev_b64 v[5:6], 2, v[1:2]
	v_add_nc_u32_e32 v1, s0, v1
	v_add_co_u32 v5, vcc_lo, s6, v5
	s_delay_alu instid0(VALU_DEP_3)
	v_add_co_ci_u32_e32 v6, vcc_lo, s7, v6, vcc_lo
	global_store_b32 v[5:6], v7, off
	v_lshlrev_b64 v[5:6], 2, v[1:2]
	v_mov_b32_e32 v7, 0x5735e621
	v_add_nc_u32_e32 v1, s1, v1
	s_mov_b32 s1, 0xc4cd1ad6
	s_delay_alu instid0(VALU_DEP_3) | instskip(NEXT) | instid1(VALU_DEP_4)
	v_add_co_u32 v5, vcc_lo, s6, v5
	v_add_co_ci_u32_e32 v6, vcc_lo, s7, v6, vcc_lo
	global_store_b32 v[5:6], v7, off
	v_lshlrev_b64 v[5:6], 2, v[1:2]
	v_mov_b32_e32 v7, 0x541ad517
	v_add_nc_u32_e32 v1, s0, v1
	s_delay_alu instid0(VALU_DEP_3) | instskip(NEXT) | instid1(VALU_DEP_4)
	v_add_co_u32 v5, vcc_lo, s6, v5
	v_add_co_ci_u32_e32 v6, vcc_lo, s7, v6, vcc_lo
	global_store_b32 v[5:6], v7, off
	v_lshlrev_b64 v[5:6], 2, v[1:2]
	v_mov_b32_e32 v7, 0x54c015d5
	v_add_nc_u32_e32 v1, s0, v1
	s_delay_alu instid0(VALU_DEP_3) | instskip(NEXT) | instid1(VALU_DEP_4)
	v_add_co_u32 v5, vcc_lo, s6, v5
	v_add_co_ci_u32_e32 v6, vcc_lo, s7, v6, vcc_lo
	global_store_b32 v[5:6], v7, off
	v_lshlrev_b64 v[5:6], 2, v[1:2]
	v_add_nc_u32_e32 v1, s0, v1
	s_delay_alu instid0(VALU_DEP_2) | instskip(NEXT) | instid1(VALU_DEP_3)
	v_add_co_u32 v5, vcc_lo, s6, v5
	v_add_co_ci_u32_e32 v6, vcc_lo, s7, v6, vcc_lo
	global_store_b32 v[5:6], v8, off
	v_fmaak_f32 v5, s1, v3, 0x41f1c012
	s_mov_b32 s1, 0xc018f5c3
	s_delay_alu instid0(VALU_DEP_1) | instskip(SKIP_1) | instid1(VALU_DEP_2)
	v_mul_f32_e32 v6, 0x3fb8aa3b, v5
	v_cmp_ngt_f32_e32 vcc_lo, 0xc2ce8ed0, v5
	v_fma_f32 v7, 0x3fb8aa3b, v5, -v6
	v_rndne_f32_e32 v8, v6
	s_delay_alu instid0(VALU_DEP_1) | instskip(NEXT) | instid1(VALU_DEP_1)
	v_dual_fmac_f32 v7, 0x32a5705f, v5 :: v_dual_sub_f32 v6, v6, v8
	v_add_f32_e32 v6, v6, v7
	v_cvt_i32_f32_e32 v7, v8
	s_delay_alu instid0(VALU_DEP_2) | instskip(SKIP_2) | instid1(VALU_DEP_1)
	v_exp_f32_e32 v6, v6
	s_waitcnt_depctr 0xfff
	v_ldexp_f32 v6, v6, v7
	v_cndmask_b32_e32 v6, 0, v6, vcc_lo
	v_cmp_nlt_f32_e32 vcc_lo, 0x42b17218, v5
	s_delay_alu instid0(VALU_DEP_2) | instskip(SKIP_2) | instid1(VALU_DEP_2)
	v_cndmask_b32_e32 v7, 0x7f800000, v6, vcc_lo
	v_lshlrev_b64 v[5:6], 2, v[1:2]
	v_add_nc_u32_e32 v1, s0, v1
	v_add_co_u32 v5, vcc_lo, s6, v5
	s_delay_alu instid0(VALU_DEP_3) | instskip(SKIP_3) | instid1(VALU_DEP_1)
	v_add_co_ci_u32_e32 v6, vcc_lo, s7, v6, vcc_lo
	global_store_b32 v[5:6], v7, off
	v_fmaak_f32 v5, s1, v0, 0x424c81ec
	s_mov_b32 s1, 0x40200000
	v_fmamk_f32 v5, v3, 0xc5afcfb3, v5
	s_delay_alu instid0(VALU_DEP_1) | instskip(SKIP_1) | instid1(VALU_DEP_2)
	v_mul_f32_e32 v6, 0x3fb8aa3b, v5
	v_cmp_ngt_f32_e32 vcc_lo, 0xc2ce8ed0, v5
	v_fma_f32 v7, 0x3fb8aa3b, v5, -v6
	v_rndne_f32_e32 v8, v6
	s_delay_alu instid0(VALU_DEP_1) | instskip(NEXT) | instid1(VALU_DEP_1)
	v_dual_fmac_f32 v7, 0x32a5705f, v5 :: v_dual_sub_f32 v6, v6, v8
	v_add_f32_e32 v6, v6, v7
	v_cvt_i32_f32_e32 v7, v8
	s_delay_alu instid0(VALU_DEP_2) | instskip(SKIP_2) | instid1(VALU_DEP_1)
	v_exp_f32_e32 v6, v6
	s_waitcnt_depctr 0xfff
	v_ldexp_f32 v6, v6, v7
	v_cndmask_b32_e32 v6, 0, v6, vcc_lo
	v_cmp_nlt_f32_e32 vcc_lo, 0x42b17218, v5
	s_delay_alu instid0(VALU_DEP_2) | instskip(SKIP_2) | instid1(VALU_DEP_2)
	v_cndmask_b32_e32 v7, 0x7f800000, v6, vcc_lo
	v_lshlrev_b64 v[5:6], 2, v[1:2]
	v_add_nc_u32_e32 v1, s0, v1
	v_add_co_u32 v5, vcc_lo, s6, v5
	s_delay_alu instid0(VALU_DEP_3) | instskip(SKIP_3) | instid1(VALU_DEP_1)
	v_add_co_ci_u32_e32 v6, vcc_lo, s7, v6, vcc_lo
	global_store_b32 v[5:6], v7, off
	v_fmaak_f32 v5, s1, v0, 0x4140b265
	s_mov_b32 s1, 0x3fd33333
	v_fmamk_f32 v5, v3, 0xc49ca04e, v5
	s_delay_alu instid0(VALU_DEP_1) | instskip(SKIP_1) | instid1(VALU_DEP_2)
	v_mul_f32_e32 v6, 0x3fb8aa3b, v5
	v_cmp_ngt_f32_e32 vcc_lo, 0xc2ce8ed0, v5
	v_fma_f32 v7, 0x3fb8aa3b, v5, -v6
	v_rndne_f32_e32 v8, v6
	s_delay_alu instid0(VALU_DEP_1) | instskip(NEXT) | instid1(VALU_DEP_1)
	v_dual_fmac_f32 v7, 0x32a5705f, v5 :: v_dual_sub_f32 v6, v6, v8
	v_add_f32_e32 v6, v6, v7
	v_cvt_i32_f32_e32 v7, v8
	s_delay_alu instid0(VALU_DEP_2) | instskip(SKIP_2) | instid1(VALU_DEP_1)
	v_exp_f32_e32 v6, v6
	s_waitcnt_depctr 0xfff
	v_ldexp_f32 v6, v6, v7
	v_cndmask_b32_e32 v6, 0, v6, vcc_lo
	v_cmp_nlt_f32_e32 vcc_lo, 0x42b17218, v5
	s_delay_alu instid0(VALU_DEP_2) | instskip(SKIP_2) | instid1(VALU_DEP_2)
	v_cndmask_b32_e32 v7, 0x7f800000, v6, vcc_lo
	v_lshlrev_b64 v[5:6], 2, v[1:2]
	v_add_nc_u32_e32 v1, s0, v1
	v_add_co_u32 v5, vcc_lo, s6, v5
	s_delay_alu instid0(VALU_DEP_3) | instskip(SKIP_2) | instid1(VALU_DEP_1)
	v_add_co_ci_u32_e32 v6, vcc_lo, s7, v6, vcc_lo
	global_store_b32 v[5:6], v7, off
	v_fmaak_f32 v5, s1, v0, 0x4194d2f3
	v_fmamk_f32 v5, v3, 0xc3248d46, v5
	s_delay_alu instid0(VALU_DEP_1) | instskip(SKIP_1) | instid1(VALU_DEP_2)
	v_mul_f32_e32 v6, 0x3fb8aa3b, v5
	v_cmp_ngt_f32_e32 vcc_lo, 0xc2ce8ed0, v5
	v_fma_f32 v7, 0x3fb8aa3b, v5, -v6
	v_rndne_f32_e32 v8, v6
	s_delay_alu instid0(VALU_DEP_1) | instskip(NEXT) | instid1(VALU_DEP_1)
	v_dual_fmac_f32 v7, 0x32a5705f, v5 :: v_dual_sub_f32 v6, v6, v8
	v_add_f32_e32 v6, v6, v7
	v_cvt_i32_f32_e32 v7, v8
	s_delay_alu instid0(VALU_DEP_2) | instskip(SKIP_2) | instid1(VALU_DEP_1)
	v_exp_f32_e32 v6, v6
	s_waitcnt_depctr 0xfff
	v_ldexp_f32 v6, v6, v7
	v_cndmask_b32_e32 v6, 0, v6, vcc_lo
	v_cmp_nlt_f32_e32 vcc_lo, 0x42b17218, v5
	s_delay_alu instid0(VALU_DEP_2) | instskip(SKIP_2) | instid1(VALU_DEP_2)
	v_cndmask_b32_e32 v7, 0x7f800000, v6, vcc_lo
	v_lshlrev_b64 v[5:6], 2, v[1:2]
	v_add_nc_u32_e32 v1, s0, v1
	v_add_co_u32 v5, vcc_lo, s6, v5
	s_delay_alu instid0(VALU_DEP_3) | instskip(SKIP_3) | instid1(VALU_DEP_1)
	v_add_co_ci_u32_e32 v6, vcc_lo, s7, v6, vcc_lo
	global_store_b32 v[5:6], v7, off
	v_fmaak_f32 v5, s1, v0, 0x418af785
	s_mov_b32 s1, 0x3f333333
	v_fmamk_f32 v5, v3, 0x43f49034, v5
	s_delay_alu instid0(VALU_DEP_1) | instskip(SKIP_1) | instid1(VALU_DEP_2)
	v_mul_f32_e32 v6, 0x3fb8aa3b, v5
	v_cmp_ngt_f32_e32 vcc_lo, 0xc2ce8ed0, v5
	v_fma_f32 v7, 0x3fb8aa3b, v5, -v6
	v_rndne_f32_e32 v8, v6
	s_delay_alu instid0(VALU_DEP_1) | instskip(NEXT) | instid1(VALU_DEP_1)
	v_dual_fmac_f32 v7, 0x32a5705f, v5 :: v_dual_sub_f32 v6, v6, v8
	v_add_f32_e32 v6, v6, v7
	v_cvt_i32_f32_e32 v7, v8
	s_delay_alu instid0(VALU_DEP_2) | instskip(SKIP_2) | instid1(VALU_DEP_1)
	v_exp_f32_e32 v6, v6
	s_waitcnt_depctr 0xfff
	v_ldexp_f32 v6, v6, v7
	v_cndmask_b32_e32 v6, 0, v6, vcc_lo
	v_cmp_nlt_f32_e32 vcc_lo, 0x42b17218, v5
	s_delay_alu instid0(VALU_DEP_2) | instskip(SKIP_2) | instid1(VALU_DEP_2)
	v_cndmask_b32_e32 v7, 0x7f800000, v6, vcc_lo
	v_lshlrev_b64 v[5:6], 2, v[1:2]
	v_add_nc_u32_e32 v1, s0, v1
	v_add_co_u32 v5, vcc_lo, s6, v5
	s_delay_alu instid0(VALU_DEP_3) | instskip(SKIP_3) | instid1(VALU_DEP_1)
	v_add_co_ci_u32_e32 v6, vcc_lo, s7, v6, vcc_lo
	global_store_b32 v[5:6], v7, off
	v_fmaak_f32 v5, s1, v0, 0x41cf546d
	s_mov_b32 s1, 0x40266666
	v_fmamk_f32 v5, v3, 0xc538eea0, v5
	s_delay_alu instid0(VALU_DEP_1) | instskip(SKIP_1) | instid1(VALU_DEP_2)
	v_mul_f32_e32 v6, 0x3fb8aa3b, v5
	v_cmp_ngt_f32_e32 vcc_lo, 0xc2ce8ed0, v5
	v_fma_f32 v7, 0x3fb8aa3b, v5, -v6
	v_rndne_f32_e32 v8, v6
	s_delay_alu instid0(VALU_DEP_1) | instskip(NEXT) | instid1(VALU_DEP_1)
	v_dual_fmac_f32 v7, 0x32a5705f, v5 :: v_dual_sub_f32 v6, v6, v8
	v_add_f32_e32 v6, v6, v7
	v_cvt_i32_f32_e32 v7, v8
	s_delay_alu instid0(VALU_DEP_2) | instskip(SKIP_2) | instid1(VALU_DEP_1)
	v_exp_f32_e32 v6, v6
	s_waitcnt_depctr 0xfff
	v_ldexp_f32 v6, v6, v7
	v_cndmask_b32_e32 v6, 0, v6, vcc_lo
	v_cmp_nlt_f32_e32 vcc_lo, 0x42b17218, v5
	s_delay_alu instid0(VALU_DEP_2) | instskip(SKIP_2) | instid1(VALU_DEP_2)
	v_cndmask_b32_e32 v7, 0x7f800000, v6, vcc_lo
	v_lshlrev_b64 v[5:6], 2, v[1:2]
	v_add_nc_u32_e32 v1, s0, v1
	v_add_co_u32 v5, vcc_lo, s6, v5
	s_delay_alu instid0(VALU_DEP_3) | instskip(SKIP_2) | instid1(VALU_DEP_1)
	v_add_co_ci_u32_e32 v6, vcc_lo, s7, v6, vcc_lo
	global_store_b32 v[5:6], v7, off
	v_fmaak_f32 v5, 2.0, v0, 0x416f268e
	v_fmamk_f32 v5, v3, 0x4315f565, v5
	s_delay_alu instid0(VALU_DEP_1) | instskip(SKIP_1) | instid1(VALU_DEP_2)
	v_mul_f32_e32 v6, 0x3fb8aa3b, v5
	v_cmp_ngt_f32_e32 vcc_lo, 0xc2ce8ed0, v5
	v_fma_f32 v7, 0x3fb8aa3b, v5, -v6
	v_rndne_f32_e32 v8, v6
	s_delay_alu instid0(VALU_DEP_1) | instskip(NEXT) | instid1(VALU_DEP_1)
	v_dual_fmac_f32 v7, 0x32a5705f, v5 :: v_dual_sub_f32 v6, v6, v8
	v_add_f32_e32 v6, v6, v7
	v_cvt_i32_f32_e32 v7, v8
	s_delay_alu instid0(VALU_DEP_2) | instskip(SKIP_2) | instid1(VALU_DEP_1)
	v_exp_f32_e32 v6, v6
	s_waitcnt_depctr 0xfff
	v_ldexp_f32 v6, v6, v7
	v_cndmask_b32_e32 v6, 0, v6, vcc_lo
	v_cmp_nlt_f32_e32 vcc_lo, 0x42b17218, v5
	s_delay_alu instid0(VALU_DEP_2) | instskip(SKIP_2) | instid1(VALU_DEP_2)
	v_cndmask_b32_e32 v7, 0x7f800000, v6, vcc_lo
	v_lshlrev_b64 v[5:6], 2, v[1:2]
	v_add_nc_u32_e32 v1, s0, v1
	v_add_co_u32 v5, vcc_lo, s6, v5
	s_delay_alu instid0(VALU_DEP_3) | instskip(SKIP_3) | instid1(VALU_DEP_1)
	v_add_co_ci_u32_e32 v6, vcc_lo, s7, v6, vcc_lo
	global_store_b32 v[5:6], v7, off
	v_fmaak_f32 v5, s1, v0, 0x4112b659
	s_mov_b32 s1, 0x40600000
	v_fmamk_f32 v5, v3, 0xc5dabdf3, v5
	s_delay_alu instid0(VALU_DEP_1) | instskip(SKIP_1) | instid1(VALU_DEP_2)
	v_mul_f32_e32 v6, 0x3fb8aa3b, v5
	v_cmp_ngt_f32_e32 vcc_lo, 0xc2ce8ed0, v5
	v_fma_f32 v7, 0x3fb8aa3b, v5, -v6
	v_rndne_f32_e32 v8, v6
	s_delay_alu instid0(VALU_DEP_1) | instskip(NEXT) | instid1(VALU_DEP_1)
	v_dual_fmac_f32 v7, 0x32a5705f, v5 :: v_dual_sub_f32 v6, v6, v8
	v_add_f32_e32 v6, v6, v7
	v_cvt_i32_f32_e32 v7, v8
	s_delay_alu instid0(VALU_DEP_2) | instskip(SKIP_2) | instid1(VALU_DEP_1)
	v_exp_f32_e32 v6, v6
	s_waitcnt_depctr 0xfff
	v_ldexp_f32 v6, v6, v7
	v_cndmask_b32_e32 v6, 0, v6, vcc_lo
	v_cmp_nlt_f32_e32 vcc_lo, 0x42b17218, v5
	s_delay_alu instid0(VALU_DEP_2) | instskip(SKIP_2) | instid1(VALU_DEP_2)
	v_cndmask_b32_e32 v7, 0x7f800000, v6, vcc_lo
	v_lshlrev_b64 v[5:6], 2, v[1:2]
	v_add_nc_u32_e32 v1, s0, v1
	v_add_co_u32 v5, vcc_lo, s6, v5
	s_delay_alu instid0(VALU_DEP_3) | instskip(SKIP_3) | instid1(VALU_DEP_1)
	v_add_co_ci_u32_e32 v6, vcc_lo, s7, v6, vcc_lo
	global_store_b32 v[5:6], v7, off
	v_fmaak_f32 v5, s1, v0, 0x3f49d857
	s_mov_b32 s1, 0xc03ae148
	v_fmamk_f32 v5, v3, 0xc5327c13, v5
	s_delay_alu instid0(VALU_DEP_1) | instskip(SKIP_1) | instid1(VALU_DEP_2)
	v_mul_f32_e32 v6, 0x3fb8aa3b, v5
	v_cmp_ngt_f32_e32 vcc_lo, 0xc2ce8ed0, v5
	v_fma_f32 v7, 0x3fb8aa3b, v5, -v6
	v_rndne_f32_e32 v8, v6
	s_delay_alu instid0(VALU_DEP_1) | instskip(NEXT) | instid1(VALU_DEP_1)
	v_dual_fmac_f32 v7, 0x32a5705f, v5 :: v_dual_sub_f32 v6, v6, v8
	v_add_f32_e32 v6, v6, v7
	v_cvt_i32_f32_e32 v7, v8
	s_delay_alu instid0(VALU_DEP_2) | instskip(SKIP_2) | instid1(VALU_DEP_1)
	v_exp_f32_e32 v6, v6
	s_waitcnt_depctr 0xfff
	v_ldexp_f32 v6, v6, v7
	v_cndmask_b32_e32 v6, 0, v6, vcc_lo
	v_cmp_nlt_f32_e32 vcc_lo, 0x42b17218, v5
	s_delay_alu instid0(VALU_DEP_2) | instskip(SKIP_2) | instid1(VALU_DEP_2)
	v_cndmask_b32_e32 v7, 0x7f800000, v6, vcc_lo
	v_lshlrev_b64 v[5:6], 2, v[1:2]
	v_add_nc_u32_e32 v1, s0, v1
	v_add_co_u32 v5, vcc_lo, s6, v5
	s_delay_alu instid0(VALU_DEP_3) | instskip(SKIP_3) | instid1(SALU_CYCLE_1)
	v_add_co_ci_u32_e32 v6, vcc_lo, s7, v6, vcc_lo
	global_store_b32 v[5:6], v7, off
	v_fmaak_f32 v5, s1, v0, 0x42624810
	s_mov_b32 s1, 0xc0a70a3d
	v_fmaak_f32 v0, s1, v0, 0x42961660
	s_delay_alu instid0(VALU_DEP_2) | instskip(NEXT) | instid1(VALU_DEP_2)
	v_fmamk_f32 v5, v3, 0xc5c4a5cc, v5
	v_fmamk_f32 v0, v3, 0xc61b4414, v0
	s_delay_alu instid0(VALU_DEP_2) | instskip(SKIP_1) | instid1(VALU_DEP_3)
	v_mul_f32_e32 v6, 0x3fb8aa3b, v5
	v_cmp_ngt_f32_e32 vcc_lo, 0xc2ce8ed0, v5
	v_mul_f32_e32 v3, 0x3fb8aa3b, v0
	s_delay_alu instid0(VALU_DEP_3) | instskip(SKIP_1) | instid1(VALU_DEP_1)
	v_fma_f32 v7, 0x3fb8aa3b, v5, -v6
	v_rndne_f32_e32 v8, v6
	v_dual_fmac_f32 v7, 0x32a5705f, v5 :: v_dual_sub_f32 v6, v6, v8
	s_delay_alu instid0(VALU_DEP_1) | instskip(SKIP_1) | instid1(VALU_DEP_2)
	v_add_f32_e32 v6, v6, v7
	v_cvt_i32_f32_e32 v7, v8
	v_exp_f32_e32 v6, v6
	s_waitcnt_depctr 0xfff
	v_ldexp_f32 v6, v6, v7
	s_delay_alu instid0(VALU_DEP_1) | instskip(SKIP_1) | instid1(VALU_DEP_2)
	v_cndmask_b32_e32 v6, 0, v6, vcc_lo
	v_cmp_nlt_f32_e32 vcc_lo, 0x42b17218, v5
	v_cndmask_b32_e32 v7, 0x7f800000, v6, vcc_lo
	v_lshlrev_b64 v[5:6], 2, v[1:2]
	v_add_nc_u32_e32 v1, s0, v1
	s_delay_alu instid0(VALU_DEP_2) | instskip(NEXT) | instid1(VALU_DEP_3)
	v_add_co_u32 v5, vcc_lo, s6, v5
	v_add_co_ci_u32_e32 v6, vcc_lo, s7, v6, vcc_lo
	global_store_b32 v[5:6], v7, off
	v_lshlrev_b64 v[5:6], 2, v[1:2]
	v_mov_b32_e32 v7, 0x53d18c2e
	v_add_nc_u32_e32 v1, s0, v1
	s_delay_alu instid0(VALU_DEP_3) | instskip(NEXT) | instid1(VALU_DEP_4)
	v_add_co_u32 v5, vcc_lo, s6, v5
	v_add_co_ci_u32_e32 v6, vcc_lo, s7, v6, vcc_lo
	global_store_b32 v[5:6], v7, off
	v_lshlrev_b64 v[5:6], 2, v[1:2]
	v_mov_b32_e32 v7, 0x56ae9f7c
	v_add_nc_u32_e32 v1, s0, v1
	s_delay_alu instid0(VALU_DEP_3) | instskip(NEXT) | instid1(VALU_DEP_4)
	v_add_co_u32 v5, vcc_lo, s6, v5
	v_add_co_ci_u32_e32 v6, vcc_lo, s7, v6, vcc_lo
	global_store_b32 v[5:6], v7, off
	v_lshlrev_b64 v[5:6], 2, v[1:2]
	v_add_nc_u32_e32 v1, s0, v1
	v_mov_b32_e32 v7, 0x51a7a358
	s_delay_alu instid0(VALU_DEP_3) | instskip(NEXT) | instid1(VALU_DEP_4)
	v_add_co_u32 v5, vcc_lo, s6, v5
	v_add_co_ci_u32_e32 v6, vcc_lo, s7, v6, vcc_lo
	global_store_b32 v[5:6], v4, off
	v_lshlrev_b64 v[5:6], 2, v[1:2]
	v_add_nc_u32_e32 v1, s0, v1
	s_delay_alu instid0(VALU_DEP_2) | instskip(NEXT) | instid1(VALU_DEP_3)
	v_add_co_u32 v5, vcc_lo, s6, v5
	v_add_co_ci_u32_e32 v6, vcc_lo, s7, v6, vcc_lo
	global_store_b32 v[5:6], v7, off
	v_lshlrev_b64 v[5:6], 2, v[1:2]
	v_add_nc_u32_e32 v1, s0, v1
	s_delay_alu instid0(VALU_DEP_2) | instskip(NEXT) | instid1(VALU_DEP_3)
	v_add_co_u32 v5, vcc_lo, s6, v5
	v_add_co_ci_u32_e32 v6, vcc_lo, s7, v6, vcc_lo
	global_store_b32 v[5:6], v4, off
	v_lshlrev_b64 v[4:5], 2, v[1:2]
	v_dual_mov_b32 v6, 0x55201231 :: v_dual_add_nc_u32 v1, s0, v1
	s_delay_alu instid0(VALU_DEP_2) | instskip(NEXT) | instid1(VALU_DEP_3)
	v_add_co_u32 v4, vcc_lo, s6, v4
	v_add_co_ci_u32_e32 v5, vcc_lo, s7, v5, vcc_lo
	v_cmp_ngt_f32_e32 vcc_lo, 0xc2ce8ed0, v0
	global_store_b32 v[4:5], v6, off
	v_fma_f32 v4, 0x3fb8aa3b, v0, -v3
	v_rndne_f32_e32 v5, v3
	s_delay_alu instid0(VALU_DEP_1) | instskip(NEXT) | instid1(VALU_DEP_1)
	v_dual_fmac_f32 v4, 0x32a5705f, v0 :: v_dual_sub_f32 v3, v3, v5
	v_add_f32_e32 v3, v3, v4
	v_cvt_i32_f32_e32 v4, v5
	s_delay_alu instid0(VALU_DEP_2) | instskip(SKIP_2) | instid1(VALU_DEP_1)
	v_exp_f32_e32 v3, v3
	s_waitcnt_depctr 0xfff
	v_ldexp_f32 v3, v3, v4
	v_cndmask_b32_e32 v3, 0, v3, vcc_lo
	v_cmp_nlt_f32_e32 vcc_lo, 0x42b17218, v0
	v_lshlrev_b64 v[0:1], 2, v[1:2]
	s_delay_alu instid0(VALU_DEP_3) | instskip(NEXT) | instid1(VALU_DEP_2)
	v_cndmask_b32_e32 v3, 0x7f800000, v3, vcc_lo
	v_add_co_u32 v0, vcc_lo, s6, v0
	s_delay_alu instid0(VALU_DEP_3)
	v_add_co_ci_u32_e32 v1, vcc_lo, s7, v1, vcc_lo
	global_store_b32 v[0:1], v3, off
	s_nop 0
	s_sendmsg sendmsg(MSG_DEALLOC_VGPRS)
	s_endpgm
	.section	.rodata,"a",@progbits
	.p2align	6, 0x0
	.amdhsa_kernel _Z11ratt_kernelIfEvPKT_PS0_S0_
		.amdhsa_group_segment_fixed_size 0
		.amdhsa_private_segment_fixed_size 0
		.amdhsa_kernarg_size 280
		.amdhsa_user_sgpr_count 15
		.amdhsa_user_sgpr_dispatch_ptr 0
		.amdhsa_user_sgpr_queue_ptr 0
		.amdhsa_user_sgpr_kernarg_segment_ptr 1
		.amdhsa_user_sgpr_dispatch_id 0
		.amdhsa_user_sgpr_private_segment_size 0
		.amdhsa_wavefront_size32 1
		.amdhsa_uses_dynamic_stack 0
		.amdhsa_enable_private_segment 0
		.amdhsa_system_sgpr_workgroup_id_x 1
		.amdhsa_system_sgpr_workgroup_id_y 0
		.amdhsa_system_sgpr_workgroup_id_z 0
		.amdhsa_system_sgpr_workgroup_info 0
		.amdhsa_system_vgpr_workitem_id 0
		.amdhsa_next_free_vgpr 15
		.amdhsa_next_free_sgpr 16
		.amdhsa_reserve_vcc 1
		.amdhsa_float_round_mode_32 0
		.amdhsa_float_round_mode_16_64 0
		.amdhsa_float_denorm_mode_32 3
		.amdhsa_float_denorm_mode_16_64 3
		.amdhsa_dx10_clamp 1
		.amdhsa_ieee_mode 1
		.amdhsa_fp16_overflow 0
		.amdhsa_workgroup_processor_mode 1
		.amdhsa_memory_ordered 1
		.amdhsa_forward_progress 0
		.amdhsa_shared_vgpr_count 0
		.amdhsa_exception_fp_ieee_invalid_op 0
		.amdhsa_exception_fp_denorm_src 0
		.amdhsa_exception_fp_ieee_div_zero 0
		.amdhsa_exception_fp_ieee_overflow 0
		.amdhsa_exception_fp_ieee_underflow 0
		.amdhsa_exception_fp_ieee_inexact 0
		.amdhsa_exception_int_div_zero 0
	.end_amdhsa_kernel
	.section	.text._Z11ratt_kernelIfEvPKT_PS0_S0_,"axG",@progbits,_Z11ratt_kernelIfEvPKT_PS0_S0_,comdat
.Lfunc_end0:
	.size	_Z11ratt_kernelIfEvPKT_PS0_S0_, .Lfunc_end0-_Z11ratt_kernelIfEvPKT_PS0_S0_
                                        ; -- End function
	.section	.AMDGPU.csdata,"",@progbits
; Kernel info:
; codeLenInByte = 21840
; NumSgprs: 18
; NumVgprs: 15
; ScratchSize: 0
; MemoryBound: 0
; FloatMode: 240
; IeeeMode: 1
; LDSByteSize: 0 bytes/workgroup (compile time only)
; SGPRBlocks: 2
; VGPRBlocks: 1
; NumSGPRsForWavesPerEU: 18
; NumVGPRsForWavesPerEU: 15
; Occupancy: 16
; WaveLimiterHint : 0
; COMPUTE_PGM_RSRC2:SCRATCH_EN: 0
; COMPUTE_PGM_RSRC2:USER_SGPR: 15
; COMPUTE_PGM_RSRC2:TRAP_HANDLER: 0
; COMPUTE_PGM_RSRC2:TGID_X_EN: 1
; COMPUTE_PGM_RSRC2:TGID_Y_EN: 0
; COMPUTE_PGM_RSRC2:TGID_Z_EN: 0
; COMPUTE_PGM_RSRC2:TIDIG_COMP_CNT: 0
	.section	.text._Z12rdsmh_kernelIfEvPKT_PS0_S0_,"axG",@progbits,_Z12rdsmh_kernelIfEvPKT_PS0_S0_,comdat
	.protected	_Z12rdsmh_kernelIfEvPKT_PS0_S0_ ; -- Begin function _Z12rdsmh_kernelIfEvPKT_PS0_S0_
	.globl	_Z12rdsmh_kernelIfEvPKT_PS0_S0_
	.p2align	8
	.type	_Z12rdsmh_kernelIfEvPKT_PS0_S0_,@function
_Z12rdsmh_kernelIfEvPKT_PS0_S0_:        ; @_Z12rdsmh_kernelIfEvPKT_PS0_S0_
; %bb.0:
	s_clause 0x3
	s_load_b32 s2, s[0:1], 0x24
	s_load_b128 s[4:7], s[0:1], 0x0
	s_load_b32 s3, s[0:1], 0x10
	s_load_b32 s1, s[0:1], 0x18
	s_waitcnt lgkmcnt(0)
	s_and_b32 s2, s2, 0xffff
	s_delay_alu instid0(SALU_CYCLE_1) | instskip(SKIP_1) | instid1(VALU_DEP_1)
	v_mad_u64_u32 v[1:2], null, s15, s2, v[0:1]
	v_mov_b32_e32 v2, 0
	v_lshlrev_b64 v[3:4], 2, v[1:2]
	s_delay_alu instid0(VALU_DEP_1) | instskip(NEXT) | instid1(VALU_DEP_2)
	v_add_co_u32 v5, vcc_lo, s4, v3
	v_add_co_ci_u32_e32 v6, vcc_lo, s5, v4, vcc_lo
	global_load_b32 v0, v[5:6], off
	s_waitcnt vmcnt(0)
	v_mul_f32_e32 v0, s3, v0
                                        ; implicit-def: $sgpr3
	s_delay_alu instid0(VALU_DEP_1) | instskip(SKIP_2) | instid1(VALU_DEP_2)
	v_cmp_gt_f32_e32 vcc_lo, 0x800000, v0
	v_div_scale_f32 v5, null, v0, v0, 1.0
	v_cndmask_b32_e64 v6, 1.0, 0x4f800000, vcc_lo
	v_rcp_f32_e32 v7, v5
	s_delay_alu instid0(VALU_DEP_1) | instskip(NEXT) | instid1(VALU_DEP_1)
	v_mul_f32_e32 v6, v0, v6
	v_log_f32_e32 v6, v6
	s_waitcnt_depctr 0xfff
	v_fma_f32 v8, -v5, v7, 1.0
	s_delay_alu instid0(VALU_DEP_1) | instskip(NEXT) | instid1(VALU_DEP_1)
	v_dual_fmac_f32 v7, v8, v7 :: v_dual_mul_f32 v8, 0x3f317217, v6
	v_fma_f32 v11, 0x3f317217, v6, -v8
	s_delay_alu instid0(VALU_DEP_1) | instskip(SKIP_1) | instid1(VALU_DEP_2)
	v_fmamk_f32 v11, v6, 0x3377d1cf, v11
	v_div_scale_f32 v9, s0, 1.0, v0, 1.0
	v_add_f32_e32 v8, v8, v11
	v_cndmask_b32_e64 v11, 0, 0x41b17218, vcc_lo
	v_cmp_gt_f32_e64 vcc_lo, 0x7f800000, |v6|
	s_delay_alu instid0(VALU_DEP_3) | instskip(SKIP_3) | instid1(VALU_DEP_1)
	v_cndmask_b32_e32 v6, v6, v8, vcc_lo
	s_mov_b32 vcc_lo, s0
	s_mul_i32 s0, s1, s2
	s_mov_b32 s1, exec_lo
                                        ; implicit-def: $sgpr2
	v_sub_f32_e32 v6, v6, v11
	v_mul_f32_e32 v10, v9, v7
                                        ; implicit-def: $vgpr11
	s_delay_alu instid0(VALU_DEP_1) | instskip(NEXT) | instid1(VALU_DEP_1)
	v_fma_f32 v12, -v5, v10, v9
	v_fmac_f32_e32 v10, v12, v7
	s_delay_alu instid0(VALU_DEP_1) | instskip(NEXT) | instid1(VALU_DEP_1)
	v_fma_f32 v5, -v5, v10, v9
	v_div_fmas_f32 v5, v5, v7, v10
	v_add_f32_e32 v7, -1.0, v6
                                        ; implicit-def: $vgpr10
	s_delay_alu instid0(VALU_DEP_2) | instskip(SKIP_2) | instid1(VALU_DEP_3)
	v_div_fixup_f32 v8, v5, v0, 1.0
	v_add_co_u32 v5, vcc_lo, s6, v3
	v_add_co_ci_u32_e32 v6, vcc_lo, s7, v4, vcc_lo
	v_mul_f32_e32 v4, 0x46c70352, v8
	v_mul_f32_e32 v9, 0x40200000, v7
	v_add_nc_u32_e32 v3, s0, v1
	v_cmpx_nlt_f32_e32 0x447a0000, v0
	s_xor_b32 s1, exec_lo, s1
	s_cbranch_execz .LBB1_2
; %bb.1:
	s_mov_b32 s2, 0xaacf9e87
	v_sub_f32_e32 v13, 0xbee4b39d, v4
	v_fmaak_f32 v10, s2, v0, 0x30e6dd90
	s_mov_b32 s2, 0x9a604fda
	s_delay_alu instid0(SALU_CYCLE_1)
	v_dual_mov_b32 v4, v2 :: v_dual_fmaak_f32 v11, s2, v0, 0x20625c41
	s_mov_b32 s3, 0x44657bda
	v_add_f32_e32 v13, v13, v9
	s_mov_b32 s2, 0xc6e38485
	s_mov_b32 s4, 0x4484fe32
	v_fmaak_f32 v11, v0, v11, 0xa5bfc2f5
	s_delay_alu instid0(VALU_DEP_1) | instskip(SKIP_2) | instid1(SALU_CYCLE_1)
	v_fmaak_f32 v9, v0, v11, 0x2ac68896
	v_fmaak_f32 v12, s3, v8, 0x3f2ed9c2
	s_mov_b32 s3, 0x29eddd45
	v_fmaak_f32 v11, s3, v0, 0xb00c5f5c
	s_delay_alu instid0(VALU_DEP_3)
	v_fmac_f32_e32 v13, v0, v9
	v_fmaak_f32 v9, s2, v8, 0x400352e1
	s_mov_b32 s2, 0x2a369b0d
	v_fmamk_f32 v12, v7, 0x40160985, v12
	v_fmaak_f32 v11, v0, v11, 0x35949a53
	v_fmaak_f32 v19, s2, v0, 0xb05dc3b7
	v_fmamk_f32 v15, v7, 0x404ac4e3, v9
	s_mov_b32 s2, 0x299995ee
	s_mov_b32 s3, 0xc59f0e35
	v_fmaak_f32 v11, v0, v11, 0xbad6e9d7
	s_delay_alu instid0(VALU_DEP_1) | instskip(NEXT) | instid1(VALU_DEP_1)
	v_dual_mul_f32 v14, 0x3fb8aa3b, v13 :: v_dual_fmac_f32 v15, v0, v11
	v_fma_f32 v17, 0x3fb8aa3b, v13, -v14
	v_rndne_f32_e32 v18, v14
	s_delay_alu instid0(VALU_DEP_1) | instskip(SKIP_2) | instid1(VALU_DEP_3)
	v_dual_fmac_f32 v17, 0x32a5705f, v13 :: v_dual_sub_f32 v14, v14, v18
	v_fmaak_f32 v10, v0, v10, 0xb659dc04
	v_cvt_i32_f32_e32 v18, v18
	v_dual_add_f32 v11, v14, v17 :: v_dual_fmaak_f32 v14, v0, v19, 0x35dc47c9
	s_delay_alu instid0(VALU_DEP_1) | instskip(NEXT) | instid1(VALU_DEP_1)
	v_exp_f32_e32 v11, v11
	v_fmaak_f32 v14, v0, v14, 0xbac464db
	s_waitcnt_depctr 0xfff
	v_ldexp_f32 v11, v11, v18
	v_fmaak_f32 v10, v0, v10, 0x3b82c0bb
	s_delay_alu instid0(VALU_DEP_1) | instskip(NEXT) | instid1(VALU_DEP_1)
	v_fmac_f32_e32 v12, v0, v10
	v_mul_f32_e32 v10, 0x3fb8aa3b, v12
	v_cmp_ngt_f32_e32 vcc_lo, 0xc2ce8ed0, v12
	s_delay_alu instid0(VALU_DEP_2) | instskip(SKIP_1) | instid1(VALU_DEP_2)
	v_fma_f32 v9, 0x3fb8aa3b, v12, -v10
	v_rndne_f32_e32 v16, v10
	v_fmac_f32_e32 v9, 0x32a5705f, v12
	s_delay_alu instid0(VALU_DEP_2) | instskip(SKIP_1) | instid1(VALU_DEP_2)
	v_sub_f32_e32 v10, v10, v16
	v_cvt_i32_f32_e32 v16, v16
	v_dual_add_f32 v9, v10, v9 :: v_dual_fmaak_f32 v10, s4, v8, 0x406a175c
	s_delay_alu instid0(VALU_DEP_1) | instskip(NEXT) | instid1(VALU_DEP_1)
	v_exp_f32_e32 v17, v9
	v_fmamk_f32 v19, v7, 0x407213c4, v10
	v_lshlrev_b64 v[9:10], 2, v[3:4]
	s_delay_alu instid0(VALU_DEP_2) | instskip(SKIP_2) | instid1(VALU_DEP_1)
	v_fmac_f32_e32 v19, v0, v14
	s_waitcnt_depctr 0xfff
	v_ldexp_f32 v14, v17, v16
	v_cndmask_b32_e32 v14, 0, v14, vcc_lo
	v_cmp_ngt_f32_e32 vcc_lo, 0xc2ce8ed0, v13
	v_cndmask_b32_e32 v11, 0, v11, vcc_lo
	v_cmp_nlt_f32_e32 vcc_lo, 0x42b17218, v12
	s_delay_alu instid0(VALU_DEP_4)
	v_cndmask_b32_e32 v12, 0x7f800000, v14, vcc_lo
	v_mul_f32_e32 v14, 0x3fb8aa3b, v19
	v_cmp_nlt_f32_e32 vcc_lo, 0x42b17218, v13
	global_store_b32 v[5:6], v12, off
	v_rndne_f32_e32 v12, v14
	v_mul_f32_e32 v20, 0x3fb8aa3b, v15
	v_cndmask_b32_e32 v18, 0x7f800000, v11, vcc_lo
	v_fmaak_f32 v11, s2, v0, 0xafb1ce6a
	s_mov_b32 s2, 0xc561f14a
	v_sub_f32_e32 v13, v14, v12
	v_fma_f32 v4, 0x3fb8aa3b, v15, -v20
	v_rndne_f32_e32 v16, v20
	v_cvt_i32_f32_e32 v12, v12
	s_delay_alu instid0(VALU_DEP_2) | instskip(NEXT) | instid1(VALU_DEP_1)
	v_dual_fmac_f32 v4, 0x32a5705f, v15 :: v_dual_sub_f32 v17, v20, v16
	v_add_f32_e32 v17, v17, v4
	v_add_co_u32 v4, vcc_lo, s6, v9
	v_add_co_ci_u32_e32 v5, vcc_lo, s7, v10, vcc_lo
	s_delay_alu instid0(VALU_DEP_3)
	v_exp_f32_e32 v6, v17
	v_fma_f32 v10, 0x3fb8aa3b, v19, -v14
	v_cvt_i32_f32_e32 v9, v16
	v_fmaak_f32 v14, s2, v8, 0xbdd4d6df
	s_mov_b32 s2, 0x29c781cb
	v_cmp_ngt_f32_e32 vcc_lo, 0xc2ce8ed0, v15
	v_fmac_f32_e32 v10, 0x32a5705f, v19
	v_fmaak_f32 v17, s2, v0, 0xaffb6b9a
	s_mov_b32 s2, 0x46ecab74
	global_store_b32 v[4:5], v18, off
	v_ldexp_f32 v6, v6, v9
	v_add_nc_u32_e32 v9, s0, v3
	v_dual_add_f32 v3, v13, v10 :: v_dual_fmaak_f32 v20, s2, v8, 0xbf595a2d
	v_dual_fmaak_f32 v17, v0, v17, 0x3591dbe3 :: v_dual_mov_b32 v10, v2
	s_delay_alu instid0(VALU_DEP_4) | instskip(NEXT) | instid1(VALU_DEP_3)
	v_cndmask_b32_e32 v6, 0, v6, vcc_lo
	v_exp_f32_e32 v3, v3
	v_cmp_nlt_f32_e32 vcc_lo, 0x42b17218, v15
	s_delay_alu instid0(VALU_DEP_3)
	v_fmaak_f32 v17, v0, v17, 0xba8575b2
	v_mov_b32_e32 v13, v2
	s_mov_b32 s2, 0x2b02c6dd
	s_waitcnt_depctr 0xfff
	v_ldexp_f32 v3, v3, v12
	v_add_nc_u32_e32 v12, s0, v9
	v_fmamk_f32 v20, v7, 0x40865b43, v20
	v_fmamk_f32 v16, v7, 0x407f7d2e, v14
	s_delay_alu instid0(VALU_DEP_2) | instskip(SKIP_1) | instid1(VALU_DEP_2)
	v_fmac_f32_e32 v20, v0, v17
	v_fmaak_f32 v11, v0, v11, 0x354e9a63
	v_mul_f32_e32 v17, 0x3fb8aa3b, v20
	s_delay_alu instid0(VALU_DEP_2) | instskip(NEXT) | instid1(VALU_DEP_2)
	v_fmaak_f32 v11, v0, v11, 0xba9d5f6c
	v_fma_f32 v5, 0x3fb8aa3b, v20, -v17
	s_delay_alu instid0(VALU_DEP_2) | instskip(SKIP_1) | instid1(VALU_DEP_3)
	v_fmac_f32_e32 v16, v0, v11
	v_lshlrev_b64 v[10:11], 2, v[9:10]
	v_fmac_f32_e32 v5, 0x32a5705f, v20
	s_delay_alu instid0(VALU_DEP_3) | instskip(SKIP_1) | instid1(VALU_DEP_4)
	v_mul_f32_e32 v14, 0x3fb8aa3b, v16
	v_cndmask_b32_e32 v6, 0x7f800000, v6, vcc_lo
	v_add_co_u32 v10, vcc_lo, s6, v10
	v_add_co_ci_u32_e32 v11, vcc_lo, s7, v11, vcc_lo
	s_delay_alu instid0(VALU_DEP_4) | instskip(SKIP_2) | instid1(VALU_DEP_2)
	v_fma_f32 v9, 0x3fb8aa3b, v16, -v14
	v_rndne_f32_e32 v15, v14
	v_cmp_ngt_f32_e32 vcc_lo, 0xc2ce8ed0, v19
	v_dual_fmac_f32 v9, 0x32a5705f, v16 :: v_dual_sub_f32 v14, v14, v15
	v_cndmask_b32_e32 v3, 0, v3, vcc_lo
	v_cmp_nlt_f32_e32 vcc_lo, 0x42b17218, v19
	v_cvt_i32_f32_e32 v4, v15
	s_delay_alu instid0(VALU_DEP_4) | instskip(SKIP_2) | instid1(VALU_DEP_3)
	v_add_f32_e32 v9, v14, v9
	v_lshlrev_b64 v[13:14], 2, v[12:13]
	v_cndmask_b32_e32 v3, 0x7f800000, v3, vcc_lo
	v_exp_f32_e32 v9, v9
	s_delay_alu instid0(VALU_DEP_2) | instskip(NEXT) | instid1(VALU_DEP_3)
	v_add_co_u32 v13, vcc_lo, s6, v13
	v_add_co_ci_u32_e32 v14, vcc_lo, s7, v14, vcc_lo
	s_clause 0x1
	global_store_b32 v[10:11], v6, off
	global_store_b32 v[13:14], v3, off
	v_fmaak_f32 v3, s2, v0, 0xb10b0590
	v_ldexp_f32 v6, v9, v4
	v_rndne_f32_e32 v9, v17
	s_mov_b32 s2, 0xc393676e
	v_cmp_ngt_f32_e32 vcc_lo, 0xc2ce8ed0, v16
	v_fmaak_f32 v10, s2, v8, 0x406dddcc
	v_fmaak_f32 v11, v0, v3, 0x366ca6c6
	v_sub_f32_e32 v13, v17, v9
	v_cvt_i32_f32_e32 v9, v9
	s_mov_b32 s2, 0x2af2c263
	v_fmamk_f32 v15, v7, 0x4089a854, v10
	s_delay_alu instid0(VALU_DEP_3) | instskip(SKIP_2) | instid1(VALU_DEP_3)
	v_dual_fmaak_f32 v10, v0, v11, 0xbb1b9e83 :: v_dual_add_f32 v11, v13, v5
	v_dual_mov_b32 v4, v2 :: v_dual_add_nc_u32 v3, s0, v12
	v_cndmask_b32_e32 v6, 0, v6, vcc_lo
	v_fmac_f32_e32 v15, v0, v10
	s_delay_alu instid0(VALU_DEP_4)
	v_exp_f32_e32 v10, v11
	v_cmp_nlt_f32_e32 vcc_lo, 0x42b17218, v16
	v_lshlrev_b64 v[4:5], 2, v[3:4]
	s_waitcnt_depctr 0xfff
	v_ldexp_f32 v13, v10, v9
	v_fmaak_f32 v9, s2, v0, 0xb0f720ac
	s_mov_b32 s2, 0x468a4d2a
	v_mov_b32_e32 v10, v2
	v_fmaak_f32 v16, s2, v8, 0x405bd7df
	s_mov_b32 s2, 0xa99e4fce
	v_fmaak_f32 v17, v0, v9, 0x363b296d
	s_delay_alu instid0(VALU_DEP_2) | instskip(NEXT) | instid1(VALU_DEP_2)
	v_dual_fmamk_f32 v16, v7, 0x4088d5ea, v16 :: v_dual_add_nc_u32 v9, s0, v3
	v_fmaak_f32 v3, v0, v17, 0xb98e4c32
	s_delay_alu instid0(VALU_DEP_1) | instskip(SKIP_1) | instid1(VALU_DEP_1)
	v_fmac_f32_e32 v16, v0, v3
	v_mul_f32_e32 v11, 0x3fb8aa3b, v15
	v_fma_f32 v12, 0x3fb8aa3b, v15, -v11
	v_rndne_f32_e32 v14, v11
	s_delay_alu instid0(VALU_DEP_1) | instskip(NEXT) | instid1(VALU_DEP_1)
	v_dual_fmac_f32 v12, 0x32a5705f, v15 :: v_dual_sub_f32 v11, v11, v14
	v_add_f32_e32 v12, v11, v12
	v_lshlrev_b64 v[10:11], 2, v[9:10]
	s_delay_alu instid0(VALU_DEP_2) | instskip(SKIP_2) | instid1(VALU_DEP_1)
	v_exp_f32_e32 v3, v12
	v_cvt_i32_f32_e32 v12, v14
	v_mul_f32_e32 v14, 0x3fb8aa3b, v16
	v_rndne_f32_e32 v19, v14
	v_cndmask_b32_e32 v6, 0x7f800000, v6, vcc_lo
	v_add_co_u32 v4, vcc_lo, s6, v4
	v_add_co_ci_u32_e32 v5, vcc_lo, s7, v5, vcc_lo
	v_cmp_ngt_f32_e32 vcc_lo, 0xc2ce8ed0, v20
	v_fma_f32 v18, 0x3fb8aa3b, v16, -v14
	s_delay_alu instid0(TRANS32_DEP_1)
	v_ldexp_f32 v3, v3, v12
	v_dual_sub_f32 v9, v14, v19 :: v_dual_add_nc_u32 v12, s0, v9
	v_cndmask_b32_e32 v13, 0, v13, vcc_lo
	v_cmp_nlt_f32_e32 vcc_lo, 0x42b17218, v20
	global_store_b32 v[4:5], v6, off
	v_cvt_i32_f32_e32 v4, v19
	v_fmaak_f32 v20, s2, v0, 0x2f90de5c
	s_mov_b32 s2, 0xc78a46a6
	v_cndmask_b32_e32 v17, 0x7f800000, v13, vcc_lo
	v_add_co_u32 v10, vcc_lo, s6, v10
	v_add_co_ci_u32_e32 v11, vcc_lo, s7, v11, vcc_lo
	v_cmp_ngt_f32_e32 vcc_lo, 0xc2ce8ed0, v15
	v_dual_fmac_f32 v18, 0x32a5705f, v16 :: v_dual_mov_b32 v13, v2
	global_store_b32 v[10:11], v17, off
	v_cndmask_b32_e32 v3, 0, v3, vcc_lo
	v_dual_add_f32 v9, v9, v18 :: v_dual_fmaak_f32 v18, s2, v8, 0x40056070
	s_mov_b32 s2, 0x29bdfc7d
	v_lshlrev_b64 v[13:14], 2, v[12:13]
	v_cmp_nlt_f32_e32 vcc_lo, 0x42b17218, v15
	s_delay_alu instid0(VALU_DEP_3) | instskip(SKIP_1) | instid1(VALU_DEP_3)
	v_exp_f32_e32 v9, v9
	v_cndmask_b32_e32 v3, 0x7f800000, v3, vcc_lo
	v_add_co_u32 v13, vcc_lo, s6, v13
	s_delay_alu instid0(VALU_DEP_4)
	v_add_co_ci_u32_e32 v14, vcc_lo, s7, v14, vcc_lo
	v_cmp_ngt_f32_e32 vcc_lo, 0xc2ce8ed0, v16
	s_waitcnt_depctr 0xfff
	v_ldexp_f32 v5, v9, v4
	v_fmaak_f32 v4, s2, v0, 0xafb06bf8
	s_mov_b32 s2, 0xc733b40a
	global_store_b32 v[13:14], v3, off
	v_fmaak_f32 v9, s2, v8, 0x3fc8010b
	v_add_nc_u32_e32 v3, s0, v12
	v_fmaak_f32 v10, v0, v4, 0x34fa1552
	v_fmaak_f32 v20, v0, v20, 0xb49720da
	s_delay_alu instid0(VALU_DEP_4) | instskip(SKIP_1) | instid1(VALU_DEP_3)
	v_dual_mov_b32 v4, v2 :: v_dual_fmamk_f32 v17, v7, 0x4070cfba, v9
	s_mov_b32 s2, 0x29dac769
	v_dual_fmaak_f32 v9, v0, v10, 0x39fdfbe9 :: v_dual_cndmask_b32 v10, 0, v5
	v_cmp_nlt_f32_e32 vcc_lo, 0x42b17218, v16
	s_delay_alu instid0(VALU_DEP_3) | instskip(NEXT) | instid1(VALU_DEP_3)
	v_lshlrev_b64 v[4:5], 2, v[3:4]
	v_dual_fmac_f32 v17, v0, v9 :: v_dual_cndmask_b32 v16, 0x7f800000, v10
	s_delay_alu instid0(VALU_DEP_2) | instskip(NEXT) | instid1(VALU_DEP_2)
	v_add_co_u32 v4, vcc_lo, s6, v4
	v_mul_f32_e32 v9, 0x3fb8aa3b, v17
	s_delay_alu instid0(VALU_DEP_4) | instskip(NEXT) | instid1(VALU_DEP_2)
	v_add_co_ci_u32_e32 v5, vcc_lo, s7, v5, vcc_lo
	v_fma_f32 v10, 0x3fb8aa3b, v17, -v9
	v_rndne_f32_e32 v13, v9
	global_store_b32 v[4:5], v16, off
	v_fmac_f32_e32 v10, 0x32a5705f, v17
	v_dual_sub_f32 v14, v9, v13 :: v_dual_add_nc_u32 v9, s0, v3
	v_fmamk_f32 v15, v7, 0x405f5928, v18
	s_delay_alu instid0(VALU_DEP_2) | instskip(NEXT) | instid1(VALU_DEP_1)
	v_dual_fmaak_f32 v18, v0, v20, 0x3929c878 :: v_dual_add_f32 v3, v14, v10
	v_dual_mov_b32 v10, v2 :: v_dual_fmac_f32 v15, v0, v18
	s_delay_alu instid0(VALU_DEP_2) | instskip(NEXT) | instid1(VALU_DEP_1)
	v_exp_f32_e32 v3, v3
	v_mul_f32_e32 v6, 0x3fb8aa3b, v15
	v_cmp_ngt_f32_e32 vcc_lo, 0xc2ce8ed0, v15
	s_delay_alu instid0(VALU_DEP_2) | instskip(SKIP_1) | instid1(VALU_DEP_1)
	v_fma_f32 v11, 0x3fb8aa3b, v15, -v6
	v_rndne_f32_e32 v12, v6
	v_dual_fmac_f32 v11, 0x32a5705f, v15 :: v_dual_sub_f32 v6, v6, v12
	s_delay_alu instid0(VALU_DEP_1) | instskip(SKIP_3) | instid1(VALU_DEP_3)
	v_add_f32_e32 v6, v6, v11
	v_cvt_i32_f32_e32 v11, v12
	v_fmaak_f32 v12, s2, v0, 0xb01933c9
	s_mov_b32 s2, 0xc74540d1
	v_exp_f32_e32 v6, v6
	v_fmaak_f32 v18, s2, v8, 0xbf44e4fb
	s_delay_alu instid0(VALU_DEP_2) | instskip(SKIP_1) | instid1(SALU_CYCLE_1)
	v_fmaak_f32 v12, v0, v12, 0x35b82b12
	s_mov_b32 s2, 0x2a0f34d9
	v_fmaak_f32 v19, s2, v0, 0xb01d64fe
	s_delay_alu instid0(VALU_DEP_3) | instskip(SKIP_1) | instid1(SALU_CYCLE_1)
	v_fmamk_f32 v18, v7, 0x40865af7, v18
	s_mov_b32 s2, 0xc68079ff
	v_fmaak_f32 v20, s2, v8, 0x3fcd625d
	s_waitcnt_depctr 0xfff
	v_ldexp_f32 v6, v6, v11
	v_fmaak_f32 v11, v0, v12, 0xba9b1933
	v_cvt_i32_f32_e32 v12, v13
	v_mov_b32_e32 v13, v2
	s_delay_alu instid0(VALU_DEP_4) | instskip(NEXT) | instid1(VALU_DEP_4)
	v_dual_fmaak_f32 v19, v0, v19, 0x35802ecd :: v_dual_cndmask_b32 v6, 0, v6
	v_fmac_f32_e32 v18, v0, v11
	v_lshlrev_b64 v[10:11], 2, v[9:10]
	v_cmp_nlt_f32_e32 vcc_lo, 0x42b17218, v15
	v_ldexp_f32 v3, v3, v12
	v_add_nc_u32_e32 v12, s0, v9
	v_mul_f32_e32 v14, 0x3fb8aa3b, v18
	s_mov_b32 s2, 0x2b6a99d4
	v_cndmask_b32_e32 v6, 0x7f800000, v6, vcc_lo
	v_add_co_u32 v10, vcc_lo, s6, v10
	s_delay_alu instid0(VALU_DEP_3) | instskip(SKIP_3) | instid1(VALU_DEP_3)
	v_fma_f32 v9, 0x3fb8aa3b, v18, -v14
	v_rndne_f32_e32 v15, v14
	v_add_co_ci_u32_e32 v11, vcc_lo, s7, v11, vcc_lo
	v_cmp_ngt_f32_e32 vcc_lo, 0xc2ce8ed0, v17
	v_dual_fmac_f32 v9, 0x32a5705f, v18 :: v_dual_sub_f32 v14, v14, v15
	v_fmamk_f32 v20, v7, 0x406b1c1b, v20
	v_fmaak_f32 v19, v0, v19, 0x3a83ca2c
	v_cndmask_b32_e32 v3, 0, v3, vcc_lo
	v_cmp_nlt_f32_e32 vcc_lo, 0x42b17218, v17
	v_add_f32_e32 v9, v14, v9
	v_lshlrev_b64 v[13:14], 2, v[12:13]
	v_cvt_i32_f32_e32 v4, v15
	v_cndmask_b32_e32 v3, 0x7f800000, v3, vcc_lo
	s_delay_alu instid0(VALU_DEP_4) | instskip(NEXT) | instid1(VALU_DEP_3)
	v_exp_f32_e32 v9, v9
	v_add_co_u32 v13, vcc_lo, s6, v13
	s_delay_alu instid0(VALU_DEP_4)
	v_add_co_ci_u32_e32 v14, vcc_lo, s7, v14, vcc_lo
	s_clause 0x1
	global_store_b32 v[10:11], v6, off
	global_store_b32 v[13:14], v3, off
	v_fmaak_f32 v3, s2, v0, 0xb18acc0a
	v_ldexp_f32 v6, v9, v4
	s_mov_b32 s2, 0x46201a97
	v_mov_b32_e32 v4, v2
	v_fmaak_f32 v10, s2, v8, 0xc094858f
	v_fmaak_f32 v11, v0, v3, 0x37098475
	v_dual_fmac_f32 v20, v0, v19 :: v_dual_add_nc_u32 v3, s0, v12
	s_mov_b32 s2, 0xa94ba886
	s_delay_alu instid0(VALU_DEP_3) | instskip(NEXT) | instid1(VALU_DEP_3)
	v_fmamk_f32 v15, v7, 0x40a4cbc9, v10
	v_fmaak_f32 v10, v0, v11, 0xbbdffc3e
	v_cmp_ngt_f32_e32 vcc_lo, 0xc2ce8ed0, v18
	v_mul_f32_e32 v17, 0x3fb8aa3b, v20
	s_delay_alu instid0(VALU_DEP_3) | instskip(SKIP_1) | instid1(VALU_DEP_3)
	v_fmac_f32_e32 v15, v0, v10
	v_cndmask_b32_e32 v6, 0, v6, vcc_lo
	v_fma_f32 v5, 0x3fb8aa3b, v20, -v17
	v_rndne_f32_e32 v9, v17
	v_cmp_nlt_f32_e32 vcc_lo, 0x42b17218, v18
	s_delay_alu instid0(VALU_DEP_3) | instskip(NEXT) | instid1(VALU_DEP_3)
	v_fmac_f32_e32 v5, 0x32a5705f, v20
	v_sub_f32_e32 v13, v17, v9
	v_cvt_i32_f32_e32 v9, v9
	s_delay_alu instid0(VALU_DEP_2) | instskip(SKIP_1) | instid1(VALU_DEP_2)
	v_dual_cndmask_b32 v6, 0x7f800000, v6 :: v_dual_add_f32 v11, v13, v5
	v_lshlrev_b64 v[4:5], 2, v[3:4]
	v_exp_f32_e32 v10, v11
	s_delay_alu instid0(VALU_DEP_1) | instskip(NEXT) | instid1(VALU_DEP_2)
	v_add_co_u32 v4, vcc_lo, s6, v4
	v_add_co_ci_u32_e32 v5, vcc_lo, s7, v5, vcc_lo
	v_cmp_ngt_f32_e32 vcc_lo, 0xc2ce8ed0, v20
	global_store_b32 v[4:5], v6, off
	v_ldexp_f32 v13, v10, v9
	v_fmaak_f32 v9, s2, v0, 0x2ea635e9
	s_mov_b32 s2, 0x46602058
	v_mov_b32_e32 v10, v2
	v_fmaak_f32 v16, s2, v8, 0x406089c7
	v_cndmask_b32_e32 v13, 0, v13, vcc_lo
	v_fmaak_f32 v17, v0, v9, 0x3435f74d
	v_add_nc_u32_e32 v9, s0, v3
	v_cmp_nlt_f32_e32 vcc_lo, 0x42b17218, v20
	v_fmamk_f32 v16, v7, 0x40651714, v16
	s_mov_b32 s2, 0xa8016edc
	v_fmaak_f32 v3, v0, v17, 0xb9a00024
	v_fmaak_f32 v20, s2, v0, 0x2f615360
	v_cndmask_b32_e32 v17, 0x7f800000, v13, vcc_lo
	v_mov_b32_e32 v13, v2
	s_mov_b32 s2, 0x473cf3f8
	v_fmac_f32_e32 v16, v0, v3
	v_mul_f32_e32 v11, 0x3fb8aa3b, v15
	s_delay_alu instid0(VALU_DEP_1) | instskip(SKIP_1) | instid1(VALU_DEP_1)
	v_fma_f32 v12, 0x3fb8aa3b, v15, -v11
	v_rndne_f32_e32 v14, v11
	v_dual_fmac_f32 v12, 0x32a5705f, v15 :: v_dual_sub_f32 v11, v11, v14
	s_delay_alu instid0(VALU_DEP_1) | instskip(SKIP_1) | instid1(VALU_DEP_2)
	v_add_f32_e32 v12, v11, v12
	v_lshlrev_b64 v[10:11], 2, v[9:10]
	v_exp_f32_e32 v3, v12
	v_cvt_i32_f32_e32 v12, v14
	v_mul_f32_e32 v14, 0x3fb8aa3b, v16
	s_delay_alu instid0(VALU_DEP_3) | instskip(NEXT) | instid1(VALU_DEP_4)
	v_add_co_u32 v10, vcc_lo, s6, v10
	v_add_co_ci_u32_e32 v11, vcc_lo, s7, v11, vcc_lo
	s_delay_alu instid0(VALU_DEP_3) | instskip(SKIP_2) | instid1(TRANS32_DEP_1)
	v_fma_f32 v18, 0x3fb8aa3b, v16, -v14
	v_rndne_f32_e32 v19, v14
	v_cmp_ngt_f32_e32 vcc_lo, 0xc2ce8ed0, v15
	v_ldexp_f32 v3, v3, v12
	v_add_nc_u32_e32 v12, s0, v9
	s_delay_alu instid0(VALU_DEP_4) | instskip(SKIP_1) | instid1(VALU_DEP_4)
	v_dual_fmac_f32 v18, 0x32a5705f, v16 :: v_dual_sub_f32 v9, v14, v19
	v_cvt_i32_f32_e32 v4, v19
	v_cndmask_b32_e32 v3, 0, v3, vcc_lo
	s_delay_alu instid0(VALU_DEP_4)
	v_lshlrev_b64 v[13:14], 2, v[12:13]
	v_cmp_nlt_f32_e32 vcc_lo, 0x42b17218, v15
	v_dual_add_f32 v9, v9, v18 :: v_dual_fmaak_f32 v18, s2, v8, 0x411e6ab6
	s_mov_b32 s2, 0x2a7430af
	global_store_b32 v[10:11], v17, off
	v_cndmask_b32_e32 v3, 0x7f800000, v3, vcc_lo
	v_exp_f32_e32 v9, v9
	v_add_co_u32 v13, vcc_lo, s6, v13
	v_add_co_ci_u32_e32 v14, vcc_lo, s7, v14, vcc_lo
	v_cmp_ngt_f32_e32 vcc_lo, 0xc2ce8ed0, v16
	global_store_b32 v[13:14], v3, off
	v_add_nc_u32_e32 v3, s0, v12
	v_ldexp_f32 v5, v9, v4
	v_fmaak_f32 v4, s2, v0, 0xb0987e43
	s_mov_b32 s2, 0xc56ff90a
	s_delay_alu instid0(SALU_CYCLE_1) | instskip(SKIP_1) | instid1(VALU_DEP_2)
	v_fmaak_f32 v9, s2, v8, 0x40593d66
	s_mov_b32 s2, 0x2b39741a
	v_fmaak_f32 v10, v0, v4, 0x361a2046
	s_delay_alu instid0(VALU_DEP_2) | instskip(NEXT) | instid1(VALU_DEP_2)
	v_dual_mov_b32 v4, v2 :: v_dual_fmamk_f32 v17, v7, 0x408713f4, v9
	v_dual_fmaak_f32 v9, v0, v10, 0xbad49809 :: v_dual_cndmask_b32 v10, 0, v5
	v_cmp_nlt_f32_e32 vcc_lo, 0x42b17218, v16
	s_delay_alu instid0(VALU_DEP_3) | instskip(NEXT) | instid1(VALU_DEP_3)
	v_lshlrev_b64 v[4:5], 2, v[3:4]
	v_dual_fmac_f32 v17, v0, v9 :: v_dual_cndmask_b32 v16, 0x7f800000, v10
	s_delay_alu instid0(VALU_DEP_2) | instskip(NEXT) | instid1(VALU_DEP_2)
	v_add_co_u32 v4, vcc_lo, s6, v4
	v_mul_f32_e32 v9, 0x3fb8aa3b, v17
	s_delay_alu instid0(VALU_DEP_4) | instskip(NEXT) | instid1(VALU_DEP_2)
	v_add_co_ci_u32_e32 v5, vcc_lo, s7, v5, vcc_lo
	v_fma_f32 v10, 0x3fb8aa3b, v17, -v9
	v_rndne_f32_e32 v13, v9
	global_store_b32 v[4:5], v16, off
	v_fmac_f32_e32 v10, 0x32a5705f, v17
	v_dual_sub_f32 v14, v9, v13 :: v_dual_add_nc_u32 v9, s0, v3
	v_fmamk_f32 v15, v7, 0x4016d561, v18
	s_delay_alu instid0(VALU_DEP_2) | instskip(SKIP_1) | instid1(VALU_DEP_2)
	v_dual_add_f32 v3, v14, v10 :: v_dual_fmaak_f32 v20, v0, v20, 0xb59f59f5
	v_mov_b32_e32 v10, v2
	v_exp_f32_e32 v3, v3
	s_delay_alu instid0(VALU_DEP_2) | instskip(NEXT) | instid1(VALU_DEP_1)
	v_fmaak_f32 v18, v0, v20, 0x3b933421
	v_fmac_f32_e32 v15, v0, v18
	s_delay_alu instid0(VALU_DEP_1) | instskip(SKIP_1) | instid1(VALU_DEP_2)
	v_mul_f32_e32 v6, 0x3fb8aa3b, v15
	v_cmp_ngt_f32_e32 vcc_lo, 0xc2ce8ed0, v15
	v_fma_f32 v11, 0x3fb8aa3b, v15, -v6
	v_rndne_f32_e32 v12, v6
	s_delay_alu instid0(VALU_DEP_1) | instskip(NEXT) | instid1(VALU_DEP_1)
	v_dual_fmac_f32 v11, 0x32a5705f, v15 :: v_dual_sub_f32 v6, v6, v12
	v_add_f32_e32 v6, v6, v11
	v_cvt_i32_f32_e32 v11, v12
	v_fmaak_f32 v12, s2, v0, 0xb15933cf
	s_mov_b32 s2, 0x465f93d4
	s_delay_alu instid0(VALU_DEP_3) | instskip(SKIP_1) | instid1(VALU_DEP_2)
	v_exp_f32_e32 v6, v6
	v_fmaak_f32 v18, s2, v8, 0x3f1a51f2
	v_fmaak_f32 v12, v0, v12, 0x36d0b842
	s_mov_b32 s2, 0x29e9b163
	s_delay_alu instid0(SALU_CYCLE_1) | instskip(NEXT) | instid1(VALU_DEP_3)
	v_fmaak_f32 v19, s2, v0, 0xb028feea
	v_fmamk_f32 v18, v7, 0x4099662e, v18
	s_mov_b32 s2, 0xc474a678
	s_delay_alu instid0(SALU_CYCLE_1)
	v_fmaak_f32 v20, s2, v8, 0x41526f51
	s_waitcnt_depctr 0xfff
	v_ldexp_f32 v6, v6, v11
	v_fmaak_f32 v11, v0, v12, 0xbba25690
	v_cvt_i32_f32_e32 v12, v13
	v_mov_b32_e32 v13, v2
	s_delay_alu instid0(VALU_DEP_4) | instskip(NEXT) | instid1(VALU_DEP_4)
	v_dual_fmaak_f32 v19, v0, v19, 0x356ed6d5 :: v_dual_cndmask_b32 v6, 0, v6
	v_fmac_f32_e32 v18, v0, v11
	v_lshlrev_b64 v[10:11], 2, v[9:10]
	v_cmp_nlt_f32_e32 vcc_lo, 0x42b17218, v15
	v_ldexp_f32 v3, v3, v12
	v_add_nc_u32_e32 v12, s0, v9
	v_mul_f32_e32 v14, 0x3fb8aa3b, v18
	s_mov_b32 s2, 0xaaef4637
	v_cndmask_b32_e32 v6, 0x7f800000, v6, vcc_lo
	v_add_co_u32 v10, vcc_lo, s6, v10
	s_delay_alu instid0(VALU_DEP_3) | instskip(SKIP_3) | instid1(VALU_DEP_3)
	v_fma_f32 v9, 0x3fb8aa3b, v18, -v14
	v_rndne_f32_e32 v15, v14
	v_add_co_ci_u32_e32 v11, vcc_lo, s7, v11, vcc_lo
	v_cmp_ngt_f32_e32 vcc_lo, 0xc2ce8ed0, v17
	v_dual_fmac_f32 v9, 0x32a5705f, v18 :: v_dual_sub_f32 v14, v14, v15
	v_fmamk_f32 v20, v7, 0x4006cc0c, v20
	v_fmaak_f32 v19, v0, v19, 0x3b6c7930
	v_cndmask_b32_e32 v3, 0, v3, vcc_lo
	v_cmp_nlt_f32_e32 vcc_lo, 0x42b17218, v17
	v_add_f32_e32 v9, v14, v9
	v_lshlrev_b64 v[13:14], 2, v[12:13]
	v_cvt_i32_f32_e32 v4, v15
	v_cndmask_b32_e32 v3, 0x7f800000, v3, vcc_lo
	s_delay_alu instid0(VALU_DEP_4) | instskip(NEXT) | instid1(VALU_DEP_3)
	v_exp_f32_e32 v9, v9
	v_add_co_u32 v13, vcc_lo, s6, v13
	s_delay_alu instid0(VALU_DEP_4)
	v_add_co_ci_u32_e32 v14, vcc_lo, s7, v14, vcc_lo
	s_clause 0x1
	global_store_b32 v[10:11], v6, off
	global_store_b32 v[13:14], v3, off
	v_fmaak_f32 v3, s2, v0, 0x31206ec8
	s_mov_b32 s2, 0xc6ce79f6
	v_ldexp_f32 v6, v9, v4
	v_fmaak_f32 v10, s2, v8, 0x415f0908
	s_delay_alu instid0(VALU_DEP_3) | instskip(SKIP_1) | instid1(VALU_DEP_3)
	v_dual_mov_b32 v4, v2 :: v_dual_fmaak_f32 v11, v0, v3, 0xb6c6a061
	v_dual_fmac_f32 v20, v0, v19 :: v_dual_add_nc_u32 v3, s0, v12
	v_fmamk_f32 v12, v7, 0x3f4f05b9, v10
	v_cmp_ngt_f32_e32 vcc_lo, 0xc2ce8ed0, v18
	s_delay_alu instid0(VALU_DEP_4)
	v_fmaak_f32 v10, v0, v11, 0x3c3f60c0
	s_mov_b32 s2, 0x295d1a6b
	v_mul_f32_e32 v17, 0x3fb8aa3b, v20
	v_fmaak_f32 v16, s2, v0, 0xaeddd0e9
	v_cndmask_b32_e32 v6, 0, v6, vcc_lo
	v_fmac_f32_e32 v12, v0, v10
	v_cmp_nlt_f32_e32 vcc_lo, 0x42b17218, v18
	v_fma_f32 v5, 0x3fb8aa3b, v20, -v17
	v_rndne_f32_e32 v9, v17
	s_mov_b32 s2, 0xc73dedcb
	v_cndmask_b32_e32 v6, 0x7f800000, v6, vcc_lo
	s_delay_alu instid0(VALU_DEP_3) | instskip(NEXT) | instid1(VALU_DEP_3)
	v_fmac_f32_e32 v5, 0x32a5705f, v20
	v_sub_f32_e32 v13, v17, v9
	v_cvt_i32_f32_e32 v9, v9
	s_delay_alu instid0(VALU_DEP_2) | instskip(SKIP_1) | instid1(VALU_DEP_2)
	v_add_f32_e32 v11, v13, v5
	v_lshlrev_b64 v[4:5], 2, v[3:4]
	v_exp_f32_e32 v10, v11
	v_mul_f32_e32 v11, 0x3fb8aa3b, v12
	s_delay_alu instid0(VALU_DEP_2) | instskip(NEXT) | instid1(VALU_DEP_3)
	v_add_co_u32 v4, vcc_lo, s6, v4
	v_add_co_ci_u32_e32 v5, vcc_lo, s7, v5, vcc_lo
	s_delay_alu instid0(VALU_DEP_3)
	v_fma_f32 v13, 0x3fb8aa3b, v12, -v11
	v_rndne_f32_e32 v14, v11
	v_cmp_ngt_f32_e32 vcc_lo, 0xc2ce8ed0, v20
	global_store_b32 v[4:5], v6, off
	v_ldexp_f32 v15, v10, v9
	v_add_nc_u32_e32 v9, s0, v3
	v_fmac_f32_e32 v13, 0x32a5705f, v12
	v_dual_sub_f32 v3, v11, v14 :: v_dual_mov_b32 v10, v2
	s_delay_alu instid0(VALU_DEP_4) | instskip(SKIP_2) | instid1(VALU_DEP_4)
	v_cndmask_b32_e32 v15, 0, v15, vcc_lo
	v_cmp_nlt_f32_e32 vcc_lo, 0x42b17218, v20
	v_cvt_i32_f32_e32 v4, v14
	v_add_f32_e32 v3, v3, v13
	v_lshlrev_b64 v[10:11], 2, v[9:10]
	v_fmaak_f32 v13, s2, v8, 0x40bd73d8
	s_mov_b32 s2, 0x2b4f18b0
	v_cndmask_b32_e32 v15, 0x7f800000, v15, vcc_lo
	v_exp_f32_e32 v3, v3
	v_fmaak_f32 v5, s2, v0, 0xb14cd132
	v_add_co_u32 v10, vcc_lo, s6, v10
	s_mov_b32 s2, 0xc7082bd9
	v_add_co_ci_u32_e32 v11, vcc_lo, s7, v11, vcc_lo
	s_delay_alu instid0(VALU_DEP_3) | instskip(SKIP_2) | instid1(TRANS32_DEP_1)
	v_fmaak_f32 v5, v0, v5, 0x3690f5dd
	v_cmp_ngt_f32_e32 vcc_lo, 0xc2ce8ed0, v12
	v_fmamk_f32 v13, v7, 0x405204e3, v13
	v_ldexp_f32 v3, v3, v4
	v_fmaak_f32 v4, s2, v8, 0x41082b2c
	global_store_b32 v[10:11], v15, off
	v_fmaak_f32 v5, v0, v5, 0x3a468bf9
	s_mov_b32 s2, 0x2bbdea0c
	v_dual_cndmask_b32 v10, 0, v3 :: v_dual_fmamk_f32 v15, v7, 0x404d990d, v4
	v_dual_fmaak_f32 v16, v0, v16, 0xb4d573ff :: v_dual_add_nc_u32 v3, s0, v9
	v_mov_b32_e32 v4, v2
	v_cmp_nlt_f32_e32 vcc_lo, 0x42b17218, v12
	s_delay_alu instid0(VALU_DEP_4) | instskip(SKIP_1) | instid1(VALU_DEP_3)
	v_dual_fmac_f32 v15, v0, v5 :: v_dual_fmaak_f32 v12, s3, v8, 0x40831d56
	s_mov_b32 s3, 0x34d2a7a5
	v_lshlrev_b64 v[4:5], 2, v[3:4]
	v_dual_fmaak_f32 v16, v0, v16, 0x3b649af3 :: v_dual_add_nc_u32 v3, s0, v3
	v_cndmask_b32_e32 v9, 0x7f800000, v10, vcc_lo
	v_mul_f32_e32 v10, 0x3fb8aa3b, v15
	s_delay_alu instid0(VALU_DEP_4) | instskip(NEXT) | instid1(VALU_DEP_4)
	v_add_co_u32 v4, vcc_lo, s6, v4
	v_fmac_f32_e32 v13, v0, v16
	v_add_co_ci_u32_e32 v5, vcc_lo, s7, v5, vcc_lo
	s_delay_alu instid0(VALU_DEP_4) | instskip(SKIP_1) | instid1(VALU_DEP_4)
	v_fma_f32 v16, 0x3fb8aa3b, v15, -v10
	v_rndne_f32_e32 v17, v10
	v_mul_f32_e32 v6, 0x3fb8aa3b, v13
	global_store_b32 v[4:5], v9, off
	v_mov_b32_e32 v4, v2
	v_dual_fmac_f32 v16, 0x32a5705f, v15 :: v_dual_sub_f32 v5, v10, v17
	v_fma_f32 v11, 0x3fb8aa3b, v13, -v6
	v_rndne_f32_e32 v14, v6
	v_fmamk_f32 v18, v7, 0x407d638f, v12
	v_cmp_ngt_f32_e32 vcc_lo, 0xc2ce8ed0, v13
	v_add_f32_e32 v9, v5, v16
	s_delay_alu instid0(VALU_DEP_4) | instskip(SKIP_2) | instid1(VALU_DEP_4)
	v_dual_fmac_f32 v11, 0x32a5705f, v13 :: v_dual_sub_f32 v6, v6, v14
	v_cvt_i32_f32_e32 v12, v14
	v_lshlrev_b64 v[4:5], 2, v[3:4]
	v_exp_f32_e32 v9, v9
	s_delay_alu instid0(VALU_DEP_3) | instskip(SKIP_1) | instid1(VALU_DEP_1)
	v_dual_add_f32 v6, v6, v11 :: v_dual_fmaak_f32 v11, s2, v0, 0xb1c605fe
	s_mov_b32 s2, 0x2ba234d0
	v_exp_f32_e32 v6, v6
	s_delay_alu instid0(VALU_DEP_1) | instskip(NEXT) | instid1(VALU_DEP_1)
	v_fmaak_f32 v11, v0, v11, 0x371fa914
	v_fmaak_f32 v11, v0, v11, 0xbb781225
	s_waitcnt_depctr 0xfff
	v_ldexp_f32 v6, v6, v12
	v_fmac_f32_e32 v18, v0, v11
	s_delay_alu instid0(VALU_DEP_2) | instskip(SKIP_2) | instid1(VALU_DEP_3)
	v_cndmask_b32_e32 v6, 0, v6, vcc_lo
	v_cmp_nlt_f32_e32 vcc_lo, 0x42b17218, v13
	v_cvt_i32_f32_e32 v13, v17
	v_cndmask_b32_e32 v6, 0x7f800000, v6, vcc_lo
	v_add_co_u32 v4, vcc_lo, s6, v4
	v_add_co_ci_u32_e32 v5, vcc_lo, s7, v5, vcc_lo
	s_delay_alu instid0(VALU_DEP_4) | instskip(SKIP_2) | instid1(VALU_DEP_3)
	v_ldexp_f32 v13, v9, v13
	v_cmp_ngt_f32_e32 vcc_lo, 0xc2ce8ed0, v15
	v_dual_mul_f32 v10, 0x3fb8aa3b, v18 :: v_dual_add_nc_u32 v9, s0, v3
	v_cndmask_b32_e32 v13, 0, v13, vcc_lo
	s_delay_alu instid0(VALU_DEP_2) | instskip(SKIP_2) | instid1(VALU_DEP_2)
	v_fma_f32 v11, 0x3fb8aa3b, v18, -v10
	v_rndne_f32_e32 v12, v10
	v_cmp_nlt_f32_e32 vcc_lo, 0x42b17218, v15
	v_dual_fmac_f32 v11, 0x32a5705f, v18 :: v_dual_sub_f32 v14, v10, v12
	v_mov_b32_e32 v10, v2
	v_cvt_i32_f32_e32 v12, v12
	v_cndmask_b32_e32 v15, 0x7f800000, v13, vcc_lo
	s_delay_alu instid0(VALU_DEP_4) | instskip(NEXT) | instid1(VALU_DEP_4)
	v_add_f32_e32 v3, v14, v11
	v_lshlrev_b64 v[10:11], 2, v[9:10]
	v_fmaak_f32 v14, s2, v0, 0xb1ab8c72
	s_mov_b32 s2, 0xc648a682
	s_delay_alu instid0(VALU_DEP_3) | instskip(SKIP_1) | instid1(VALU_DEP_3)
	v_exp_f32_e32 v3, v3
	v_fmaak_f32 v16, s2, v8, 0x4096a175
	v_add_co_u32 v10, vcc_lo, s6, v10
	v_add_co_ci_u32_e32 v11, vcc_lo, s7, v11, vcc_lo
	v_cmp_ngt_f32_e32 vcc_lo, 0xc2ce8ed0, v18
	s_mov_b32 s2, 0x2bbd1220
	s_waitcnt_depctr 0xfff
	v_ldexp_f32 v3, v3, v12
	v_fmaak_f32 v14, v0, v14, 0x370b02de
	v_add_nc_u32_e32 v12, s0, v9
	s_delay_alu instid0(VALU_DEP_3) | instskip(NEXT) | instid1(VALU_DEP_3)
	v_dual_fmamk_f32 v16, v7, 0x4089ce91, v16 :: v_dual_cndmask_b32 v3, 0, v3
	v_fmaak_f32 v13, v0, v14, 0xbb092fa7
	v_fmaak_f32 v14, s2, v0, 0xb1cadb21
	s_mov_b32 s2, 0x463408d2
	v_cmp_nlt_f32_e32 vcc_lo, 0x42b17218, v18
	s_delay_alu instid0(VALU_DEP_3) | instskip(NEXT) | instid1(VALU_DEP_3)
	v_dual_fmaak_f32 v17, s2, v8, 0x402aad3b :: v_dual_fmac_f32 v16, v0, v13
	v_fmaak_f32 v19, v0, v14, 0x37279d77
	v_mov_b32_e32 v13, v2
	v_cndmask_b32_e32 v3, 0x7f800000, v3, vcc_lo
	s_delay_alu instid0(VALU_DEP_4) | instskip(SKIP_3) | instid1(VALU_DEP_2)
	v_fmamk_f32 v17, v7, 0x4089535a, v17
	s_mov_b32 s2, 0xaa8e9bd8
	v_fmaak_f32 v19, v0, v19, 0xbb344649
	v_lshlrev_b64 v[13:14], 2, v[12:13]
	v_fmac_f32_e32 v17, v0, v19
	v_mul_f32_e32 v9, 0x3fb8aa3b, v16
	s_delay_alu instid0(VALU_DEP_3) | instskip(NEXT) | instid1(VALU_DEP_4)
	v_add_co_u32 v13, vcc_lo, s6, v13
	v_add_co_ci_u32_e32 v14, vcc_lo, s7, v14, vcc_lo
	s_delay_alu instid0(VALU_DEP_4) | instskip(NEXT) | instid1(VALU_DEP_4)
	v_mul_f32_e32 v18, 0x3fb8aa3b, v17
	v_fma_f32 v20, 0x3fb8aa3b, v16, -v9
	v_rndne_f32_e32 v21, v9
	v_cmp_ngt_f32_e32 vcc_lo, 0xc2ce8ed0, v16
	s_delay_alu instid0(VALU_DEP_2) | instskip(NEXT) | instid1(VALU_DEP_1)
	v_dual_fmac_f32 v20, 0x32a5705f, v16 :: v_dual_sub_f32 v9, v9, v21
	v_add_f32_e32 v9, v9, v20
	s_clause 0x2
	global_store_b32 v[4:5], v6, off
	global_store_b32 v[10:11], v15, off
	;; [unrolled: 1-line block ×3, first 2 shown]
	v_fma_f32 v4, 0x3fb8aa3b, v17, -v18
	v_rndne_f32_e32 v6, v18
	v_cvt_i32_f32_e32 v5, v21
	v_exp_f32_e32 v3, v9
	v_fmaak_f32 v9, s2, v0, 0x30c5dd10
	s_mov_b32 s2, 0xc69cb6e6
	v_fmac_f32_e32 v4, 0x32a5705f, v17
	v_dual_sub_f32 v10, v18, v6 :: v_dual_fmaak_f32 v11, s2, v8, 0x4147d8bf
	s_delay_alu instid0(VALU_DEP_3) | instskip(SKIP_2) | instid1(VALU_DEP_3)
	v_fmaak_f32 v9, v0, v9, 0xb684b3e7
	v_cvt_i32_f32_e32 v6, v6
	s_mov_b32 s2, 0xa9e2d234
	v_dual_add_f32 v10, v10, v4 :: v_dual_fmamk_f32 v15, v7, 0x40101c34, v11
	s_delay_alu instid0(VALU_DEP_3) | instskip(SKIP_2) | instid1(VALU_DEP_4)
	v_fmaak_f32 v9, v0, v9, 0x3c10a143
	v_ldexp_f32 v5, v3, v5
	v_add_nc_u32_e32 v3, s0, v12
	v_exp_f32_e32 v10, v10
	s_delay_alu instid0(VALU_DEP_3) | instskip(NEXT) | instid1(VALU_DEP_1)
	v_dual_mov_b32 v4, v2 :: v_dual_fmac_f32 v15, v0, v9
	v_mul_f32_e32 v9, 0x3fb8aa3b, v15
	s_waitcnt_depctr 0xfff
	v_ldexp_f32 v6, v10, v6
	v_fma_f32 v10, 0x3fb8aa3b, v15, -v9
	v_cndmask_b32_e32 v11, 0, v5, vcc_lo
	v_cmp_nlt_f32_e32 vcc_lo, 0x42b17218, v16
	v_lshlrev_b64 v[4:5], 2, v[3:4]
	v_rndne_f32_e32 v12, v9
	v_fmac_f32_e32 v10, 0x32a5705f, v15
	v_cndmask_b32_e32 v16, 0x7f800000, v11, vcc_lo
	v_fmaak_f32 v11, s2, v0, 0x305609a7
	v_add_co_u32 v4, vcc_lo, s6, v4
	s_mov_b32 s2, 0x45dc1758
	v_add_co_ci_u32_e32 v5, vcc_lo, s7, v5, vcc_lo
	v_cmp_ngt_f32_e32 vcc_lo, 0xc2ce8ed0, v17
	v_fmaak_f32 v14, s2, v8, 0x4143734b
	v_fmaak_f32 v11, v0, v11, 0xb6428e95
	s_mov_b32 s2, 0x2a216b60
	v_cndmask_b32_e32 v6, 0, v6, vcc_lo
	v_cmp_nlt_f32_e32 vcc_lo, 0x42b17218, v17
	v_fmamk_f32 v17, v7, 0x4008b18b, v14
	v_fmaak_f32 v11, v0, v11, 0x3c146e07
	s_delay_alu instid0(VALU_DEP_1) | instskip(NEXT) | instid1(VALU_DEP_1)
	v_dual_cndmask_b32 v6, 0x7f800000, v6 :: v_dual_fmac_f32 v17, v0, v11
	v_dual_mul_f32 v18, 0x3fb8aa3b, v17 :: v_dual_sub_f32 v13, v9, v12
	v_cvt_i32_f32_e32 v12, v12
	s_delay_alu instid0(VALU_DEP_2) | instskip(SKIP_1) | instid1(VALU_DEP_4)
	v_fma_f32 v20, 0x3fb8aa3b, v17, -v18
	v_add_nc_u32_e32 v9, s0, v3
	v_add_f32_e32 v3, v13, v10
	v_fmaak_f32 v13, s2, v0, 0x3023fa60
	s_mov_b32 s2, 0xc4be2f40
	v_fmac_f32_e32 v20, 0x32a5705f, v17
	v_mov_b32_e32 v10, v2
	v_exp_f32_e32 v3, v3
	v_fmaak_f32 v13, v0, v13, 0x34a93f75
	v_rndne_f32_e32 v21, v18
	v_fmaak_f32 v14, s2, v8, 0x411924ac
	v_lshlrev_b64 v[10:11], 2, v[9:10]
	s_mov_b32 s2, 0x2b9a5394
	v_fmaak_f32 v13, v0, v13, 0x3baff0d8
	s_waitcnt_depctr 0xfff
	v_ldexp_f32 v3, v3, v12
	v_add_nc_u32_e32 v12, s0, v9
	v_sub_f32_e32 v9, v18, v21
	v_fmamk_f32 v19, v7, 0x405a2e14, v14
	v_add_co_u32 v10, vcc_lo, s6, v10
	v_add_co_ci_u32_e32 v11, vcc_lo, s7, v11, vcc_lo
	s_delay_alu instid0(VALU_DEP_3)
	v_fmac_f32_e32 v19, v0, v13
	v_add_f32_e32 v9, v9, v20
	v_mov_b32_e32 v13, v2
	v_cmp_ngt_f32_e32 vcc_lo, 0xc2ce8ed0, v15
	s_clause 0x1
	global_store_b32 v[4:5], v16, off
	global_store_b32 v[10:11], v6, off
	v_mul_f32_e32 v18, 0x3fb8aa3b, v19
	v_exp_f32_e32 v9, v9
	v_lshlrev_b64 v[13:14], 2, v[12:13]
	v_fmaak_f32 v10, s2, v0, 0xb1a4859b
	v_cndmask_b32_e32 v3, 0, v3, vcc_lo
	v_fma_f32 v20, 0x3fb8aa3b, v19, -v18
	v_rndne_f32_e32 v22, v18
	v_cmp_nlt_f32_e32 vcc_lo, 0x42b17218, v15
	v_fmaak_f32 v10, v0, v10, 0x3704ead2
	s_mov_b32 s2, 0x46a889c2
	s_delay_alu instid0(VALU_DEP_3) | instskip(SKIP_4) | instid1(VALU_DEP_4)
	v_dual_fmac_f32 v20, 0x32a5705f, v19 :: v_dual_sub_f32 v15, v18, v22
	v_cvt_i32_f32_e32 v18, v21
	v_cndmask_b32_e32 v3, 0x7f800000, v3, vcc_lo
	v_add_co_u32 v13, vcc_lo, s6, v13
	v_add_co_ci_u32_e32 v14, vcc_lo, s7, v14, vcc_lo
	v_ldexp_f32 v6, v9, v18
	v_cmp_ngt_f32_e32 vcc_lo, 0xc2ce8ed0, v17
	v_mov_b32_e32 v4, v2
	global_store_b32 v[13:14], v3, off
	v_add_nc_u32_e32 v3, s0, v12
	v_fmaak_f32 v12, s2, v8, 0x40834be8
	v_cndmask_b32_e32 v6, 0, v6, vcc_lo
	v_cmp_nlt_f32_e32 vcc_lo, 0x42b17218, v17
	v_add_f32_e32 v5, v15, v20
	v_cvt_i32_f32_e32 v11, v22
	v_fmamk_f32 v12, v7, 0x409757bb, v12
	s_mov_b32 s2, 0x2b5f054a
	v_cndmask_b32_e32 v6, 0x7f800000, v6, vcc_lo
	v_exp_f32_e32 v9, v5
	v_lshlrev_b64 v[4:5], 2, v[3:4]
	s_delay_alu instid0(VALU_DEP_1) | instskip(NEXT) | instid1(VALU_DEP_2)
	v_add_co_u32 v4, vcc_lo, s6, v4
	v_add_co_ci_u32_e32 v5, vcc_lo, s7, v5, vcc_lo
	s_waitcnt_depctr 0xfff
	v_ldexp_f32 v9, v9, v11
	v_cmp_ngt_f32_e32 vcc_lo, 0xc2ce8ed0, v19
	v_fmaak_f32 v10, v0, v10, 0xbad14672
	global_store_b32 v[4:5], v6, off
	v_dual_cndmask_b32 v9, 0, v9 :: v_dual_fmac_f32 v12, v0, v10
	v_fmaak_f32 v10, s2, v0, 0xb13f03c3
	s_mov_b32 s2, 0xc6965b42
	v_cmp_nlt_f32_e32 vcc_lo, 0x42b17218, v19
	v_fmaak_f32 v11, s2, v8, 0x418962be
	s_mov_b32 s2, 0x2ac97be1
	v_fmaak_f32 v14, v0, v10, 0x360bc6fa
	v_fmaak_f32 v16, s2, v0, 0xb0bf2504
	v_cndmask_b32_e32 v13, 0x7f800000, v9, vcc_lo
	v_add_nc_u32_e32 v9, s0, v3
	v_fmamk_f32 v15, v7, 0x3fae7ccc, v11
	v_fmaak_f32 v11, v0, v14, 0x3c225098
	s_mov_b32 s2, 0xc4865a6f
	v_mov_b32_e32 v10, v2
	v_fmaak_f32 v16, v0, v16, 0x3548bc5b
	s_delay_alu instid0(VALU_DEP_3) | instskip(SKIP_3) | instid1(VALU_DEP_3)
	v_fmac_f32_e32 v15, v0, v11
	v_fmaak_f32 v11, s2, v8, 0x418129a8
	v_mul_f32_e32 v3, 0x3fb8aa3b, v12
	s_mov_b32 s2, 0xc6212162
	v_mul_f32_e32 v18, 0x3fb8aa3b, v15
	s_delay_alu instid0(VALU_DEP_3)
	v_fmamk_f32 v19, v7, 0x3fbf24af, v11
	v_lshlrev_b64 v[10:11], 2, v[9:10]
	v_fma_f32 v14, 0x3fb8aa3b, v12, -v3
	v_rndne_f32_e32 v17, v3
	v_rndne_f32_e32 v20, v18
	v_fmaak_f32 v8, s2, v8, 0x41a91699
	s_mov_b32 s2, 0x2b03e643
	v_add_co_u32 v10, vcc_lo, s6, v10
	v_add_co_ci_u32_e32 v11, vcc_lo, s7, v11, vcc_lo
	v_sub_f32_e32 v3, v3, v17
	v_cmp_ngt_f32_e32 vcc_lo, 0xc2ce8ed0, v12
	v_fmac_f32_e32 v14, 0x32a5705f, v12
	v_cvt_i32_f32_e32 v4, v17
	global_store_b32 v[10:11], v13, off
	v_cvt_i32_f32_e32 v13, v20
	v_add_f32_e32 v3, v3, v14
	v_fma_f32 v14, 0x3fb8aa3b, v15, -v18
	s_delay_alu instid0(VALU_DEP_2) | instskip(NEXT) | instid1(VALU_DEP_1)
	v_exp_f32_e32 v3, v3
	v_fmac_f32_e32 v14, 0x32a5705f, v15
	s_waitcnt_depctr 0xfff
	v_ldexp_f32 v11, v3, v4
	v_dual_fmaak_f32 v16, v0, v16, 0x3c2b6b48 :: v_dual_add_nc_u32 v3, s0, v9
	s_delay_alu instid0(VALU_DEP_2) | instskip(SKIP_1) | instid1(VALU_DEP_3)
	v_dual_mov_b32 v4, v2 :: v_dual_cndmask_b32 v11, 0, v11
	v_cmp_nlt_f32_e32 vcc_lo, 0x42b17218, v12
	v_fmac_f32_e32 v19, v0, v16
	s_delay_alu instid0(VALU_DEP_3) | instskip(NEXT) | instid1(VALU_DEP_1)
	v_dual_sub_f32 v16, v18, v20 :: v_dual_cndmask_b32 v11, 0x7f800000, v11
	v_dual_mul_f32 v18, 0x3fb8aa3b, v19 :: v_dual_add_f32 v5, v16, v14
	s_delay_alu instid0(VALU_DEP_1) | instskip(SKIP_1) | instid1(VALU_DEP_3)
	v_fma_f32 v6, 0x3fb8aa3b, v19, -v18
	v_rndne_f32_e32 v10, v18
	v_exp_f32_e32 v9, v5
	s_delay_alu instid0(VALU_DEP_1) | instskip(SKIP_2) | instid1(VALU_DEP_3)
	v_dual_fmac_f32 v6, 0x32a5705f, v19 :: v_dual_sub_f32 v5, v18, v10
	v_cvt_i32_f32_e32 v12, v10
	v_mov_b32_e32 v10, v2
	v_add_f32_e32 v6, v5, v6
	v_lshlrev_b64 v[4:5], 2, v[3:4]
	s_waitcnt_depctr 0xfff
	v_ldexp_f32 v9, v9, v13
	v_exp_f32_e32 v6, v6
	v_add_co_u32 v4, vcc_lo, s6, v4
	v_add_co_ci_u32_e32 v5, vcc_lo, s7, v5, vcc_lo
	v_cmp_ngt_f32_e32 vcc_lo, 0xc2ce8ed0, v15
	global_store_b32 v[4:5], v11, off
	v_ldexp_f32 v5, v6, v12
	v_cndmask_b32_e32 v13, 0, v9, vcc_lo
	v_cmp_nlt_f32_e32 vcc_lo, 0x42b17218, v15
	v_dual_mov_b32 v6, v2 :: v_dual_add_nc_u32 v9, s0, v3
	v_fmaak_f32 v11, s2, v0, 0xb0e06d89
	s_mov_b32 s2, 0x3c5510c5
	v_cndmask_b32_e32 v12, 0x7f800000, v13, vcc_lo
	v_cmp_ngt_f32_e32 vcc_lo, 0xc2ce8ed0, v19
	v_lshlrev_b64 v[3:4], 2, v[9:10]
	v_cndmask_b32_e32 v10, 0, v5, vcc_lo
	v_add_nc_u32_e32 v5, s0, v9
	s_delay_alu instid0(VALU_DEP_3) | instskip(NEXT) | instid1(VALU_DEP_4)
	v_add_co_u32 v2, vcc_lo, s6, v3
	v_add_co_ci_u32_e32 v3, vcc_lo, s7, v4, vcc_lo
	s_delay_alu instid0(VALU_DEP_3)
	v_lshlrev_b64 v[4:5], 2, v[5:6]
	v_cmp_nlt_f32_e32 vcc_lo, 0x42b17218, v19
                                        ; implicit-def: $vgpr9
	global_store_b32 v[2:3], v12, off
                                        ; implicit-def: $vgpr3
	v_cndmask_b32_e32 v6, 0x7f800000, v10, vcc_lo
	v_fmamk_f32 v10, v7, 0x3f86497a, v8
	v_add_co_u32 v4, vcc_lo, s6, v4
	v_add_co_ci_u32_e32 v5, vcc_lo, s7, v5, vcc_lo
                                        ; implicit-def: $vgpr8
                                        ; implicit-def: $vgpr7
	global_store_b32 v[4:5], v6, off
                                        ; implicit-def: $vgpr5_vgpr6
                                        ; implicit-def: $vgpr4
.LBB1_2:
	s_or_saveexec_b32 s1, s1
	v_dual_mov_b32 v12, s3 :: v_dual_mov_b32 v13, s2
	v_mov_b32_e32 v2, s0
	s_xor_b32 exec_lo, exec_lo, s1
	s_cbranch_execz .LBB1_4
; %bb.3:
	s_mov_b32 s3, 0x19f0e9d8
	v_sub_f32_e32 v4, 0xbee4b39f, v4
	v_fmaak_f32 v10, s3, v0, 0xa0e8edaa
	s_mov_b32 s3, 0x248d9e1b
	s_mov_b32 s2, 0x26904c99
	s_delay_alu instid0(VALU_DEP_2) | instskip(NEXT) | instid1(VALU_DEP_2)
	v_add_f32_e32 v12, v4, v9
	v_fmaak_f32 v10, v0, v10, 0x27420788
	s_delay_alu instid0(VALU_DEP_1) | instskip(NEXT) | instid1(VALU_DEP_1)
	v_dual_mov_b32 v4, 0 :: v_dual_fmaak_f32 v9, v0, v10, 0xad4b0d37
	v_dual_fmac_f32 v12, v0, v9 :: v_dual_fmaak_f32 v9, s3, v0, 0xab6afac3
	s_mov_b32 s3, 0xa69c2960
	s_delay_alu instid0(VALU_DEP_1) | instskip(NEXT) | instid1(VALU_DEP_1)
	v_mul_f32_e32 v13, 0x3fb8aa3b, v12
	v_fma_f32 v16, 0x3fb8aa3b, v12, -v13
	v_rndne_f32_e32 v17, v13
	v_fmaak_f32 v2, s2, v0, 0xad839fa2
	s_mov_b32 s2, 0x446d8a2c
	s_delay_alu instid0(SALU_CYCLE_1) | instskip(NEXT) | instid1(VALU_DEP_3)
	v_fmaak_f32 v11, s2, v8, 0xc04d1f1a
	v_dual_fmac_f32 v16, 0x32a5705f, v12 :: v_dual_sub_f32 v13, v13, v17
	s_delay_alu instid0(VALU_DEP_3) | instskip(SKIP_1) | instid1(VALU_DEP_3)
	v_fmaak_f32 v2, v0, v2, 0x33b2c336
	s_mov_b32 s2, 0xc6e44328
	v_fmamk_f32 v11, v7, 0x405595fb, v11
	v_cvt_i32_f32_e32 v17, v17
	s_delay_alu instid0(VALU_DEP_3) | instskip(SKIP_2) | instid1(VALU_DEP_2)
	v_dual_add_f32 v13, v13, v16 :: v_dual_fmaak_f32 v2, v0, v2, 0xb7cf3580
	v_fmaak_f32 v16, s3, v0, 0x2d998b25
	s_mov_b32 s3, 0xc734b79b
	v_exp_f32_e32 v13, v13
	s_delay_alu instid0(VALU_DEP_2) | instskip(SKIP_3) | instid1(VALU_DEP_3)
	v_dual_fmac_f32 v11, v0, v2 :: v_dual_fmaak_f32 v2, s2, v8, 0x4099194d
	s_mov_b32 s2, 0x44880ea6
	v_fmaak_f32 v16, v0, v16, 0xb407a4b7
	v_fmaak_f32 v18, s2, v8, 0x40ae80df
	v_cmp_ngt_f32_e32 vcc_lo, 0xc2ce8ed0, v11
	v_fmamk_f32 v2, v7, 0x40247164, v2
	s_mov_b32 s2, 0x26293585
	v_fmaak_f32 v16, v0, v16, 0x3a426429
	v_fmamk_f32 v18, v7, 0x4052151a, v18
	v_ldexp_f32 v13, v13, v17
	s_delay_alu instid0(VALU_DEP_2) | instskip(SKIP_1) | instid1(VALU_DEP_1)
	v_fmac_f32_e32 v18, v0, v16
	v_mul_f32_e32 v10, 0x3fb8aa3b, v11
	v_fma_f32 v14, 0x3fb8aa3b, v11, -v10
	v_rndne_f32_e32 v15, v10
	s_delay_alu instid0(VALU_DEP_2) | instskip(NEXT) | instid1(VALU_DEP_2)
	v_fmac_f32_e32 v14, 0x32a5705f, v11
	v_sub_f32_e32 v10, v10, v15
	v_cvt_i32_f32_e32 v15, v15
	s_delay_alu instid0(VALU_DEP_2) | instskip(NEXT) | instid1(VALU_DEP_1)
	v_add_f32_e32 v14, v10, v14
	v_exp_f32_e32 v14, v14
	s_waitcnt_depctr 0xfff
	v_ldexp_f32 v14, v14, v15
	s_delay_alu instid0(VALU_DEP_1) | instskip(NEXT) | instid1(VALU_DEP_1)
	v_dual_fmaak_f32 v9, v0, v9, 0x31f03917 :: v_dual_cndmask_b32 v14, 0, v14
	v_fmaak_f32 v9, v0, v9, 0xb8344d00
	s_delay_alu instid0(VALU_DEP_1) | instskip(SKIP_2) | instid1(VALU_DEP_3)
	v_fmac_f32_e32 v2, v0, v9
	v_lshlrev_b64 v[9:10], 2, v[3:4]
	v_add_nc_u32_e32 v3, s0, v3
	v_mul_f32_e32 v19, 0x3fb8aa3b, v2
	v_cmp_ngt_f32_e32 vcc_lo, 0xc2ce8ed0, v12
	s_delay_alu instid0(VALU_DEP_2) | instskip(SKIP_2) | instid1(VALU_DEP_3)
	v_rndne_f32_e32 v21, v19
	v_cndmask_b32_e32 v13, 0, v13, vcc_lo
	v_cmp_nlt_f32_e32 vcc_lo, 0x42b17218, v11
	v_sub_f32_e32 v15, v19, v21
	v_cndmask_b32_e32 v11, 0x7f800000, v14, vcc_lo
	v_cmp_nlt_f32_e32 vcc_lo, 0x42b17218, v12
	v_fma_f32 v20, 0x3fb8aa3b, v2, -v19
	v_cvt_i32_f32_e32 v14, v21
	global_store_b32 v[5:6], v11, off
	v_cndmask_b32_e32 v12, 0x7f800000, v13, vcc_lo
	v_add_co_u32 v9, vcc_lo, s6, v9
	v_add_co_ci_u32_e32 v10, vcc_lo, s7, v10, vcc_lo
	v_fmac_f32_e32 v20, 0x32a5705f, v2
	v_cmp_ngt_f32_e32 vcc_lo, 0xc2ce8ed0, v2
	global_store_b32 v[9:10], v12, off
	v_fmaak_f32 v9, s2, v0, 0xad00ee31
	s_mov_b32 s2, 0xc5712a83
	v_add_f32_e32 v15, v15, v20
	v_fmaak_f32 v12, s2, v8, 0x408f4118
	s_mov_b32 s2, 0x26726737
	v_fmaak_f32 v9, v0, v9, 0x32b51ca8
	s_delay_alu instid0(VALU_DEP_3) | instskip(NEXT) | instid1(VALU_DEP_2)
	v_exp_f32_e32 v13, v15
	v_fmamk_f32 v12, v7, 0x4045f1df, v12
	s_delay_alu instid0(VALU_DEP_2) | instskip(NEXT) | instid1(VALU_DEP_1)
	v_fmaak_f32 v9, v0, v9, 0x398fc47f
	v_dual_fmac_f32 v12, v0, v9 :: v_dual_fmaak_f32 v9, s2, v0, 0xad0e43db
	s_mov_b32 s2, 0x46ea6898
	s_waitcnt_depctr 0xfff
	v_ldexp_f32 v6, v13, v14
	v_fmaak_f32 v14, s2, v8, 0x409eefc8
	s_mov_b32 s2, 0xa61b8339
	s_delay_alu instid0(VALU_DEP_2) | instskip(NEXT) | instid1(VALU_DEP_2)
	v_dual_fmaak_f32 v9, v0, v9, 0xb2eae537 :: v_dual_cndmask_b32 v6, 0, v6
	v_fmamk_f32 v14, v7, 0x40422cef, v14
	v_cmp_nlt_f32_e32 vcc_lo, 0x42b17218, v2
	s_delay_alu instid0(VALU_DEP_3) | instskip(SKIP_2) | instid1(VALU_DEP_3)
	v_fmaak_f32 v9, v0, v9, 0x3a8eaaa0
	v_mul_f32_e32 v13, 0x3fb8aa3b, v12
	v_cndmask_b32_e32 v2, 0x7f800000, v6, vcc_lo
	v_fmac_f32_e32 v14, v0, v9
	s_delay_alu instid0(VALU_DEP_3) | instskip(SKIP_1) | instid1(VALU_DEP_3)
	v_fma_f32 v15, 0x3fb8aa3b, v12, -v13
	v_rndne_f32_e32 v16, v13
	v_mul_f32_e32 v9, 0x3fb8aa3b, v14
	v_mul_f32_e32 v5, 0x3fb8aa3b, v18
	s_delay_alu instid0(VALU_DEP_4) | instskip(NEXT) | instid1(VALU_DEP_2)
	v_fmac_f32_e32 v15, 0x32a5705f, v12
	v_fma_f32 v10, 0x3fb8aa3b, v18, -v5
	v_rndne_f32_e32 v11, v5
	s_delay_alu instid0(VALU_DEP_1) | instskip(SKIP_1) | instid1(VALU_DEP_2)
	v_dual_fmac_f32 v10, 0x32a5705f, v18 :: v_dual_sub_f32 v5, v5, v11
	v_cvt_i32_f32_e32 v11, v11
	v_add_f32_e32 v10, v5, v10
	v_lshlrev_b64 v[5:6], 2, v[3:4]
	v_add_nc_u32_e32 v3, s0, v3
	s_delay_alu instid0(VALU_DEP_3) | instskip(NEXT) | instid1(VALU_DEP_2)
	v_exp_f32_e32 v10, v10
	v_add_co_u32 v5, vcc_lo, s6, v5
	s_delay_alu instid0(VALU_DEP_3)
	v_add_co_ci_u32_e32 v6, vcc_lo, s7, v6, vcc_lo
	v_cmp_ngt_f32_e32 vcc_lo, 0xc2ce8ed0, v18
	global_store_b32 v[5:6], v2, off
	v_sub_f32_e32 v5, v13, v16
	v_ldexp_f32 v2, v10, v11
	v_fma_f32 v11, 0x3fb8aa3b, v14, -v9
	v_rndne_f32_e32 v13, v9
	s_delay_alu instid0(VALU_DEP_4) | instskip(SKIP_1) | instid1(VALU_DEP_4)
	v_add_f32_e32 v10, v5, v15
	v_lshlrev_b64 v[5:6], 2, v[3:4]
	v_fmac_f32_e32 v11, 0x32a5705f, v14
	s_delay_alu instid0(VALU_DEP_4) | instskip(NEXT) | instid1(VALU_DEP_4)
	v_dual_sub_f32 v9, v9, v13 :: v_dual_cndmask_b32 v2, 0, v2
	v_exp_f32_e32 v10, v10
	v_cmp_nlt_f32_e32 vcc_lo, 0x42b17218, v18
	v_cvt_i32_f32_e32 v15, v16
	s_delay_alu instid0(VALU_DEP_3)
	v_add_f32_e32 v9, v9, v11
	v_fmaak_f32 v11, s2, v0, 0x2d277ca9
	s_mov_b32 s2, 0xc2dfb6a3
	v_cndmask_b32_e32 v2, 0x7f800000, v2, vcc_lo
	v_add_co_u32 v5, vcc_lo, s6, v5
	v_add_co_ci_u32_e32 v6, vcc_lo, s7, v6, vcc_lo
	s_delay_alu instid0(TRANS32_DEP_1)
	v_ldexp_f32 v10, v10, v15
	v_add_nc_u32_e32 v3, s0, v3
	v_exp_f32_e32 v15, v9
	v_fmaak_f32 v9, s2, v8, 0x40723f1d
	v_cmp_ngt_f32_e32 vcc_lo, 0xc2ce8ed0, v12
	v_cvt_i32_f32_e32 v13, v13
	s_mov_b32 s2, 0xa6cf75b5
	v_fmaak_f32 v11, v0, v11, 0xb3e2cb8b
	v_dual_fmamk_f32 v17, v7, 0x40808cfe, v9 :: v_dual_cndmask_b32 v16, 0, v10
	v_lshlrev_b64 v[9:10], 2, v[3:4]
	v_cmp_nlt_f32_e32 vcc_lo, 0x42b17218, v12
	s_delay_alu instid0(TRANS32_DEP_1)
	v_ldexp_f32 v12, v15, v13
	v_fmaak_f32 v11, v0, v11, 0x3a92c9f2
	v_add_nc_u32_e32 v3, s0, v3
	v_cndmask_b32_e32 v16, 0x7f800000, v16, vcc_lo
	v_add_co_u32 v9, vcc_lo, s6, v9
	v_add_co_ci_u32_e32 v10, vcc_lo, s7, v10, vcc_lo
	v_cmp_ngt_f32_e32 vcc_lo, 0xc2ce8ed0, v14
	v_fmac_f32_e32 v17, v0, v11
	s_clause 0x1
	global_store_b32 v[5:6], v2, off
	global_store_b32 v[9:10], v16, off
	v_cndmask_b32_e32 v13, 0, v12, vcc_lo
	v_fmaak_f32 v12, s2, v0, 0x2e080a86
	s_mov_b32 s2, 0x468b8b93
	v_mul_f32_e32 v11, 0x3fb8aa3b, v17
	v_fmaak_f32 v19, s2, v8, 0x403aa24f
	v_cmp_nlt_f32_e32 vcc_lo, 0x42b17218, v14
	v_fmaak_f32 v12, v0, v12, 0xb4aa223a
	s_mov_b32 s2, 0x267dc1d4
	v_fma_f32 v15, 0x3fb8aa3b, v17, -v11
	v_fmamk_f32 v19, v7, 0x408547b4, v19
	v_rndne_f32_e32 v18, v11
	v_fmaak_f32 v21, v0, v12, 0x3b20d5f2
	v_cndmask_b32_e32 v13, 0x7f800000, v13, vcc_lo
	v_fmaak_f32 v9, s2, v0, 0xad3f9725
	s_mov_b32 s2, 0xc78ab238
	s_delay_alu instid0(VALU_DEP_3)
	v_dual_sub_f32 v20, v11, v18 :: v_dual_fmac_f32 v19, v0, v21
	v_lshlrev_b64 v[11:12], 2, v[3:4]
	v_cvt_i32_f32_e32 v6, v18
	v_fmaak_f32 v9, v0, v9, 0x32cecbe4
	v_add_nc_u32_e32 v3, s0, v3
	v_mul_f32_e32 v5, 0x3fb8aa3b, v19
	v_add_co_u32 v11, vcc_lo, s6, v11
	v_add_co_ci_u32_e32 v12, vcc_lo, s7, v12, vcc_lo
	s_delay_alu instid0(VALU_DEP_3)
	v_fma_f32 v10, 0x3fb8aa3b, v19, -v5
	v_fmac_f32_e32 v15, 0x32a5705f, v17
	v_cmp_ngt_f32_e32 vcc_lo, 0xc2ce8ed0, v17
	global_store_b32 v[11:12], v13, off
	v_fmaak_f32 v12, s2, v8, 0x40af84f5
	v_fmac_f32_e32 v10, 0x32a5705f, v19
	v_add_f32_e32 v14, v20, v15
	v_rndne_f32_e32 v11, v5
	s_mov_b32 s2, 0xa68745a0
	v_fmamk_f32 v12, v7, 0x403838c4, v12
	v_fmaak_f32 v13, s2, v0, 0x2dbeb6b0
	v_exp_f32_e32 v2, v14
	v_sub_f32_e32 v5, v5, v11
	v_cvt_i32_f32_e32 v11, v11
	s_mov_b32 s2, 0xa6f4ca9c
	v_fmaak_f32 v14, s3, v8, 0x40c57a6a
	v_fmaak_f32 v13, v0, v13, 0xb47c2405
	s_mov_b32 s3, 0xc2ffaa40
	s_waitcnt_depctr 0xfff
	v_ldexp_f32 v2, v2, v6
	v_dual_fmaak_f32 v6, v0, v9, 0x39fe84ea :: v_dual_add_f32 v9, v5, v10
	s_delay_alu instid0(VALU_DEP_2) | instskip(NEXT) | instid1(VALU_DEP_2)
	v_dual_fmaak_f32 v13, v0, v13, 0x3aefa018 :: v_dual_cndmask_b32 v2, 0, v2
	v_fmac_f32_e32 v12, v0, v6
	v_lshlrev_b64 v[5:6], 2, v[3:4]
	v_cmp_nlt_f32_e32 vcc_lo, 0x42b17218, v17
	v_exp_f32_e32 v9, v9
	s_delay_alu instid0(VALU_DEP_3) | instskip(SKIP_1) | instid1(VALU_DEP_4)
	v_dual_mul_f32 v10, 0x3fb8aa3b, v12 :: v_dual_add_nc_u32 v3, s0, v3
	v_cndmask_b32_e32 v2, 0x7f800000, v2, vcc_lo
	v_add_co_u32 v5, vcc_lo, s6, v5
	v_add_co_ci_u32_e32 v6, vcc_lo, s7, v6, vcc_lo
	s_delay_alu instid0(VALU_DEP_4)
	v_fma_f32 v15, 0x3fb8aa3b, v12, -v10
	v_rndne_f32_e32 v16, v10
	v_cmp_ngt_f32_e32 vcc_lo, 0xc2ce8ed0, v19
	global_store_b32 v[5:6], v2, off
	v_ldexp_f32 v2, v9, v11
	v_fmac_f32_e32 v15, 0x32a5705f, v12
	s_delay_alu instid0(VALU_DEP_2) | instskip(SKIP_1) | instid1(VALU_DEP_2)
	v_dual_sub_f32 v5, v10, v16 :: v_dual_cndmask_b32 v2, 0, v2
	v_cmp_nlt_f32_e32 vcc_lo, 0x42b17218, v19
	v_add_f32_e32 v9, v5, v15
	v_lshlrev_b64 v[5:6], 2, v[3:4]
	v_cvt_i32_f32_e32 v15, v16
	v_fmaak_f32 v16, s2, v0, 0x2e192a07
	s_mov_b32 s2, 0xc746ee00
	v_cndmask_b32_e32 v2, 0x7f800000, v2, vcc_lo
	v_fmaak_f32 v17, s2, v8, 0x410a0627
	v_add_co_u32 v5, vcc_lo, s6, v5
	s_mov_b32 s2, 0xa7284f63
	v_add_co_ci_u32_e32 v6, vcc_lo, s7, v6, vcc_lo
	v_fmaak_f32 v18, s2, v0, 0x2e5a521b
	s_mov_b32 s2, 0xc6830f2b
	v_exp_f32_e32 v9, v9
	v_fmaak_f32 v19, s2, v8, 0x4107ae60
	s_mov_b32 s2, 0xa7b769fd
	global_store_b32 v[5:6], v2, off
	v_fmaak_f32 v6, s2, v0, 0x2ee01a7b
	v_fmaak_f32 v16, v0, v16, 0xb4b40605
	v_cmp_ngt_f32_e32 vcc_lo, 0xc2ce8ed0, v12
	v_dual_fmaak_f32 v18, v0, v18, 0xb505a47d :: v_dual_add_nc_u32 v3, s0, v3
	s_delay_alu instid0(VALU_DEP_4)
	v_fmaak_f32 v6, v0, v6, 0xb5803deb
	v_ldexp_f32 v9, v9, v15
	v_fmamk_f32 v15, v7, 0x4012b0c2, v17
	v_fmamk_f32 v19, v7, 0x40124933, v19
	v_fmaak_f32 v18, v0, v18, 0x3b6d3cb0
	v_fmaak_f32 v6, v0, v6, 0x3bdb65b4
	v_fmamk_f32 v14, v7, 0x4037f146, v14
	s_mov_b32 s2, 0x4613f161
	s_delay_alu instid0(VALU_DEP_3) | instskip(NEXT) | instid1(VALU_DEP_1)
	v_fmac_f32_e32 v19, v0, v18
	v_dual_fmac_f32 v14, v0, v13 :: v_dual_mul_f32 v5, 0x3fb8aa3b, v19
	s_delay_alu instid0(VALU_DEP_1) | instskip(NEXT) | instid1(VALU_DEP_1)
	v_mul_f32_e32 v10, 0x3fb8aa3b, v14
	v_fma_f32 v11, 0x3fb8aa3b, v14, -v10
	v_rndne_f32_e32 v13, v10
	s_delay_alu instid0(VALU_DEP_1) | instskip(NEXT) | instid1(VALU_DEP_1)
	v_dual_fmac_f32 v11, 0x32a5705f, v14 :: v_dual_sub_f32 v10, v10, v13
	v_dual_add_f32 v10, v10, v11 :: v_dual_fmaak_f32 v11, v0, v16, 0x3b189068
	v_cndmask_b32_e32 v16, 0, v9, vcc_lo
	v_cmp_nlt_f32_e32 vcc_lo, 0x42b17218, v12
	s_delay_alu instid0(VALU_DEP_3) | instskip(NEXT) | instid1(VALU_DEP_3)
	v_exp_f32_e32 v17, v10
	v_fmac_f32_e32 v15, v0, v11
	v_cvt_i32_f32_e32 v11, v13
	v_lshlrev_b64 v[9:10], 2, v[3:4]
	v_cndmask_b32_e32 v16, 0x7f800000, v16, vcc_lo
	v_add_nc_u32_e32 v3, s0, v3
	v_mul_f32_e32 v12, 0x3fb8aa3b, v15
	s_delay_alu instid0(VALU_DEP_4) | instskip(NEXT) | instid1(TRANS32_DEP_1)
	v_add_co_u32 v9, vcc_lo, s6, v9
	v_ldexp_f32 v11, v17, v11
	s_delay_alu instid0(VALU_DEP_3) | instskip(SKIP_3) | instid1(VALU_DEP_3)
	v_fma_f32 v13, 0x3fb8aa3b, v15, -v12
	v_rndne_f32_e32 v17, v12
	v_add_co_ci_u32_e32 v10, vcc_lo, s7, v10, vcc_lo
	v_cmp_ngt_f32_e32 vcc_lo, 0xc2ce8ed0, v14
	v_dual_fmac_f32 v13, 0x32a5705f, v15 :: v_dual_sub_f32 v12, v12, v17
	global_store_b32 v[9:10], v16, off
	v_fma_f32 v9, 0x3fb8aa3b, v19, -v5
	v_cndmask_b32_e32 v20, 0, v11, vcc_lo
	v_cmp_nlt_f32_e32 vcc_lo, 0x42b17218, v14
	v_add_f32_e32 v13, v12, v13
	v_lshlrev_b64 v[11:12], 2, v[3:4]
	v_rndne_f32_e32 v10, v5
	v_cvt_i32_f32_e32 v2, v17
	v_cndmask_b32_e32 v14, 0x7f800000, v20, vcc_lo
	v_exp_f32_e32 v13, v13
	v_fmac_f32_e32 v9, 0x32a5705f, v19
	v_add_co_u32 v11, vcc_lo, s6, v11
	v_add_co_ci_u32_e32 v12, vcc_lo, s7, v12, vcc_lo
	v_sub_f32_e32 v5, v5, v10
	v_add_nc_u32_e32 v3, s0, v3
	v_cmp_ngt_f32_e32 vcc_lo, 0xc2ce8ed0, v15
	global_store_b32 v[11:12], v14, off
	v_fmaak_f32 v11, s2, v8, 0x41937fa1
	s_mov_b32 s2, 0xa692be5f
	v_ldexp_f32 v2, v13, v2
	v_fmaak_f32 v12, s2, v0, 0x2da8a172
	s_mov_b32 s2, 0x465d1f7d
	v_fmamk_f32 v11, v7, 0x3d994bbe, v11
	v_dual_add_f32 v9, v5, v9 :: v_dual_fmaak_f32 v14, s2, v8, 0x40fa32b1
	s_delay_alu instid0(VALU_DEP_3) | instskip(SKIP_1) | instid1(VALU_DEP_4)
	v_fmaak_f32 v12, v0, v12, 0xb432bf31
	v_cndmask_b32_e32 v2, 0, v2, vcc_lo
	v_fmac_f32_e32 v11, v0, v6
	v_lshlrev_b64 v[5:6], 2, v[3:4]
	v_cmp_nlt_f32_e32 vcc_lo, 0x42b17218, v15
	v_exp_f32_e32 v9, v9
	v_fmamk_f32 v14, v7, 0x402dc59a, v14
	v_mul_f32_e32 v13, 0x3fb8aa3b, v11
	v_fmaak_f32 v12, v0, v12, 0x3a872b78
	v_cndmask_b32_e32 v2, 0x7f800000, v2, vcc_lo
	v_add_co_u32 v5, vcc_lo, s6, v5
	v_add_co_ci_u32_e32 v6, vcc_lo, s7, v6, vcc_lo
	v_cvt_i32_f32_e32 v10, v10
	v_fma_f32 v15, 0x3fb8aa3b, v11, -v13
	v_rndne_f32_e32 v16, v13
	v_fmac_f32_e32 v14, v0, v12
	global_store_b32 v[5:6], v2, off
	v_ldexp_f32 v2, v9, v10
	v_fmac_f32_e32 v15, 0x32a5705f, v11
	v_sub_f32_e32 v5, v13, v16
	v_mul_f32_e32 v9, 0x3fb8aa3b, v14
	v_add_nc_u32_e32 v3, s0, v3
	v_cmp_ngt_f32_e32 vcc_lo, 0xc2ce8ed0, v19
	s_mov_b32 s2, 0xa72a1614
	v_add_f32_e32 v10, v5, v15
	v_fma_f32 v12, 0x3fb8aa3b, v14, -v9
	v_rndne_f32_e32 v13, v9
	v_lshlrev_b64 v[5:6], 2, v[3:4]
	v_cndmask_b32_e32 v2, 0, v2, vcc_lo
	v_exp_f32_e32 v10, v10
	s_delay_alu instid0(VALU_DEP_3)
	v_dual_fmac_f32 v12, 0x32a5705f, v14 :: v_dual_sub_f32 v9, v9, v13
	v_cmp_nlt_f32_e32 vcc_lo, 0x42b17218, v19
	v_cvt_i32_f32_e32 v15, v16
	v_add_nc_u32_e32 v3, s0, v3
	v_cvt_i32_f32_e32 v13, v13
	v_dual_add_f32 v9, v9, v12 :: v_dual_cndmask_b32 v2, 0x7f800000, v2
	v_add_co_u32 v5, vcc_lo, s6, v5
	v_fmaak_f32 v12, s2, v0, 0x2e3fdc76
	s_mov_b32 s2, 0x473e772a
	v_add_co_ci_u32_e32 v6, vcc_lo, s7, v6, vcc_lo
	v_ldexp_f32 v10, v10, v15
	v_exp_f32_e32 v15, v9
	v_fmaak_f32 v9, s2, v8, 0x40116285
	v_cmp_ngt_f32_e32 vcc_lo, 0xc2ce8ed0, v11
	s_mov_b32 s2, 0xa740377e
	v_fmaak_f32 v12, v0, v12, 0xb4c62d9f
	s_delay_alu instid0(VALU_DEP_3) | instskip(SKIP_2) | instid1(TRANS32_DEP_1)
	v_dual_fmamk_f32 v17, v7, 0x4076e0a1, v9 :: v_dual_cndmask_b32 v16, 0, v10
	v_lshlrev_b64 v[9:10], 2, v[3:4]
	v_cmp_nlt_f32_e32 vcc_lo, 0x42b17218, v11
	v_ldexp_f32 v11, v15, v13
	v_dual_fmaak_f32 v12, v0, v12, 0x3b10a66c :: v_dual_add_nc_u32 v3, s0, v3
	v_cndmask_b32_e32 v16, 0x7f800000, v16, vcc_lo
	v_add_co_u32 v9, vcc_lo, s6, v9
	v_add_co_ci_u32_e32 v10, vcc_lo, s7, v10, vcc_lo
	v_cmp_ngt_f32_e32 vcc_lo, 0xc2ce8ed0, v14
	v_fmac_f32_e32 v17, v0, v12
	s_clause 0x1
	global_store_b32 v[5:6], v2, off
	global_store_b32 v[9:10], v16, off
	v_cndmask_b32_e32 v13, 0, v11, vcc_lo
	v_fmaak_f32 v11, s2, v0, 0x2e57ee19
	s_mov_b32 s2, 0xc57abeb1
	v_mul_f32_e32 v12, 0x3fb8aa3b, v17
	v_fmaak_f32 v19, s2, v8, 0x411cc605
	v_cmp_nlt_f32_e32 vcc_lo, 0x42b17218, v14
	v_fmaak_f32 v11, v0, v11, 0xb4de4e2d
	s_mov_b32 s2, 0xa79f38a6
	v_fma_f32 v15, 0x3fb8aa3b, v17, -v12
	v_fmamk_f32 v19, v7, 0x40316b4e, v19
	v_rndne_f32_e32 v18, v12
	v_fmaak_f32 v21, v0, v11, 0x3b226df4
	v_cndmask_b32_e32 v13, 0x7f800000, v13, vcc_lo
	v_fmaak_f32 v9, s2, v0, 0x2eb86d4e
	s_mov_b32 s2, 0x465aaf54
	v_sub_f32_e32 v20, v12, v18
	v_fmac_f32_e32 v19, v0, v21
	v_lshlrev_b64 v[11:12], 2, v[3:4]
	v_cvt_i32_f32_e32 v6, v18
	v_fmaak_f32 v9, v0, v9, 0xb545dcfe
	v_add_nc_u32_e32 v3, s0, v3
	v_mul_f32_e32 v5, 0x3fb8aa3b, v19
	v_add_co_u32 v11, vcc_lo, s6, v11
	v_add_co_ci_u32_e32 v12, vcc_lo, s7, v12, vcc_lo
	s_delay_alu instid0(VALU_DEP_3)
	v_fma_f32 v10, 0x3fb8aa3b, v19, -v5
	v_fmac_f32_e32 v15, 0x32a5705f, v17
	v_cmp_ngt_f32_e32 vcc_lo, 0xc2ce8ed0, v17
	global_store_b32 v[11:12], v13, off
	v_fmaak_f32 v12, s2, v8, 0x415a804d
	v_fmac_f32_e32 v10, 0x32a5705f, v19
	v_add_f32_e32 v14, v20, v15
	v_rndne_f32_e32 v11, v5
	s_mov_b32 s2, 0xa6983ae3
	v_fmamk_f32 v12, v7, 0x3fe15e4b, v12
	v_fmaak_f32 v13, s2, v0, 0x2e10909f
	v_exp_f32_e32 v2, v14
	v_dual_sub_f32 v5, v5, v11 :: v_dual_fmaak_f32 v14, s3, v8, 0x403b7e28
	v_cvt_i32_f32_e32 v11, v11
	s_delay_alu instid0(VALU_DEP_3) | instskip(SKIP_1) | instid1(VALU_DEP_3)
	v_fmaak_f32 v13, v0, v13, 0xb4edb071
	s_mov_b32 s2, 0xa7022611
	v_fmamk_f32 v14, v7, 0x407154c5, v14
	s_delay_alu instid0(VALU_DEP_2) | instskip(SKIP_4) | instid1(VALU_DEP_3)
	v_fmaak_f32 v13, v0, v13, 0x3b80f774
	s_waitcnt_depctr 0xfff
	v_ldexp_f32 v2, v2, v6
	v_dual_fmaak_f32 v6, v0, v9, 0x3b96bb9a :: v_dual_add_f32 v9, v5, v10
	v_fmac_f32_e32 v14, v0, v13
	v_cndmask_b32_e32 v2, 0, v2, vcc_lo
	s_delay_alu instid0(VALU_DEP_3) | instskip(SKIP_3) | instid1(VALU_DEP_3)
	v_fmac_f32_e32 v12, v0, v6
	v_lshlrev_b64 v[5:6], 2, v[3:4]
	v_cmp_nlt_f32_e32 vcc_lo, 0x42b17218, v17
	v_exp_f32_e32 v9, v9
	v_dual_mul_f32 v10, 0x3fb8aa3b, v12 :: v_dual_add_nc_u32 v3, s0, v3
	v_cndmask_b32_e32 v2, 0x7f800000, v2, vcc_lo
	s_delay_alu instid0(VALU_DEP_4) | instskip(SKIP_1) | instid1(VALU_DEP_4)
	v_add_co_u32 v5, vcc_lo, s6, v5
	v_add_co_ci_u32_e32 v6, vcc_lo, s7, v6, vcc_lo
	v_fma_f32 v15, 0x3fb8aa3b, v12, -v10
	v_rndne_f32_e32 v16, v10
	v_cmp_ngt_f32_e32 vcc_lo, 0xc2ce8ed0, v19
	global_store_b32 v[5:6], v2, off
	v_ldexp_f32 v2, v9, v11
	v_fmac_f32_e32 v15, 0x32a5705f, v12
	v_dual_sub_f32 v5, v10, v16 :: v_dual_mul_f32 v10, 0x3fb8aa3b, v14
	s_delay_alu instid0(VALU_DEP_3) | instskip(SKIP_1) | instid1(VALU_DEP_3)
	v_cndmask_b32_e32 v2, 0, v2, vcc_lo
	v_cmp_nlt_f32_e32 vcc_lo, 0x42b17218, v19
	v_add_f32_e32 v9, v5, v15
	s_delay_alu instid0(VALU_DEP_4)
	v_fma_f32 v11, 0x3fb8aa3b, v14, -v10
	v_rndne_f32_e32 v13, v10
	v_cvt_i32_f32_e32 v15, v16
	v_fmaak_f32 v16, s2, v0, 0x2e2b4ef2
	v_exp_f32_e32 v9, v9
	s_mov_b32 s2, 0xc6caa000
	v_dual_fmac_f32 v11, 0x32a5705f, v14 :: v_dual_sub_f32 v10, v10, v13
	v_fmaak_f32 v17, s2, v8, 0xbf9d79db
	v_fmaak_f32 v16, v0, v16, 0xb4d453ed
	v_lshlrev_b64 v[5:6], 2, v[3:4]
	v_cndmask_b32_e32 v2, 0x7f800000, v2, vcc_lo
	v_add_f32_e32 v10, v10, v11
	v_add_nc_u32_e32 v3, s0, v3
	s_delay_alu instid0(TRANS32_DEP_1)
	v_ldexp_f32 v9, v9, v15
	v_fmamk_f32 v15, v7, 0x4084b8e4, v17
	v_fmaak_f32 v11, v0, v16, 0x3b435a16
	v_add_co_u32 v5, vcc_lo, s6, v5
	v_add_co_ci_u32_e32 v6, vcc_lo, s7, v6, vcc_lo
	v_cmp_ngt_f32_e32 vcc_lo, 0xc2ce8ed0, v12
	v_exp_f32_e32 v17, v10
	v_fmac_f32_e32 v15, v0, v11
	s_mov_b32 s2, 0xa656890b
	v_cvt_i32_f32_e32 v11, v13
	v_fmaak_f32 v18, s2, v0, 0x2dbaa4f4
	v_cndmask_b32_e32 v16, 0, v9, vcc_lo
	v_cmp_nlt_f32_e32 vcc_lo, 0x42b17218, v12
	v_mul_f32_e32 v12, 0x3fb8aa3b, v15
	v_lshlrev_b64 v[9:10], 2, v[3:4]
	s_mov_b32 s2, 0xc73cbcb0
	v_fmaak_f32 v18, v0, v18, 0xb491dbe5
	v_fmaak_f32 v19, s2, v8, 0x3f23e693
	v_ldexp_f32 v11, v17, v11
	v_fma_f32 v13, 0x3fb8aa3b, v15, -v12
	v_rndne_f32_e32 v17, v12
	v_cndmask_b32_e32 v16, 0x7f800000, v16, vcc_lo
	v_add_co_u32 v9, vcc_lo, s6, v9
	v_fmamk_f32 v19, v7, 0x4088e5a8, v19
	v_fmaak_f32 v18, v0, v18, 0x3b1bda92
	v_add_co_ci_u32_e32 v10, vcc_lo, s7, v10, vcc_lo
	v_add_nc_u32_e32 v3, s0, v3
	v_dual_fmac_f32 v13, 0x32a5705f, v15 :: v_dual_sub_f32 v12, v12, v17
	v_cmp_ngt_f32_e32 vcc_lo, 0xc2ce8ed0, v14
	v_fmac_f32_e32 v19, v0, v18
	s_mov_b32 s2, 0xa79b64ba
	s_clause 0x1
	global_store_b32 v[5:6], v2, off
	global_store_b32 v[9:10], v16, off
	v_dual_add_f32 v13, v12, v13 :: v_dual_cndmask_b32 v20, 0, v11
	v_lshlrev_b64 v[11:12], 2, v[3:4]
	v_cmp_nlt_f32_e32 vcc_lo, 0x42b17218, v14
	v_mul_f32_e32 v18, 0x3fb8aa3b, v19
	v_fmaak_f32 v6, s2, v0, 0x2eba7bb3
	s_mov_b32 s2, 0xc70734e0
	v_exp_f32_e32 v13, v13
	v_cndmask_b32_e32 v14, 0x7f800000, v20, vcc_lo
	v_add_co_u32 v11, vcc_lo, s6, v11
	v_add_co_ci_u32_e32 v12, vcc_lo, s7, v12, vcc_lo
	v_fma_f32 v5, 0x3fb8aa3b, v19, -v18
	v_rndne_f32_e32 v9, v18
	v_fmaak_f32 v6, v0, v6, 0xb5516aa0
	global_store_b32 v[11:12], v14, off
	v_fmaak_f32 v11, s2, v8, 0x40f931c2
	v_dual_fmac_f32 v5, 0x32a5705f, v19 :: v_dual_sub_f32 v10, v18, v9
	v_fmaak_f32 v12, v0, v6, 0x3ba9401f
	s_mov_b32 s2, 0xa7e273b0
	s_delay_alu instid0(VALU_DEP_3) | instskip(SKIP_3) | instid1(VALU_DEP_4)
	v_fmamk_f32 v11, v7, 0x40411202, v11
	v_cvt_i32_f32_e32 v2, v17
	v_dual_add_f32 v10, v10, v5 :: v_dual_add_nc_u32 v3, s0, v3
	v_cmp_ngt_f32_e32 vcc_lo, 0xc2ce8ed0, v15
	v_fmac_f32_e32 v11, v0, v12
	v_fmaak_f32 v12, s2, v0, 0x2f06e4f9
	s_delay_alu instid0(VALU_DEP_4)
	v_exp_f32_e32 v10, v10
	v_ldexp_f32 v2, v13, v2
	v_cvt_i32_f32_e32 v9, v9
	s_mov_b32 s2, 0xc59a5f17
	v_mul_f32_e32 v13, 0x3fb8aa3b, v11
	v_fmaak_f32 v12, v0, v12, 0xb5961e1a
	v_fmaak_f32 v14, s2, v8, 0x4124e2cb
	v_lshlrev_b64 v[5:6], 2, v[3:4]
	v_cndmask_b32_e32 v2, 0, v2, vcc_lo
	v_cmp_nlt_f32_e32 vcc_lo, 0x42b17218, v15
	v_ldexp_f32 v9, v10, v9
	v_fma_f32 v15, 0x3fb8aa3b, v11, -v13
	v_fmaak_f32 v10, v0, v12, 0x3beff353
	v_rndne_f32_e32 v12, v13
	v_fmamk_f32 v14, v7, 0x40024fa5, v14
	v_cndmask_b32_e32 v2, 0x7f800000, v2, vcc_lo
	v_add_co_u32 v5, vcc_lo, s6, v5
	v_fmac_f32_e32 v15, 0x32a5705f, v11
	v_sub_f32_e32 v13, v13, v12
	v_add_co_ci_u32_e32 v6, vcc_lo, s7, v6, vcc_lo
	v_cmp_ngt_f32_e32 vcc_lo, 0xc2ce8ed0, v19
	v_fmac_f32_e32 v14, v0, v10
	s_mov_b32 s2, 0xa806c900
	v_add_f32_e32 v13, v13, v15
	v_fmaak_f32 v15, s2, v0, 0x2f208b7f
	v_cndmask_b32_e32 v9, 0, v9, vcc_lo
	v_add_nc_u32_e32 v3, s0, v3
	v_cmp_nlt_f32_e32 vcc_lo, 0x42b17218, v19
	v_mul_f32_e32 v17, 0x3fb8aa3b, v14
	s_mov_b32 s2, 0xc648e614
	v_fmaak_f32 v15, v0, v15, 0xb5b28e4a
	v_fmaak_f32 v20, s2, v8, 0x41576622
	v_cndmask_b32_e32 v16, 0x7f800000, v9, vcc_lo
	v_lshlrev_b64 v[9:10], 2, v[3:4]
	v_fma_f32 v18, 0x3fb8aa3b, v14, -v17
	v_rndne_f32_e32 v19, v17
	v_exp_f32_e32 v13, v13
	v_fmamk_f32 v20, v7, 0x3ffa322e, v20
	v_fmaak_f32 v15, v0, v15, 0x3c0e84b9
	s_delay_alu instid0(VALU_DEP_3)
	v_dual_fmac_f32 v18, 0x32a5705f, v14 :: v_dual_sub_f32 v17, v17, v19
	v_add_co_u32 v9, vcc_lo, s6, v9
	v_cvt_i32_f32_e32 v12, v12
	v_add_co_ci_u32_e32 v10, vcc_lo, s7, v10, vcc_lo
	v_fmac_f32_e32 v20, v0, v15
	global_store_b32 v[5:6], v2, off
	v_add_f32_e32 v2, v17, v18
	v_ldexp_f32 v5, v13, v12
	v_add_nc_u32_e32 v3, s0, v3
	v_cmp_ngt_f32_e32 vcc_lo, 0xc2ce8ed0, v11
	global_store_b32 v[9:10], v16, off
	v_mul_f32_e32 v9, 0x3fb8aa3b, v20
	v_exp_f32_e32 v2, v2
	v_cvt_i32_f32_e32 v12, v19
	v_cndmask_b32_e32 v10, 0, v5, vcc_lo
	v_lshlrev_b64 v[5:6], 2, v[3:4]
	v_cmp_nlt_f32_e32 vcc_lo, 0x42b17218, v11
	v_fma_f32 v13, 0x3fb8aa3b, v20, -v9
	v_rndne_f32_e32 v15, v9
	v_add_nc_u32_e32 v3, s0, v3
	s_mov_b32 s2, 0xa82b23af
	v_cndmask_b32_e32 v11, 0x7f800000, v10, vcc_lo
	v_add_co_u32 v5, vcc_lo, s6, v5
	v_fmac_f32_e32 v13, 0x32a5705f, v20
	v_sub_f32_e32 v9, v9, v15
	v_add_co_ci_u32_e32 v6, vcc_lo, s7, v6, vcc_lo
	v_ldexp_f32 v2, v2, v12
	v_cmp_ngt_f32_e32 vcc_lo, 0xc2ce8ed0, v14
	s_delay_alu instid0(VALU_DEP_4)
	v_dual_add_f32 v12, v9, v13 :: v_dual_fmaak_f32 v13, s2, v0, 0x2f4adef3
	v_lshlrev_b64 v[9:10], 2, v[3:4]
	s_mov_b32 s2, 0x46328993
	v_cndmask_b32_e32 v2, 0, v2, vcc_lo
	v_cmp_nlt_f32_e32 vcc_lo, 0x42b17218, v14
	v_fmaak_f32 v14, s2, v8, 0x4171d98b
	v_fmaak_f32 v13, v0, v13, 0xb5e044df
	s_mov_b32 s2, 0xa68bd922
	v_exp_f32_e32 v12, v12
	v_cndmask_b32_e32 v2, 0x7f800000, v2, vcc_lo
	v_add_co_u32 v9, vcc_lo, s6, v9
	v_add_co_ci_u32_e32 v10, vcc_lo, s7, v10, vcc_lo
	v_fmamk_f32 v14, v7, 0x3f89336a, v14
	v_fmaak_f32 v13, v0, v13, 0x3c31a54e
	s_clause 0x1
	global_store_b32 v[5:6], v11, off
	global_store_b32 v[9:10], v2, off
	v_fmaak_f32 v5, s2, v0, 0x2dd1d4c8
	s_mov_b32 s2, 0xc696fe6e
	v_cvt_i32_f32_e32 v15, v15
	v_dual_fmac_f32 v14, v0, v13 :: v_dual_fmaak_f32 v9, s2, v8, 0xc07b895f
	s_delay_alu instid0(VALU_DEP_3) | instskip(SKIP_1) | instid1(VALU_DEP_3)
	v_fmaak_f32 v5, v0, v5, 0xb48e9475
	s_mov_b32 s2, 0xa78f2f71
	v_ldexp_f32 v2, v12, v15
	s_delay_alu instid0(VALU_DEP_3)
	v_mul_f32_e32 v6, 0x3fb8aa3b, v14
	v_fmamk_f32 v12, v7, 0x40b41a43, v9
	v_fmaak_f32 v5, v0, v5, 0x3b05de51
	v_fmaak_f32 v9, s2, v0, 0x2ea93476
	s_mov_b32 s2, 0x45ebf86d
	v_fma_f32 v10, 0x3fb8aa3b, v14, -v6
	v_rndne_f32_e32 v11, v6
	v_dual_fmac_f32 v12, v0, v5 :: v_dual_fmaak_f32 v5, s2, v8, 0x3f21daf4
	s_delay_alu instid0(VALU_DEP_3) | instskip(NEXT) | instid1(VALU_DEP_3)
	v_dual_fmac_f32 v10, 0x32a5705f, v14 :: v_dual_add_nc_u32 v3, s0, v3
	v_sub_f32_e32 v6, v6, v11
	v_cmp_ngt_f32_e32 vcc_lo, 0xc2ce8ed0, v20
	v_fmaak_f32 v9, v0, v9, 0xb53a891f
	v_mul_f32_e32 v13, 0x3fb8aa3b, v12
	s_delay_alu instid0(VALU_DEP_4)
	v_dual_fmamk_f32 v15, v7, 0x40905c8c, v5 :: v_dual_add_f32 v10, v6, v10
	v_lshlrev_b64 v[5:6], 2, v[3:4]
	v_cndmask_b32_e32 v2, 0, v2, vcc_lo
	v_cmp_nlt_f32_e32 vcc_lo, 0x42b17218, v20
	v_fmaak_f32 v9, v0, v9, 0x3b9383d3
	v_fma_f32 v16, 0x3fb8aa3b, v12, -v13
	v_rndne_f32_e32 v17, v13
	v_exp_f32_e32 v10, v10
	v_cndmask_b32_e32 v2, 0x7f800000, v2, vcc_lo
	v_add_co_u32 v5, vcc_lo, s6, v5
	v_fmac_f32_e32 v15, v0, v9
	v_add_co_ci_u32_e32 v6, vcc_lo, s7, v6, vcc_lo
	v_cvt_i32_f32_e32 v9, v11
	v_dual_fmac_f32 v16, 0x32a5705f, v12 :: v_dual_sub_f32 v11, v13, v17
	s_delay_alu instid0(VALU_DEP_4)
	v_mul_f32_e32 v13, 0x3fb8aa3b, v15
	global_store_b32 v[5:6], v2, off
	v_add_nc_u32_e32 v3, s0, v3
	v_ldexp_f32 v2, v10, v9
	v_add_f32_e32 v5, v11, v16
	v_cmp_ngt_f32_e32 vcc_lo, 0xc2ce8ed0, v14
	v_fma_f32 v9, 0x3fb8aa3b, v15, -v13
	v_rndne_f32_e32 v11, v13
	s_mov_b32 s2, 0xa69ccc6e
	v_exp_f32_e32 v10, v5
	v_lshlrev_b64 v[5:6], 2, v[3:4]
	v_cndmask_b32_e32 v2, 0, v2, vcc_lo
	v_cmp_nlt_f32_e32 vcc_lo, 0x42b17218, v14
	v_fmac_f32_e32 v9, 0x32a5705f, v15
	v_sub_f32_e32 v13, v13, v11
	v_cvt_i32_f32_e32 v14, v17
	v_add_nc_u32_e32 v3, s0, v3
	v_cndmask_b32_e32 v2, 0x7f800000, v2, vcc_lo
	v_add_co_u32 v5, vcc_lo, s6, v5
	v_add_co_ci_u32_e32 v6, vcc_lo, s7, v6, vcc_lo
	v_add_f32_e32 v9, v13, v9
	v_ldexp_f32 v10, v10, v14
	v_cmp_ngt_f32_e32 vcc_lo, 0xc2ce8ed0, v12
	v_fmaak_f32 v16, s2, v0, 0x2e152da0
	s_mov_b32 s2, 0xc3f52930
	v_exp_f32_e32 v13, v9
	v_cvt_i32_f32_e32 v11, v11
	v_cndmask_b32_e32 v14, 0, v10, vcc_lo
	v_lshlrev_b64 v[9:10], 2, v[3:4]
	v_cmp_nlt_f32_e32 vcc_lo, 0x42b17218, v12
	v_fmaak_f32 v17, s2, v8, 0xc0a106dd
	v_fmaak_f32 v16, v0, v16, 0xb4f57ed0
	s_mov_b32 s2, 0xa713a9dd
	v_add_nc_u32_e32 v3, s0, v3
	v_cndmask_b32_e32 v12, 0x7f800000, v14, vcc_lo
	v_add_co_u32 v9, vcc_lo, s6, v9
	v_add_co_ci_u32_e32 v10, vcc_lo, s7, v10, vcc_lo
	v_ldexp_f32 v11, v13, v11
	v_fmamk_f32 v13, v7, 0x40bf38b0, v17
	v_fmaak_f32 v14, v0, v16, 0x3b85362c
	s_clause 0x1
	global_store_b32 v[5:6], v2, off
	global_store_b32 v[9:10], v12, off
	v_fmaak_f32 v5, s2, v0, 0x2e7a9672
	v_cmp_ngt_f32_e32 vcc_lo, 0xc2ce8ed0, v15
	s_mov_b32 s2, 0x46b0823e
	s_delay_alu instid0(SALU_CYCLE_1) | instskip(NEXT) | instid1(VALU_DEP_3)
	v_dual_fmac_f32 v13, v0, v14 :: v_dual_fmaak_f32 v12, s2, v8, 0xc05ec54b
	v_fmaak_f32 v14, v0, v5, 0xb53d1503
	v_lshlrev_b64 v[5:6], 2, v[3:4]
	v_cndmask_b32_e32 v11, 0, v11, vcc_lo
	v_cmp_nlt_f32_e32 vcc_lo, 0x42b17218, v15
	v_fmamk_f32 v12, v7, 0x40acee7a, v12
	v_fmaak_f32 v14, v0, v14, 0x3bc01213
	s_mov_b32 s2, 0xa7a2c8fd
	v_add_nc_u32_e32 v3, s0, v3
	v_cndmask_b32_e32 v9, 0x7f800000, v11, vcc_lo
	v_add_co_u32 v5, vcc_lo, s6, v5
	v_add_co_ci_u32_e32 v6, vcc_lo, s7, v6, vcc_lo
	v_fmac_f32_e32 v12, v0, v14
	v_mul_f32_e32 v2, 0x3fb8aa3b, v13
	v_cmp_ngt_f32_e32 vcc_lo, 0xc2ce8ed0, v13
	global_store_b32 v[5:6], v9, off
	v_mul_f32_e32 v9, 0x3fb8aa3b, v12
	v_fma_f32 v10, 0x3fb8aa3b, v13, -v2
	v_rndne_f32_e32 v11, v2
	s_delay_alu instid0(VALU_DEP_3) | instskip(NEXT) | instid1(VALU_DEP_3)
	v_rndne_f32_e32 v15, v9
	v_fmac_f32_e32 v10, 0x32a5705f, v13
	s_delay_alu instid0(VALU_DEP_3) | instskip(NEXT) | instid1(VALU_DEP_1)
	v_sub_f32_e32 v2, v2, v11
	v_add_f32_e32 v2, v2, v10
	v_fmaak_f32 v10, s2, v0, 0x2ecb0ece
	s_mov_b32 s2, 0xc68894e6
	s_delay_alu instid0(SALU_CYCLE_1) | instskip(SKIP_1) | instid1(VALU_DEP_2)
	v_fmaak_f32 v5, s2, v8, 0xc133e388
	s_mov_b32 s2, 0xa707b11a
	v_fmaak_f32 v6, v0, v10, 0xb57e0967
	v_cvt_i32_f32_e32 v10, v11
	v_exp_f32_e32 v2, v2
	v_fmamk_f32 v11, v7, 0x40d00674, v5
	v_fmaak_f32 v14, s2, v0, 0x2e842965
	v_fmaak_f32 v5, v0, v6, 0x3beab247
	v_fma_f32 v6, 0x3fb8aa3b, v12, -v9
	s_mov_b32 s2, 0x4466e480
	s_delay_alu instid0(VALU_DEP_3) | instskip(NEXT) | instid1(VALU_DEP_3)
	v_dual_sub_f32 v9, v9, v15 :: v_dual_fmaak_f32 v14, v0, v14, 0xb55d7469
	v_fmac_f32_e32 v11, v0, v5
	v_fmaak_f32 v5, s2, v8, 0xc155037b
	v_fmac_f32_e32 v6, 0x32a5705f, v12
	v_ldexp_f32 v2, v2, v10
	s_mov_b32 s2, 0xc5f941ca
	v_mul_f32_e32 v16, 0x3fb8aa3b, v11
	v_fmamk_f32 v18, v7, 0x40d76ea6, v5
	v_fmaak_f32 v5, v0, v14, 0x3bf4421c
	v_add_f32_e32 v6, v9, v6
	v_cndmask_b32_e32 v2, 0, v2, vcc_lo
	v_fma_f32 v9, 0x3fb8aa3b, v11, -v16
	v_rndne_f32_e32 v10, v16
	v_fmac_f32_e32 v18, v0, v5
	v_exp_f32_e32 v14, v6
	v_cmp_nlt_f32_e32 vcc_lo, 0x42b17218, v13
	v_fmac_f32_e32 v9, 0x32a5705f, v11
	v_sub_f32_e32 v5, v16, v10
	v_mul_f32_e32 v16, 0x3fb8aa3b, v18
	v_cvt_i32_f32_e32 v10, v10
	v_cndmask_b32_e32 v19, 0x7f800000, v2, vcc_lo
	v_cvt_i32_f32_e32 v2, v15
	v_add_f32_e32 v9, v5, v9
	v_lshlrev_b64 v[5:6], 2, v[3:4]
	v_fma_f32 v13, 0x3fb8aa3b, v18, -v16
	v_rndne_f32_e32 v15, v16
	v_ldexp_f32 v2, v14, v2
	v_exp_f32_e32 v9, v9
	v_add_nc_u32_e32 v3, s0, v3
	v_add_co_u32 v5, vcc_lo, s6, v5
	v_add_co_ci_u32_e32 v6, vcc_lo, s7, v6, vcc_lo
	v_cmp_ngt_f32_e32 vcc_lo, 0xc2ce8ed0, v12
	v_dual_fmac_f32 v13, 0x32a5705f, v18 :: v_dual_sub_f32 v14, v16, v15
	v_cndmask_b32_e32 v2, 0, v2, vcc_lo
	v_cmp_nlt_f32_e32 vcc_lo, 0x42b17218, v12
	s_delay_alu instid0(VALU_DEP_3) | instskip(NEXT) | instid1(TRANS32_DEP_1)
	v_add_f32_e32 v13, v14, v13
	v_ldexp_f32 v14, v9, v10
	v_lshlrev_b64 v[9:10], 2, v[3:4]
	v_add_nc_u32_e32 v3, s0, v3
	v_cndmask_b32_e32 v20, 0x7f800000, v2, vcc_lo
	v_cmp_ngt_f32_e32 vcc_lo, 0xc2ce8ed0, v11
	v_exp_f32_e32 v2, v13
	v_cvt_i32_f32_e32 v13, v15
	v_cndmask_b32_e32 v12, 0, v14, vcc_lo
	v_add_co_u32 v14, vcc_lo, s6, v9
	v_add_co_ci_u32_e32 v15, vcc_lo, s7, v10, vcc_lo
	v_cmp_nlt_f32_e32 vcc_lo, 0x42b17218, v11
	v_lshlrev_b64 v[9:10], 2, v[3:4]
	s_delay_alu instid0(TRANS32_DEP_1)
	v_ldexp_f32 v2, v2, v13
	v_add_nc_u32_e32 v3, s0, v3
	v_mov_b32_e32 v13, 0x3c035476
	v_cndmask_b32_e32 v21, 0x7f800000, v12, vcc_lo
	v_cmp_ngt_f32_e32 vcc_lo, 0xc2ce8ed0, v18
	v_dual_mov_b32 v12, 0xb56bddc9 :: v_dual_cndmask_b32 v11, 0, v2
	v_add_co_u32 v16, vcc_lo, s6, v9
	v_add_co_ci_u32_e32 v17, vcc_lo, s7, v10, vcc_lo
	v_lshlrev_b64 v[2:3], 2, v[3:4]
	v_cmp_nlt_f32_e32 vcc_lo, 0x42b17218, v18
	v_fmaak_f32 v10, s2, v8, 0xc1783ea8
	s_mov_b32 s2, 0xa70c0488
	v_cndmask_b32_e32 v4, 0x7f800000, v11, vcc_lo
	s_delay_alu instid0(VALU_DEP_4) | instskip(NEXT) | instid1(VALU_DEP_3)
	v_add_co_u32 v8, vcc_lo, s6, v2
	v_fmamk_f32 v10, v7, 0x40f6b641, v10
	v_fmaak_f32 v11, s2, v0, 0x2e8b111f
	v_mov_b32_e32 v2, s0
	v_add_co_ci_u32_e32 v9, vcc_lo, s7, v3, vcc_lo
	s_clause 0x3
	global_store_b32 v[5:6], v19, off
	global_store_b32 v[14:15], v20, off
	;; [unrolled: 1-line block ×4, first 2 shown]
.LBB1_4:
	s_or_b32 exec_lo, exec_lo, s1
	v_fmac_f32_e32 v12, v0, v11
	s_delay_alu instid0(VALU_DEP_1) | instskip(NEXT) | instid1(VALU_DEP_1)
	v_fmac_f32_e32 v13, v0, v12
	v_fmac_f32_e32 v10, v0, v13
	s_delay_alu instid0(VALU_DEP_1) | instskip(SKIP_1) | instid1(VALU_DEP_2)
	v_mul_f32_e32 v0, 0x3fb8aa3b, v10
	v_cmp_ngt_f32_e32 vcc_lo, 0xc2ce8ed0, v10
	v_fma_f32 v3, 0x3fb8aa3b, v10, -v0
	v_rndne_f32_e32 v4, v0
	s_delay_alu instid0(VALU_DEP_1) | instskip(SKIP_1) | instid1(VALU_DEP_2)
	v_dual_fmamk_f32 v3, v10, 0x32a5705f, v3 :: v_dual_sub_f32 v0, v0, v4
	v_cvt_i32_f32_e32 v5, v4
	v_add_f32_e32 v0, v0, v3
	v_mad_u64_u32 v[3:4], null, v2, 30, v[1:2]
	v_mov_b32_e32 v4, 0
	s_delay_alu instid0(VALU_DEP_3) | instskip(SKIP_2) | instid1(VALU_DEP_1)
	v_exp_f32_e32 v0, v0
	s_waitcnt_depctr 0xfff
	v_ldexp_f32 v0, v0, v5
	v_cndmask_b32_e32 v2, 0, v0, vcc_lo
	v_lshlrev_b64 v[0:1], 2, v[3:4]
	v_cmp_nlt_f32_e32 vcc_lo, 0x42b17218, v10
	s_delay_alu instid0(VALU_DEP_3) | instskip(NEXT) | instid1(VALU_DEP_3)
	v_cndmask_b32_e32 v2, 0x7f800000, v2, vcc_lo
	v_add_co_u32 v0, vcc_lo, s6, v0
	s_delay_alu instid0(VALU_DEP_4)
	v_add_co_ci_u32_e32 v1, vcc_lo, s7, v1, vcc_lo
	global_store_b32 v[0:1], v2, off
	s_nop 0
	s_sendmsg sendmsg(MSG_DEALLOC_VGPRS)
	s_endpgm
	.section	.rodata,"a",@progbits
	.p2align	6, 0x0
	.amdhsa_kernel _Z12rdsmh_kernelIfEvPKT_PS0_S0_
		.amdhsa_group_segment_fixed_size 0
		.amdhsa_private_segment_fixed_size 0
		.amdhsa_kernarg_size 280
		.amdhsa_user_sgpr_count 15
		.amdhsa_user_sgpr_dispatch_ptr 0
		.amdhsa_user_sgpr_queue_ptr 0
		.amdhsa_user_sgpr_kernarg_segment_ptr 1
		.amdhsa_user_sgpr_dispatch_id 0
		.amdhsa_user_sgpr_private_segment_size 0
		.amdhsa_wavefront_size32 1
		.amdhsa_uses_dynamic_stack 0
		.amdhsa_enable_private_segment 0
		.amdhsa_system_sgpr_workgroup_id_x 1
		.amdhsa_system_sgpr_workgroup_id_y 0
		.amdhsa_system_sgpr_workgroup_id_z 0
		.amdhsa_system_sgpr_workgroup_info 0
		.amdhsa_system_vgpr_workitem_id 0
		.amdhsa_next_free_vgpr 23
		.amdhsa_next_free_sgpr 16
		.amdhsa_reserve_vcc 1
		.amdhsa_float_round_mode_32 0
		.amdhsa_float_round_mode_16_64 0
		.amdhsa_float_denorm_mode_32 3
		.amdhsa_float_denorm_mode_16_64 3
		.amdhsa_dx10_clamp 1
		.amdhsa_ieee_mode 1
		.amdhsa_fp16_overflow 0
		.amdhsa_workgroup_processor_mode 1
		.amdhsa_memory_ordered 1
		.amdhsa_forward_progress 0
		.amdhsa_shared_vgpr_count 0
		.amdhsa_exception_fp_ieee_invalid_op 0
		.amdhsa_exception_fp_denorm_src 0
		.amdhsa_exception_fp_ieee_div_zero 0
		.amdhsa_exception_fp_ieee_overflow 0
		.amdhsa_exception_fp_ieee_underflow 0
		.amdhsa_exception_fp_ieee_inexact 0
		.amdhsa_exception_int_div_zero 0
	.end_amdhsa_kernel
	.section	.text._Z12rdsmh_kernelIfEvPKT_PS0_S0_,"axG",@progbits,_Z12rdsmh_kernelIfEvPKT_PS0_S0_,comdat
.Lfunc_end1:
	.size	_Z12rdsmh_kernelIfEvPKT_PS0_S0_, .Lfunc_end1-_Z12rdsmh_kernelIfEvPKT_PS0_S0_
                                        ; -- End function
	.section	.AMDGPU.csdata,"",@progbits
; Kernel info:
; codeLenInByte = 12136
; NumSgprs: 18
; NumVgprs: 23
; ScratchSize: 0
; MemoryBound: 0
; FloatMode: 240
; IeeeMode: 1
; LDSByteSize: 0 bytes/workgroup (compile time only)
; SGPRBlocks: 2
; VGPRBlocks: 2
; NumSGPRsForWavesPerEU: 18
; NumVGPRsForWavesPerEU: 23
; Occupancy: 16
; WaveLimiterHint : 0
; COMPUTE_PGM_RSRC2:SCRATCH_EN: 0
; COMPUTE_PGM_RSRC2:USER_SGPR: 15
; COMPUTE_PGM_RSRC2:TRAP_HANDLER: 0
; COMPUTE_PGM_RSRC2:TGID_X_EN: 1
; COMPUTE_PGM_RSRC2:TGID_Y_EN: 0
; COMPUTE_PGM_RSRC2:TGID_Z_EN: 0
; COMPUTE_PGM_RSRC2:TIDIG_COMP_CNT: 0
	.section	.text._Z7gr_baseIfEvPKT_S2_S2_PS0_S0_S0_,"axG",@progbits,_Z7gr_baseIfEvPKT_S2_S2_PS0_S0_S0_,comdat
	.protected	_Z7gr_baseIfEvPKT_S2_S2_PS0_S0_S0_ ; -- Begin function _Z7gr_baseIfEvPKT_S2_S2_PS0_S0_S0_
	.globl	_Z7gr_baseIfEvPKT_S2_S2_PS0_S0_S0_
	.p2align	8
	.type	_Z7gr_baseIfEvPKT_S2_S2_PS0_S0_S0_,@function
_Z7gr_baseIfEvPKT_S2_S2_PS0_S0_S0_:     ; @_Z7gr_baseIfEvPKT_S2_S2_PS0_S0_S0_
; %bb.0:
	s_clause 0x3
	s_load_b32 s2, s[0:1], 0x34
	s_load_b256 s[4:11], s[0:1], 0x0
	s_load_b32 s3, s[0:1], 0x28
	s_load_b64 s[0:1], s[0:1], 0x20
	s_waitcnt lgkmcnt(0)
	s_and_b32 s2, s2, 0xffff
	s_delay_alu instid0(SALU_CYCLE_1) | instskip(SKIP_2) | instid1(VALU_DEP_1)
	v_mad_u64_u32 v[1:2], null, s15, s2, v[0:1]
	s_mul_i32 s2, s3, s2
	v_mov_b32_e32 v2, 0
	v_lshlrev_b64 v[3:4], 2, v[1:2]
	v_add_nc_u32_e32 v1, s2, v1
	s_delay_alu instid0(VALU_DEP_2) | instskip(NEXT) | instid1(VALU_DEP_3)
	v_add_co_u32 v5, vcc_lo, s8, v3
	v_add_co_ci_u32_e32 v6, vcc_lo, s9, v4, vcc_lo
	v_add_co_u32 v7, vcc_lo, s6, v3
	v_add_co_ci_u32_e32 v8, vcc_lo, s7, v4, vcc_lo
	global_load_b32 v17, v[5:6], off
	v_add_co_u32 v9, vcc_lo, s4, v3
	v_add_co_ci_u32_e32 v10, vcc_lo, s5, v4, vcc_lo
	global_load_b32 v18, v[7:8], off
	global_load_b32 v0, v[9:10], off
	v_lshlrev_b64 v[5:6], 2, v[1:2]
	v_add_co_u32 v3, vcc_lo, s10, v3
	v_add_co_ci_u32_e32 v4, vcc_lo, s11, v4, vcc_lo
	v_add_nc_u32_e32 v1, s2, v1
	s_delay_alu instid0(VALU_DEP_4) | instskip(SKIP_1) | instid1(VALU_DEP_3)
	v_add_co_u32 v11, vcc_lo, s8, v5
	v_add_co_ci_u32_e32 v12, vcc_lo, s9, v6, vcc_lo
	v_lshlrev_b64 v[7:8], 2, v[1:2]
	v_add_co_u32 v5, vcc_lo, s10, v5
	v_add_co_ci_u32_e32 v6, vcc_lo, s11, v6, vcc_lo
	v_add_nc_u32_e32 v1, s2, v1
	s_delay_alu instid0(VALU_DEP_4)
	v_add_co_u32 v9, vcc_lo, s8, v7
	v_add_co_ci_u32_e32 v10, vcc_lo, s9, v8, vcc_lo
	v_add_co_u32 v7, vcc_lo, s10, v7
	v_add_co_ci_u32_e32 v8, vcc_lo, s11, v8, vcc_lo
	s_waitcnt vmcnt(2)
	v_mul_f32_e32 v13, 0x3efdf9cf, v17
	v_fma_f32 v17, 0x3efdf9cf, v17, 0
	s_waitcnt vmcnt(1)
	v_mul_f32_e32 v18, s0, v18
	global_store_b32 v[3:4], v13, off
	global_load_b32 v19, v[11:12], off
	s_waitcnt vmcnt(0)
	v_dual_mul_f32 v0, s1, v0 :: v_dual_mul_f32 v11, 0x3f7df9cf, v19
	v_fmac_f32_e32 v17, 0x3f7df9cf, v19
	global_store_b32 v[5:6], v11, off
	global_load_b32 v20, v[9:10], off
	v_lshlrev_b64 v[9:10], 2, v[1:2]
	v_add_nc_u32_e32 v1, s2, v1
	s_delay_alu instid0(VALU_DEP_2) | instskip(NEXT) | instid1(VALU_DEP_3)
	v_add_co_u32 v11, vcc_lo, s8, v9
	v_add_co_ci_u32_e32 v12, vcc_lo, s9, v10, vcc_lo
	s_waitcnt vmcnt(0)
	v_mul_f32_e32 v13, 0x3d80013b, v20
	v_fmac_f32_e32 v17, 0x3d80013b, v20
	global_store_b32 v[7:8], v13, off
	global_load_b32 v21, v[11:12], off
	v_lshlrev_b64 v[11:12], 2, v[1:2]
	v_add_co_u32 v7, vcc_lo, s10, v9
	v_add_co_ci_u32_e32 v8, vcc_lo, s11, v10, vcc_lo
	v_add_nc_u32_e32 v1, s2, v1
	s_delay_alu instid0(VALU_DEP_4)
	v_add_co_u32 v9, vcc_lo, s8, v11
	v_add_co_ci_u32_e32 v10, vcc_lo, s9, v12, vcc_lo
	v_add_co_u32 v11, vcc_lo, s10, v11
	v_add_co_ci_u32_e32 v12, vcc_lo, s11, v12, vcc_lo
	s_waitcnt vmcnt(0)
	v_mul_f32_e32 v13, 0x3d00013a, v21
	v_fmac_f32_e32 v17, 0x3d00013a, v21
	global_store_b32 v[7:8], v13, off
	global_load_b32 v22, v[9:10], off
	v_lshlrev_b64 v[9:10], 2, v[1:2]
	v_add_nc_u32_e32 v1, s2, v1
	s_delay_alu instid0(VALU_DEP_2) | instskip(NEXT) | instid1(VALU_DEP_3)
	v_add_co_u32 v13, vcc_lo, s8, v9
	v_add_co_ci_u32_e32 v14, vcc_lo, s9, v10, vcc_lo
	v_add_co_u32 v9, vcc_lo, s10, v9
	v_add_co_ci_u32_e32 v10, vcc_lo, s11, v10, vcc_lo
	s_waitcnt vmcnt(0)
	v_mul_f32_e32 v15, 0x3d70d636, v22
	v_fmac_f32_e32 v17, 0x3d70d636, v22
	global_store_b32 v[11:12], v15, off
	global_load_b32 v47, v[13:14], off
	v_lshlrev_b64 v[11:12], 2, v[1:2]
	v_add_nc_u32_e32 v1, s2, v1
	s_delay_alu instid0(VALU_DEP_2) | instskip(NEXT) | instid1(VALU_DEP_3)
	;; [unrolled: 12-line block ×5, first 2 shown]
	v_add_co_u32 v25, vcc_lo, s8, v23
	v_add_co_ci_u32_e32 v26, vcc_lo, s9, v24, vcc_lo
	s_waitcnt vmcnt(0)
	v_mul_f32_e32 v27, 0x3d883707, v50
	v_fmac_f32_e32 v17, 0x3d883707, v50
	global_store_b32 v[15:16], v27, off
	global_load_b32 v51, v[25:26], off
	v_lshlrev_b64 v[25:26], 2, v[1:2]
	v_add_co_u32 v15, vcc_lo, s10, v23
	v_add_co_ci_u32_e32 v16, vcc_lo, s11, v24, vcc_lo
	v_add_nc_u32_e32 v1, s2, v1
	s_delay_alu instid0(VALU_DEP_4)
	v_add_co_u32 v23, vcc_lo, s8, v25
	v_add_co_ci_u32_e32 v24, vcc_lo, s9, v26, vcc_lo
	v_add_co_u32 v25, vcc_lo, s10, v25
	v_add_co_ci_u32_e32 v26, vcc_lo, s11, v26, vcc_lo
	s_waitcnt vmcnt(0)
	v_mul_f32_e32 v27, 0x3d7f5039, v51
	v_fmac_f32_e32 v17, 0x3d7f5039, v51
	global_store_b32 v[15:16], v27, off
	global_load_b32 v52, v[23:24], off
	v_lshlrev_b64 v[23:24], 2, v[1:2]
	v_add_nc_u32_e32 v1, s2, v1
	s_delay_alu instid0(VALU_DEP_2) | instskip(NEXT) | instid1(VALU_DEP_3)
	v_add_co_u32 v27, vcc_lo, s8, v23
	v_add_co_ci_u32_e32 v28, vcc_lo, s9, v24, vcc_lo
	v_add_co_u32 v23, vcc_lo, s10, v23
	v_add_co_ci_u32_e32 v24, vcc_lo, s11, v24, vcc_lo
	s_waitcnt vmcnt(0)
	v_mul_f32_e32 v29, 0x3d123b0a, v52
	v_fmac_f32_e32 v17, 0x3d123b0a, v52
	global_store_b32 v[25:26], v29, off
	global_load_b32 v53, v[27:28], off
	v_lshlrev_b64 v[27:28], 2, v[1:2]
	v_add_nc_u32_e32 v1, s2, v1
	s_delay_alu instid0(VALU_DEP_2) | instskip(NEXT) | instid1(VALU_DEP_3)
	;; [unrolled: 12-line block ×10, first 2 shown]
	v_add_co_u32 v43, vcc_lo, s8, v41
	v_add_co_ci_u32_e32 v44, vcc_lo, s9, v42, vcc_lo
	v_add_co_u32 v41, vcc_lo, s10, v41
	v_add_co_ci_u32_e32 v42, vcc_lo, s11, v42, vcc_lo
	s_waitcnt vmcnt(0)
	v_mul_f32_e32 v45, 0x3cc772c4, v61
	v_fmac_f32_e32 v17, 0x3cc772c4, v61
	global_store_b32 v[39:40], v45, off
	global_load_b32 v62, v[43:44], off
	v_lshlrev_b64 v[43:44], 2, v[1:2]
	s_delay_alu instid0(VALU_DEP_1) | instskip(NEXT) | instid1(VALU_DEP_2)
	v_add_co_u32 v45, vcc_lo, s8, v43
	v_add_co_ci_u32_e32 v46, vcc_lo, s9, v44, vcc_lo
	v_add_co_u32 v43, vcc_lo, s10, v43
	v_add_co_ci_u32_e32 v44, vcc_lo, s11, v44, vcc_lo
	s_waitcnt vmcnt(0)
	v_mul_f32_e32 v63, 0x3cc2abc2, v62
	v_fmac_f32_e32 v17, 0x3cc2abc2, v62
	global_store_b32 v[41:42], v63, off
	global_load_b32 v45, v[45:46], off
	s_waitcnt vmcnt(0)
	v_fmac_f32_e32 v17, 0x3d12373b, v45
	s_delay_alu instid0(VALU_DEP_1) | instskip(NEXT) | instid1(VALU_DEP_1)
	v_mul_f32_e32 v17, v18, v17
	v_mul_f32_e32 v17, 0x4c9e9632, v17
	s_delay_alu instid0(VALU_DEP_1) | instskip(SKIP_1) | instid1(VALU_DEP_2)
	v_div_scale_f32 v18, null, v17, v17, 1.0
	v_div_scale_f32 v21, vcc_lo, 1.0, v17, 1.0
	v_rcp_f32_e32 v19, v18
	s_waitcnt_depctr 0xfff
	v_fma_f32 v20, -v18, v19, 1.0
	s_delay_alu instid0(VALU_DEP_1) | instskip(SKIP_3) | instid1(VALU_DEP_1)
	v_dual_mul_f32 v46, 0x3d12373b, v45 :: v_dual_fmac_f32 v19, v20, v19
	global_store_b32 v[43:44], v46, off
	global_load_b32 v46, v[3:4], off
	v_mul_f32_e32 v20, v21, v19
	v_fma_f32 v22, -v18, v20, v21
	s_delay_alu instid0(VALU_DEP_1) | instskip(NEXT) | instid1(VALU_DEP_1)
	v_fmac_f32_e32 v20, v22, v19
	v_fma_f32 v18, -v18, v20, v21
	s_delay_alu instid0(VALU_DEP_1) | instskip(NEXT) | instid1(VALU_DEP_1)
	v_div_fmas_f32 v18, v18, v19, v20
	v_div_fixup_f32 v17, v18, v17, 1.0
	s_waitcnt vmcnt(0)
	s_delay_alu instid0(VALU_DEP_1) | instskip(NEXT) | instid1(VALU_DEP_1)
	v_dual_mul_f32 v17, v0, v17 :: v_dual_max_f32 v18, v46, v46
	v_max_f32_e32 v0, 0x800000, v18
	s_delay_alu instid0(VALU_DEP_1)
	v_mul_f32_e32 v0, v17, v0
	global_store_b32 v[3:4], v0, off
	global_load_b32 v0, v[5:6], off
	v_mad_u64_u32 v[3:4], null, 0xffffffed, s2, v[1:2]
	v_mov_b32_e32 v4, v2
	s_waitcnt vmcnt(0)
	v_max_f32_e32 v0, v0, v0
	s_delay_alu instid0(VALU_DEP_1) | instskip(NEXT) | instid1(VALU_DEP_3)
	v_max_f32_e32 v18, 0x800000, v0
	v_lshlrev_b64 v[0:1], 2, v[3:4]
	s_delay_alu instid0(VALU_DEP_2) | instskip(NEXT) | instid1(VALU_DEP_2)
	v_mul_f32_e32 v4, v17, v18
	v_add_co_u32 v0, vcc_lo, s10, v0
	s_delay_alu instid0(VALU_DEP_3) | instskip(SKIP_4) | instid1(VALU_DEP_1)
	v_add_co_ci_u32_e32 v1, vcc_lo, s11, v1, vcc_lo
	global_store_b32 v[5:6], v4, off
	global_load_b32 v4, v[0:1], off
	s_waitcnt vmcnt(0)
	v_max_f32_e32 v4, v4, v4
	v_max_f32_e32 v4, 0x800000, v4
	s_delay_alu instid0(VALU_DEP_1) | instskip(SKIP_3) | instid1(VALU_DEP_1)
	v_mul_f32_e32 v4, v17, v4
	global_store_b32 v[0:1], v4, off
	global_load_b32 v0, v[7:8], off
	v_lshl_add_u32 v1, s2, 1, v3
	v_lshlrev_b64 v[3:4], 2, v[1:2]
	v_lshl_add_u32 v1, s2, 2, v1
	s_delay_alu instid0(VALU_DEP_2) | instskip(NEXT) | instid1(VALU_DEP_3)
	v_add_co_u32 v3, vcc_lo, s10, v3
	v_add_co_ci_u32_e32 v4, vcc_lo, s11, v4, vcc_lo
	s_waitcnt vmcnt(0)
	v_max_f32_e32 v0, v0, v0
	s_delay_alu instid0(VALU_DEP_1) | instskip(NEXT) | instid1(VALU_DEP_1)
	v_max_f32_e32 v0, 0x800000, v0
	v_mul_f32_e32 v0, v17, v0
	global_store_b32 v[7:8], v0, off
	global_load_b32 v0, v[3:4], off
	s_waitcnt vmcnt(0)
	v_max_f32_e32 v0, v0, v0
	s_delay_alu instid0(VALU_DEP_1) | instskip(NEXT) | instid1(VALU_DEP_1)
	v_max_f32_e32 v0, 0x800000, v0
	v_mul_f32_e32 v0, v17, v0
	global_store_b32 v[3:4], v0, off
	global_load_b32 v0, v[9:10], off
	v_lshlrev_b64 v[3:4], 2, v[1:2]
	v_lshl_add_u32 v1, s2, 3, v1
	s_delay_alu instid0(VALU_DEP_2) | instskip(NEXT) | instid1(VALU_DEP_3)
	v_add_co_u32 v3, vcc_lo, s10, v3
	v_add_co_ci_u32_e32 v4, vcc_lo, s11, v4, vcc_lo
	s_waitcnt vmcnt(0)
	v_max_f32_e32 v0, v0, v0
	s_delay_alu instid0(VALU_DEP_1) | instskip(NEXT) | instid1(VALU_DEP_1)
	v_max_f32_e32 v0, 0x800000, v0
	v_mul_f32_e32 v0, v17, v0
	global_store_b32 v[9:10], v0, off
	global_load_b32 v0, v[11:12], off
	s_waitcnt vmcnt(0)
	v_max_f32_e32 v0, v0, v0
	s_delay_alu instid0(VALU_DEP_1) | instskip(NEXT) | instid1(VALU_DEP_1)
	v_max_f32_e32 v0, 0x800000, v0
	v_mul_f32_e32 v0, v17, v0
	global_store_b32 v[11:12], v0, off
	global_load_b32 v0, v[13:14], off
	;; [unrolled: 7-line block ×10, first 2 shown]
	s_waitcnt vmcnt(0)
	v_max_f32_e32 v0, v0, v0
	s_delay_alu instid0(VALU_DEP_1) | instskip(SKIP_1) | instid1(VALU_DEP_2)
	v_max_f32_e32 v3, 0x800000, v0
	v_lshlrev_b64 v[0:1], 2, v[1:2]
	v_mul_f32_e32 v2, v17, v3
	s_delay_alu instid0(VALU_DEP_2) | instskip(NEXT) | instid1(VALU_DEP_3)
	v_add_co_u32 v0, vcc_lo, s10, v0
	v_add_co_ci_u32_e32 v1, vcc_lo, s11, v1, vcc_lo
	global_store_b32 v[33:34], v2, off
	global_load_b32 v2, v[0:1], off
	s_waitcnt vmcnt(0)
	v_max_f32_e32 v2, v2, v2
	s_delay_alu instid0(VALU_DEP_1) | instskip(NEXT) | instid1(VALU_DEP_1)
	v_max_f32_e32 v2, 0x800000, v2
	v_mul_f32_e32 v2, v17, v2
	global_store_b32 v[0:1], v2, off
	global_load_b32 v0, v[37:38], off
	s_waitcnt vmcnt(0)
	v_max_f32_e32 v0, v0, v0
	s_delay_alu instid0(VALU_DEP_1) | instskip(NEXT) | instid1(VALU_DEP_1)
	v_max_f32_e32 v0, 0x800000, v0
	v_mul_f32_e32 v0, v17, v0
	;; [unrolled: 7-line block ×6, first 2 shown]
	global_store_b32 v[43:44], v0, off
	s_nop 0
	s_sendmsg sendmsg(MSG_DEALLOC_VGPRS)
	s_endpgm
	.section	.rodata,"a",@progbits
	.p2align	6, 0x0
	.amdhsa_kernel _Z7gr_baseIfEvPKT_S2_S2_PS0_S0_S0_
		.amdhsa_group_segment_fixed_size 0
		.amdhsa_private_segment_fixed_size 0
		.amdhsa_kernarg_size 296
		.amdhsa_user_sgpr_count 15
		.amdhsa_user_sgpr_dispatch_ptr 0
		.amdhsa_user_sgpr_queue_ptr 0
		.amdhsa_user_sgpr_kernarg_segment_ptr 1
		.amdhsa_user_sgpr_dispatch_id 0
		.amdhsa_user_sgpr_private_segment_size 0
		.amdhsa_wavefront_size32 1
		.amdhsa_uses_dynamic_stack 0
		.amdhsa_enable_private_segment 0
		.amdhsa_system_sgpr_workgroup_id_x 1
		.amdhsa_system_sgpr_workgroup_id_y 0
		.amdhsa_system_sgpr_workgroup_id_z 0
		.amdhsa_system_sgpr_workgroup_info 0
		.amdhsa_system_vgpr_workitem_id 0
		.amdhsa_next_free_vgpr 64
		.amdhsa_next_free_sgpr 16
		.amdhsa_reserve_vcc 1
		.amdhsa_float_round_mode_32 0
		.amdhsa_float_round_mode_16_64 0
		.amdhsa_float_denorm_mode_32 3
		.amdhsa_float_denorm_mode_16_64 3
		.amdhsa_dx10_clamp 1
		.amdhsa_ieee_mode 1
		.amdhsa_fp16_overflow 0
		.amdhsa_workgroup_processor_mode 1
		.amdhsa_memory_ordered 1
		.amdhsa_forward_progress 0
		.amdhsa_shared_vgpr_count 0
		.amdhsa_exception_fp_ieee_invalid_op 0
		.amdhsa_exception_fp_denorm_src 0
		.amdhsa_exception_fp_ieee_div_zero 0
		.amdhsa_exception_fp_ieee_overflow 0
		.amdhsa_exception_fp_ieee_underflow 0
		.amdhsa_exception_fp_ieee_inexact 0
		.amdhsa_exception_int_div_zero 0
	.end_amdhsa_kernel
	.section	.text._Z7gr_baseIfEvPKT_S2_S2_PS0_S0_S0_,"axG",@progbits,_Z7gr_baseIfEvPKT_S2_S2_PS0_S0_S0_,comdat
.Lfunc_end2:
	.size	_Z7gr_baseIfEvPKT_S2_S2_PS0_S0_S0_, .Lfunc_end2-_Z7gr_baseIfEvPKT_S2_S2_PS0_S0_S0_
                                        ; -- End function
	.section	.AMDGPU.csdata,"",@progbits
; Kernel info:
; codeLenInByte = 2940
; NumSgprs: 18
; NumVgprs: 64
; ScratchSize: 0
; MemoryBound: 0
; FloatMode: 240
; IeeeMode: 1
; LDSByteSize: 0 bytes/workgroup (compile time only)
; SGPRBlocks: 2
; VGPRBlocks: 7
; NumSGPRsForWavesPerEU: 18
; NumVGPRsForWavesPerEU: 64
; Occupancy: 16
; WaveLimiterHint : 0
; COMPUTE_PGM_RSRC2:SCRATCH_EN: 0
; COMPUTE_PGM_RSRC2:USER_SGPR: 15
; COMPUTE_PGM_RSRC2:TRAP_HANDLER: 0
; COMPUTE_PGM_RSRC2:TGID_X_EN: 1
; COMPUTE_PGM_RSRC2:TGID_Y_EN: 0
; COMPUTE_PGM_RSRC2:TGID_Z_EN: 0
; COMPUTE_PGM_RSRC2:TIDIG_COMP_CNT: 0
	.section	.text._Z12ratt2_kernelIfEvPKT_S2_PS0_S2_S0_,"axG",@progbits,_Z12ratt2_kernelIfEvPKT_S2_PS0_S2_S0_,comdat
	.protected	_Z12ratt2_kernelIfEvPKT_S2_PS0_S2_S0_ ; -- Begin function _Z12ratt2_kernelIfEvPKT_S2_PS0_S2_S0_
	.globl	_Z12ratt2_kernelIfEvPKT_S2_PS0_S2_S0_
	.p2align	8
	.type	_Z12ratt2_kernelIfEvPKT_S2_PS0_S2_S0_,@function
_Z12ratt2_kernelIfEvPKT_S2_PS0_S2_S0_:  ; @_Z12ratt2_kernelIfEvPKT_S2_PS0_S2_S0_
; %bb.0:
	s_clause 0x3
	s_load_b32 s2, s[0:1], 0x34
	s_load_b32 s3, s[0:1], 0x28
	s_load_b256 s[4:11], s[0:1], 0x0
	s_load_b32 s0, s[0:1], 0x20
	s_waitcnt lgkmcnt(0)
	s_and_b32 s2, s2, 0xffff
	s_delay_alu instid0(SALU_CYCLE_1) | instskip(SKIP_3) | instid1(VALU_DEP_2)
	v_mad_u64_u32 v[1:2], null, s15, s2, v[0:1]
	s_mul_i32 s3, s3, s2
	v_mov_b32_e32 v2, 0
	s_lshl_b32 s2, s3, 1
	v_add_nc_u32_e32 v5, s3, v1
	s_delay_alu instid0(VALU_DEP_2) | instskip(SKIP_1) | instid1(VALU_DEP_1)
	v_lshlrev_b64 v[3:4], 2, v[1:2]
	v_dual_mov_b32 v6, v2 :: v_dual_add_nc_u32 v1, s2, v1
	v_lshlrev_b64 v[7:8], 2, v[1:2]
	v_add_nc_u32_e32 v1, s2, v1
	s_delay_alu instid0(VALU_DEP_4) | instskip(SKIP_1) | instid1(VALU_DEP_3)
	v_add_co_u32 v9, vcc_lo, s4, v3
	v_add_co_ci_u32_e32 v10, vcc_lo, s5, v4, vcc_lo
	v_lshlrev_b64 v[11:12], 2, v[1:2]
	global_load_b32 v35, v[9:10], off
	v_add_co_u32 v9, vcc_lo, s10, v7
	v_add_co_ci_u32_e32 v10, vcc_lo, s11, v8, vcc_lo
	v_add_co_u32 v13, vcc_lo, s10, v11
	v_add_co_ci_u32_e32 v14, vcc_lo, s11, v12, vcc_lo
	s_clause 0x1
	global_load_b32 v45, v[9:10], off
	global_load_b32 v0, v[13:14], off
	v_lshlrev_b64 v[9:10], 2, v[5:6]
	v_add_co_u32 v13, vcc_lo, s10, v3
	v_add_co_ci_u32_e32 v14, vcc_lo, s11, v4, vcc_lo
	s_delay_alu instid0(VALU_DEP_3) | instskip(NEXT) | instid1(VALU_DEP_4)
	v_add_co_u32 v15, vcc_lo, s10, v9
	v_add_co_ci_u32_e32 v16, vcc_lo, s11, v10, vcc_lo
	s_clause 0x1
	global_load_b32 v47, v[13:14], off
	global_load_b32 v46, v[15:16], off
	s_waitcnt vmcnt(4)
	v_mul_f32_e32 v35, s0, v35
	s_delay_alu instid0(VALU_DEP_1) | instskip(NEXT) | instid1(VALU_DEP_1)
	v_mul_f32_e32 v75, 0x4c9e9632, v35
	v_div_scale_f32 v77, null, v75, v75, 1.0
	s_waitcnt vmcnt(2)
	v_mul_f32_e32 v76, v45, v0
	s_delay_alu instid0(VALU_DEP_2) | instskip(NEXT) | instid1(VALU_DEP_1)
	v_rcp_f32_e32 v79, v77
	v_div_scale_f32 v78, null, v76, v76, 1.0
	v_div_scale_f32 v82, s0, 1.0, v76, 1.0
	s_delay_alu instid0(VALU_DEP_2) | instskip(SKIP_2) | instid1(VALU_DEP_1)
	v_rcp_f32_e32 v80, v78
	s_waitcnt_depctr 0xfff
	v_fma_f32 v42, -v78, v80, 1.0
	v_dual_fmac_f32 v80, v42, v80 :: v_dual_add_nc_u32 v1, s3, v1
	s_delay_alu instid0(VALU_DEP_1)
	v_lshlrev_b64 v[17:18], 2, v[1:2]
	v_add_nc_u32_e32 v5, s2, v5
	v_add_nc_u32_e32 v1, s3, v1
	s_waitcnt vmcnt(1)
	v_div_scale_f32 v92, s2, 1.0, v47, 1.0
	v_mul_f32_e32 v84, v82, v80
	v_add_co_u32 v13, vcc_lo, s10, v17
	v_add_co_ci_u32_e32 v14, vcc_lo, s11, v18, vcc_lo
	v_lshlrev_b64 v[15:16], 2, v[5:6]
	global_load_b32 v48, v[13:14], off
	v_add_co_u32 v5, vcc_lo, s10, v15
	v_add_co_ci_u32_e32 v6, vcc_lo, s11, v16, vcc_lo
	global_load_b32 v49, v[5:6], off
	v_add_co_u32 v5, vcc_lo, s6, v3
	v_add_co_ci_u32_e32 v6, vcc_lo, s7, v4, vcc_lo
	v_lshlrev_b64 v[13:14], 2, v[1:2]
	v_add_nc_u32_e32 v1, s3, v1
	global_load_b32 v52, v[5:6], off
	v_add_co_u32 v5, vcc_lo, s10, v13
	v_add_co_ci_u32_e32 v6, vcc_lo, s11, v14, vcc_lo
	v_add_co_u32 v43, vcc_lo, s8, v3
	v_add_co_ci_u32_e32 v44, vcc_lo, s9, v4, vcc_lo
	global_load_b32 v50, v[5:6], off
	v_add_co_u32 v19, vcc_lo, s6, v9
	v_add_co_ci_u32_e32 v20, vcc_lo, s7, v10, vcc_lo
	v_add_co_u32 v5, vcc_lo, s8, v9
	v_add_co_ci_u32_e32 v6, vcc_lo, s9, v10, vcc_lo
	;; [unrolled: 2-line block ×4, first 2 shown]
	global_load_b32 v53, v[19:20], off
	v_add_co_u32 v19, vcc_lo, s6, v15
	v_add_co_ci_u32_e32 v20, vcc_lo, s7, v16, vcc_lo
	v_add_co_u32 v7, vcc_lo, s8, v15
	v_add_co_ci_u32_e32 v8, vcc_lo, s9, v16, vcc_lo
	v_add_co_u32 v29, vcc_lo, s6, v11
	v_add_co_ci_u32_e32 v30, vcc_lo, s7, v12, vcc_lo
	v_add_co_u32 v9, vcc_lo, s8, v11
	v_add_co_ci_u32_e32 v10, vcc_lo, s9, v12, vcc_lo
	v_add_co_u32 v31, vcc_lo, s6, v17
	v_add_co_ci_u32_e32 v32, vcc_lo, s7, v18, vcc_lo
	v_add_co_u32 v11, vcc_lo, s8, v17
	v_add_co_ci_u32_e32 v12, vcc_lo, s9, v18, vcc_lo
	v_lshlrev_b64 v[17:18], 2, v[1:2]
	v_add_co_u32 v36, vcc_lo, s6, v13
	v_add_co_ci_u32_e32 v37, vcc_lo, s7, v14, vcc_lo
	v_add_co_u32 v13, vcc_lo, s8, v13
	v_add_nc_u32_e32 v1, s3, v1
	v_add_co_ci_u32_e32 v14, vcc_lo, s9, v14, vcc_lo
	v_add_co_u32 v38, vcc_lo, s6, v17
	v_add_co_ci_u32_e32 v39, vcc_lo, s7, v18, vcc_lo
	v_add_co_u32 v15, vcc_lo, s8, v17
	;; [unrolled: 2-line block ×3, first 2 shown]
	v_add_co_ci_u32_e32 v18, vcc_lo, s11, v18, vcc_lo
	global_load_b32 v51, v[17:18], off
	s_waitcnt vmcnt(5)
	v_mul_f32_e32 v88, v46, v48
	v_lshlrev_b64 v[25:26], 2, v[1:2]
	v_add_nc_u32_e32 v1, s3, v1
	s_delay_alu instid0(VALU_DEP_1) | instskip(SKIP_1) | instid1(VALU_DEP_4)
	v_lshlrev_b64 v[23:24], 2, v[1:2]
	v_add_nc_u32_e32 v1, s3, v1
	v_add_co_u32 v40, vcc_lo, s6, v25
	v_add_co_ci_u32_e32 v41, vcc_lo, s7, v26, vcc_lo
	v_add_co_u32 v33, vcc_lo, s8, v25
	v_add_co_ci_u32_e32 v34, vcc_lo, s9, v26, vcc_lo
	v_lshlrev_b64 v[25:26], 2, v[1:2]
	v_add_nc_u32_e32 v1, s3, v1
	v_add_co_u32 v17, vcc_lo, s6, v23
	v_add_co_ci_u32_e32 v18, vcc_lo, s7, v24, vcc_lo
	s_delay_alu instid0(VALU_DEP_3)
	v_lshlrev_b64 v[27:28], 2, v[1:2]
	v_add_nc_u32_e32 v1, s3, v1
	s_clause 0x7
	global_load_b32 v62, v[21:22], off
	global_load_b32 v57, v[19:20], off
	global_load_b32 v58, v[29:30], off
	global_load_b32 v59, v[31:32], off
	global_load_b32 v60, v[36:37], off
	global_load_b32 v61, v[38:39], off
	global_load_b32 v56, v[40:41], off
	global_load_b32 v55, v[17:18], off
	v_add_co_u32 v63, vcc_lo, s6, v25
	v_add_co_ci_u32_e32 v64, vcc_lo, s7, v26, vcc_lo
	v_lshlrev_b64 v[29:30], 2, v[1:2]
	v_add_nc_u32_e32 v1, s3, v1
	v_add_co_u32 v36, vcc_lo, s6, v27
	v_add_co_ci_u32_e32 v37, vcc_lo, s7, v28, vcc_lo
	s_delay_alu instid0(VALU_DEP_3) | instskip(SKIP_3) | instid1(VALU_DEP_3)
	v_lshlrev_b64 v[31:32], 2, v[1:2]
	v_add_nc_u32_e32 v1, s3, v1
	v_add_co_u32 v38, vcc_lo, s6, v29
	v_add_co_ci_u32_e32 v39, vcc_lo, s7, v30, vcc_lo
	v_lshlrev_b64 v[17:18], 2, v[1:2]
	v_add_nc_u32_e32 v1, s3, v1
	v_add_co_u32 v40, vcc_lo, s6, v31
	v_add_co_ci_u32_e32 v41, vcc_lo, s7, v32, vcc_lo
	s_delay_alu instid0(VALU_DEP_3) | instskip(SKIP_3) | instid1(VALU_DEP_3)
	v_lshlrev_b64 v[19:20], 2, v[1:2]
	v_add_nc_u32_e32 v1, s3, v1
	v_add_co_u32 v67, vcc_lo, s6, v17
	v_add_co_ci_u32_e32 v68, vcc_lo, s7, v18, vcc_lo
	v_lshlrev_b64 v[21:22], 2, v[1:2]
	v_add_nc_u32_e32 v1, s3, v1
	s_clause 0x4
	global_load_b32 v54, v[63:64], off
	global_load_b32 v66, v[36:37], off
	;; [unrolled: 1-line block ×5, first 2 shown]
	v_add_co_u32 v67, vcc_lo, s6, v19
	v_lshlrev_b64 v[35:36], 2, v[1:2]
	v_add_co_ci_u32_e32 v68, vcc_lo, s7, v20, vcc_lo
	v_add_co_u32 v69, vcc_lo, s6, v21
	v_add_nc_u32_e32 v1, s3, v1
	v_fma_f32 v41, -v77, v79, 1.0
	v_add_co_ci_u32_e32 v70, vcc_lo, s7, v22, vcc_lo
	v_add_co_u32 v71, vcc_lo, s6, v35
	v_add_co_ci_u32_e32 v72, vcc_lo, s7, v36, vcc_lo
	v_lshlrev_b64 v[37:38], 2, v[1:2]
	v_div_scale_f32 v81, vcc_lo, 1.0, v75, 1.0
	v_fmac_f32_e32 v79, v41, v79
	v_add_nc_u32_e32 v1, s3, v1
	s_delay_alu instid0(VALU_DEP_4) | instskip(NEXT) | instid1(VALU_DEP_3)
	v_add_co_u32 v73, s1, s6, v37
	v_mul_f32_e32 v83, v81, v79
	v_add_co_ci_u32_e64 v74, s1, s7, v38, s1
	s_clause 0x3
	global_load_b32 v85, v[67:68], off
	global_load_b32 v86, v[69:70], off
	;; [unrolled: 1-line block ×4, first 2 shown]
	v_fma_f32 v68, -v78, v84, v82
	v_fma_f32 v67, -v77, v83, v81
	v_mul_f32_e32 v74, v46, v0
	v_div_scale_f32 v71, null, v47, v47, 1.0
	s_delay_alu instid0(VALU_DEP_3) | instskip(NEXT) | instid1(VALU_DEP_3)
	v_dual_fmac_f32 v84, v68, v80 :: v_dual_fmac_f32 v83, v67, v79
	v_div_scale_f32 v69, null, v74, v74, 1.0
	v_lshlrev_b64 v[39:40], 2, v[1:2]
	s_delay_alu instid0(VALU_DEP_3) | instskip(NEXT) | instid1(VALU_DEP_4)
	v_fma_f32 v68, -v78, v84, v82
	v_fma_f32 v67, -v77, v83, v81
	s_delay_alu instid0(VALU_DEP_4)
	v_rcp_f32_e32 v70, v69
	v_mul_f32_e32 v78, v45, v48
	v_rcp_f32_e32 v72, v71
	v_add_nc_u32_e32 v1, s3, v1
	v_div_fmas_f32 v77, v67, v79, v83
	s_mov_b32 vcc_lo, s0
	v_div_scale_f32 v79, null, v88, v88, 1.0
	v_div_fmas_f32 v67, v68, v80, v84
	s_waitcnt vmcnt(21)
	v_mul_f32_e32 v80, v46, v49
	v_fma_f32 v68, -v69, v70, 1.0
	v_rcp_f32_e32 v81, v79
	v_div_scale_f32 v82, vcc_lo, 1.0, v74, 1.0
	v_div_fixup_f32 v67, v67, v76, 1.0
	v_div_scale_f32 v76, null, v78, v78, 1.0
	v_fmac_f32_e32 v70, v68, v70
	v_fma_f32 v89, -v71, v72, 1.0
	s_delay_alu instid0(VALU_DEP_4) | instskip(NEXT) | instid1(VALU_DEP_4)
	v_mul_f32_e32 v67, v80, v67
	v_rcp_f32_e32 v83, v76
	s_delay_alu instid0(TRANS32_DEP_2) | instskip(NEXT) | instid1(VALU_DEP_3)
	v_fma_f32 v90, -v79, v81, 1.0
	v_dual_mul_f32 v91, v82, v70 :: v_dual_fmac_f32 v72, v89, v72
	s_delay_alu instid0(VALU_DEP_3) | instskip(SKIP_1) | instid1(VALU_DEP_4)
	v_min_f32_e32 v84, 0x7cf0bdc2, v67
	v_add_co_u32 v67, s0, s6, v39
	v_fmac_f32_e32 v81, v90, v81
	v_add_co_ci_u32_e64 v68, s0, s7, v40, s0
	s_waitcnt vmcnt(20)
	v_mul_f32_e32 v52, v52, v84
	s_delay_alu instid0(TRANS32_DEP_1)
	v_fma_f32 v90, -v76, v83, 1.0
	v_div_scale_f32 v84, s0, 1.0, v88, 1.0
	global_store_b32 v[43:44], v52, off
	v_fma_f32 v43, -v69, v91, v82
	v_div_scale_f32 v52, s1, 1.0, v78, 1.0
	v_dual_fmac_f32 v83, v90, v83 :: v_dual_mul_f32 v90, v84, v81
	s_delay_alu instid0(VALU_DEP_3) | instskip(NEXT) | instid1(VALU_DEP_2)
	v_fmac_f32_e32 v91, v43, v70
	v_mul_f32_e32 v89, v52, v83
	s_delay_alu instid0(VALU_DEP_3) | instskip(NEXT) | instid1(VALU_DEP_3)
	v_fma_f32 v43, -v79, v90, v84
	v_fma_f32 v44, -v69, v91, v82
	v_div_scale_f32 v82, null, v48, v48, 1.0
	s_delay_alu instid0(VALU_DEP_4) | instskip(NEXT) | instid1(VALU_DEP_4)
	v_fma_f32 v69, -v76, v89, v52
	v_fmac_f32_e32 v90, v43, v81
	s_delay_alu instid0(VALU_DEP_4) | instskip(SKIP_1) | instid1(VALU_DEP_3)
	v_div_fmas_f32 v91, v44, v70, v91
	s_mov_b32 vcc_lo, s0
	v_fmac_f32_e32 v89, v69, v83
	s_delay_alu instid0(VALU_DEP_3) | instskip(SKIP_2) | instid1(VALU_DEP_3)
	v_fma_f32 v70, -v79, v90, v84
	v_mul_f32_e32 v79, v92, v72
	v_rcp_f32_e32 v84, v82
	v_fma_f32 v52, -v76, v89, v52
	s_delay_alu instid0(VALU_DEP_3)
	v_div_fmas_f32 v81, v70, v81, v90
	s_mov_b32 vcc_lo, s1
	v_fma_f32 v69, -v71, v79, v92
	v_div_scale_f32 v90, null, v0, v0, 1.0
	v_div_fmas_f32 v52, v52, v83, v89
	v_div_scale_f32 v76, null, v49, v49, 1.0
	s_delay_alu instid0(VALU_DEP_4) | instskip(NEXT) | instid1(VALU_DEP_4)
	v_fmac_f32_e32 v79, v69, v72
	v_rcp_f32_e32 v83, v90
	s_delay_alu instid0(VALU_DEP_3)
	v_div_fixup_f32 v52, v52, v78, 1.0
	v_mul_f32_e32 v78, v0, v47
	v_lshlrev_b64 v[41:42], 2, v[1:2]
	v_add_nc_u32_e32 v1, s3, v1
	v_fma_f32 v71, -v71, v79, v92
	v_fma_f32 v93, -v82, v84, 1.0
	v_rcp_f32_e32 v89, v76
	global_load_b32 v92, v[67:68], off
	v_lshlrev_b64 v[43:44], 2, v[1:2]
	v_add_co_u32 v69, vcc_lo, s6, v41
	v_add_co_ci_u32_e32 v70, vcc_lo, s7, v42, vcc_lo
	s_mov_b32 vcc_lo, s2
	v_fmac_f32_e32 v84, v93, v84
	v_div_fmas_f32 v79, v71, v72, v79
	global_load_b32 v93, v[69:70], off
	v_add_co_u32 v71, vcc_lo, s6, v43
	v_add_co_ci_u32_e32 v72, vcc_lo, s7, v44, vcc_lo
	v_add_nc_u32_e32 v1, s3, v1
	v_div_fixup_f32 v79, v79, v47, 1.0
	global_load_b32 v94, v[71:72], off
	v_fma_f32 v67, -v90, v83, 1.0
	v_div_scale_f32 v68, vcc_lo, 1.0, v48, 1.0
	v_fma_f32 v69, -v76, v89, 1.0
	s_waitcnt vmcnt(22)
	v_div_scale_f32 v71, null, v50, v50, 1.0
	v_fmac_f32_e32 v83, v67, v83
	v_mul_f32_e32 v67, v68, v84
	v_fmac_f32_e32 v89, v69, v89
	s_delay_alu instid0(VALU_DEP_4) | instskip(NEXT) | instid1(VALU_DEP_2)
	v_rcp_f32_e32 v72, v71
	v_fma_f32 v69, -v82, v67, v68
	s_delay_alu instid0(VALU_DEP_1) | instskip(SKIP_1) | instid1(VALU_DEP_2)
	v_fmac_f32_e32 v67, v69, v84
	v_div_scale_f32 v69, s0, 1.0, v0, 1.0
	v_fma_f32 v68, -v82, v67, v68
	s_delay_alu instid0(VALU_DEP_2) | instskip(NEXT) | instid1(VALU_DEP_2)
	v_mul_f32_e32 v70, v69, v83
	v_div_fmas_f32 v82, v68, v84, v67
	s_delay_alu instid0(VALU_DEP_2) | instskip(SKIP_3) | instid1(VALU_DEP_3)
	v_fma_f32 v67, -v90, v70, v69
	v_div_scale_f32 v68, s1, 1.0, v49, 1.0
	s_mov_b32 vcc_lo, s0
	v_div_scale_f32 v84, s0, 1.0, v50, 1.0
	v_fmac_f32_e32 v70, v67, v83
	s_delay_alu instid0(VALU_DEP_1) | instskip(SKIP_1) | instid1(VALU_DEP_2)
	v_fma_f32 v67, -v90, v70, v69
	v_mul_f32_e32 v69, v68, v89
	v_div_fmas_f32 v83, v67, v83, v70
	v_fma_f32 v67, -v71, v72, 1.0
	s_mov_b32 vcc_lo, s1
	s_delay_alu instid0(VALU_DEP_1) | instskip(SKIP_1) | instid1(VALU_DEP_1)
	v_fmac_f32_e32 v72, v67, v72
	v_fma_f32 v67, -v76, v69, v68
	v_fmac_f32_e32 v69, v67, v89
	s_delay_alu instid0(VALU_DEP_1) | instskip(NEXT) | instid1(VALU_DEP_4)
	v_fma_f32 v67, -v76, v69, v68
	v_mul_f32_e32 v76, v84, v72
	s_delay_alu instid0(VALU_DEP_2) | instskip(NEXT) | instid1(VALU_DEP_2)
	v_div_fmas_f32 v89, v67, v89, v69
	v_fma_f32 v68, -v71, v76, v84
	s_delay_alu instid0(VALU_DEP_1) | instskip(SKIP_2) | instid1(VALU_DEP_2)
	v_fmac_f32_e32 v76, v68, v72
	v_lshlrev_b64 v[67:68], 2, v[1:2]
	v_add_nc_u32_e32 v1, s3, v1
	v_add_co_u32 v69, vcc_lo, s6, v67
	s_delay_alu instid0(VALU_DEP_3) | instskip(SKIP_3) | instid1(VALU_DEP_1)
	v_add_co_ci_u32_e32 v70, vcc_lo, s7, v68, vcc_lo
	s_mov_b32 vcc_lo, s0
	global_load_b32 v90, v[69:70], off
	v_fma_f32 v69, -v71, v76, v84
	v_div_fmas_f32 v76, v69, v72, v76
	v_lshlrev_b64 v[69:70], 2, v[1:2]
	v_add_nc_u32_e32 v1, s3, v1
	s_delay_alu instid0(VALU_DEP_2) | instskip(NEXT) | instid1(VALU_DEP_2)
	v_add_co_u32 v71, vcc_lo, s6, v69
	v_lshlrev_b64 v[1:2], 2, v[1:2]
	s_delay_alu instid0(VALU_DEP_4)
	v_add_co_ci_u32_e32 v72, vcc_lo, s7, v70, vcc_lo
	global_load_b32 v84, v[71:72], off
	v_add_co_u32 v71, vcc_lo, s6, v1
	v_add_co_ci_u32_e32 v72, vcc_lo, s7, v2, vcc_lo
	global_load_b32 v71, v[71:72], off
	v_div_fixup_f32 v72, v77, v75, 1.0
	v_div_fixup_f32 v75, v81, v88, 1.0
	;; [unrolled: 1-line block ×3, first 2 shown]
	s_delay_alu instid0(VALU_DEP_3) | instskip(NEXT) | instid1(VALU_DEP_3)
	v_dual_mul_f32 v81, v45, v47 :: v_dual_mul_f32 v72, 0x49776020, v72
	v_mul_f32_e32 v75, v78, v75
	s_delay_alu instid0(VALU_DEP_2) | instskip(SKIP_1) | instid1(VALU_DEP_4)
	v_dual_mul_f32 v78, v46, v46 :: v_dual_mul_f32 v77, v77, v81
	v_div_fixup_f32 v81, v82, v48, 1.0
	v_mul_f32_e32 v74, v72, v74
	v_div_fixup_f32 v82, v83, v0, 1.0
	s_delay_alu instid0(VALU_DEP_4) | instskip(NEXT) | instid1(VALU_DEP_3)
	v_dual_mul_f32 v78, v78, v72 :: v_dual_min_f32 v77, 0x7cf0bdc2, v77
	v_dual_min_f32 v75, 0x7cf0bdc2, v75 :: v_dual_mul_f32 v74, v74, v81
	s_delay_alu instid0(VALU_DEP_2)
	v_dual_mul_f32 v81, v0, v0 :: v_dual_mul_f32 v78, v78, v79
	v_mul_f32_e32 v79, v46, v45
	s_waitcnt vmcnt(24)
	v_mul_f32_e32 v53, v53, v77
	v_mul_f32_e32 v77, v45, v45
	v_div_fixup_f32 v83, v89, v49, 1.0
	v_dual_min_f32 v78, 0x7cf0bdc2, v78 :: v_dual_mul_f32 v79, v79, v72
	global_store_b32 v[5:6], v53, off
	v_dual_mul_f32 v77, v77, v72 :: v_dual_min_f32 v74, 0x7cf0bdc2, v74
	v_dual_mul_f32 v79, v82, v79 :: v_dual_mul_f32 v82, v81, v52
	s_waitcnt vmcnt(22)
	v_mul_f32_e32 v62, v62, v75
	v_div_scale_f32 v75, null, v51, v51, 1.0
	s_waitcnt vmcnt(20)
	v_mul_f32_e32 v6, v78, v58
	s_waitcnt vmcnt(19)
	v_dual_min_f32 v82, 0x7cf0bdc2, v82 :: v_dual_mul_f32 v53, v78, v59
	global_store_b32 v[3:4], v62, off
	s_waitcnt vmcnt(17)
	v_mul_f32_e32 v58, v78, v61
	s_waitcnt vmcnt(16)
	v_mul_f32_e32 v3, v74, v56
	v_mul_f32_e32 v5, v57, v82
	;; [unrolled: 1-line block ×3, first 2 shown]
	s_clause 0x3
	global_store_b32 v[7:8], v5, off
	global_store_b32 v[9:10], v6, off
	;; [unrolled: 1-line block ×4, first 2 shown]
	v_rcp_f32_e32 v9, v75
	v_mul_f32_e32 v6, v80, v72
	v_div_fixup_f32 v7, v76, v50, 1.0
	v_dual_mul_f32 v5, v83, v77 :: v_dual_min_f32 v4, 0x7cf0bdc2, v79
	s_clause 0x1
	global_store_b32 v[15:16], v58, off
	global_store_b32 v[33:34], v3, off
	v_add_co_u32 v3, vcc_lo, s8, v23
	v_dual_mul_f32 v6, v6, v7 :: v_dual_min_f32 v5, 0x7cf0bdc2, v5
	v_fma_f32 v7, -v75, v9, 1.0
	s_waitcnt vmcnt(15)
	v_mul_f32_e32 v10, v4, v55
	v_add_co_ci_u32_e32 v4, vcc_lo, s9, v24, vcc_lo
	v_div_scale_f32 v13, vcc_lo, 1.0, v51, 1.0
	v_dual_fmac_f32 v9, v7, v9 :: v_dual_min_f32 v12, 0x7cf0bdc2, v6
	global_store_b32 v[3:4], v10, off
	v_mul_f32_e32 v10, v49, v47
	s_waitcnt vmcnt(13)
	v_dual_mul_f32 v15, v13, v9 :: v_dual_mul_f32 v14, v66, v12
	v_mul_f32_e32 v11, v5, v54
	v_add_co_u32 v5, s0, s8, v25
	s_delay_alu instid0(VALU_DEP_1) | instskip(SKIP_1) | instid1(VALU_DEP_1)
	v_add_co_ci_u32_e64 v6, s0, s9, v26, s0
	v_add_co_u32 v7, s0, s8, v27
	v_add_co_ci_u32_e64 v8, s0, s9, v28, s0
	v_fma_f32 v3, -v75, v15, v13
	global_store_b32 v[5:6], v11, off
	s_waitcnt vmcnt(12)
	v_mul_f32_e32 v11, v65, v12
	global_store_b32 v[7:8], v14, off
	v_div_scale_f32 v14, null, v10, v10, 1.0
	v_fmac_f32_e32 v15, v3, v9
	v_add_co_u32 v3, s0, s8, v29
	s_delay_alu instid0(VALU_DEP_3) | instskip(SKIP_1) | instid1(VALU_DEP_3)
	v_rcp_f32_e32 v23, v14
	v_add_co_ci_u32_e64 v4, s0, s9, v30, s0
	v_fma_f32 v7, -v75, v15, v13
	v_div_scale_f32 v13, null, v81, v81, 1.0
	v_add_co_u32 v5, s0, s8, v31
	s_delay_alu instid0(VALU_DEP_3) | instskip(SKIP_1) | instid1(TRANS32_DEP_1)
	v_div_fmas_f32 v7, v7, v9, v15
	v_add_co_ci_u32_e64 v6, s0, s9, v32, s0
	v_fma_f32 v8, -v14, v23, 1.0
	v_rcp_f32_e32 v25, v13
	s_delay_alu instid0(VALU_DEP_3)
	v_div_fixup_f32 v15, v7, v51, 1.0
	v_add_co_u32 v7, s0, s8, v17
	s_waitcnt vmcnt(11)
	v_mul_f32_e32 v16, v12, v64
	s_waitcnt vmcnt(10)
	v_mul_f32_e32 v12, v12, v63
	v_fmac_f32_e32 v23, v8, v23
	v_div_scale_f32 v24, vcc_lo, 1.0, v10, 1.0
	v_add_co_ci_u32_e64 v8, s0, s9, v18, s0
	s_clause 0x1
	global_store_b32 v[3:4], v11, off
	global_store_b32 v[5:6], v16, off
	v_mul_f32_e32 v5, v24, v23
	global_store_b32 v[7:8], v12, off
	v_dual_mul_f32 v8, v49, v0 :: v_dual_mul_f32 v9, v72, v81
	v_fma_f32 v4, -v13, v25, 1.0
	v_fma_f32 v7, -v14, v5, v24
	v_mul_f32_e32 v6, v46, v50
	s_delay_alu instid0(VALU_DEP_4)
	v_div_scale_f32 v11, null, v8, v8, 1.0
	v_mul_f32_e32 v3, v9, v15
	v_fmac_f32_e32 v25, v4, v25
	v_div_scale_f32 v9, s0, 1.0, v81, 1.0
	v_fmac_f32_e32 v5, v7, v23
	v_rcp_f32_e32 v16, v11
	v_min_f32_e32 v3, 0x7cf0bdc2, v3
	s_delay_alu instid0(VALU_DEP_3)
	v_mul_f32_e32 v7, v9, v25
	v_mul_f32_e32 v15, v52, v6
	v_fma_f32 v14, -v14, v5, v24
	v_mul_f32_e32 v18, v0, v48
	s_waitcnt vmcnt(9)
	v_mul_f32_e32 v12, v85, v3
	v_fma_f32 v17, -v13, v7, v9
	v_add_co_u32 v3, s1, s8, v19
	s_delay_alu instid0(VALU_DEP_1)
	v_add_co_ci_u32_e64 v4, s1, s9, v20, s1
	v_div_fmas_f32 v5, v14, v23, v5
	v_fma_f32 v14, -v11, v16, 1.0
	v_fmac_f32_e32 v7, v17, v25
	global_store_b32 v[3:4], v12, off
	s_mov_b32 vcc_lo, s0
	v_div_fixup_f32 v3, v5, v10, 1.0
	v_fmac_f32_e32 v16, v14, v16
	v_div_scale_f32 v5, s1, 1.0, v8, 1.0
	v_fma_f32 v4, -v13, v7, v9
	v_min_f32_e32 v15, 0x7cf0bdc2, v15
	v_mul_f32_e32 v13, v49, v48
	s_delay_alu instid0(VALU_DEP_4) | instskip(NEXT) | instid1(VALU_DEP_4)
	v_dual_mul_f32 v10, v5, v16 :: v_dual_mul_f32 v9, v3, v6
	v_div_fmas_f32 v7, v4, v25, v7
	s_waitcnt vmcnt(8)
	v_mul_f32_e32 v12, v15, v86
	v_div_scale_f32 v15, null, v13, v13, 1.0
	v_fma_f32 v14, -v11, v10, v5
	v_div_fixup_f32 v7, v7, v81, 1.0
	v_add_co_u32 v3, vcc_lo, s8, v21
	v_add_co_ci_u32_e32 v4, vcc_lo, s9, v22, vcc_lo
	s_delay_alu instid0(VALU_DEP_4) | instskip(NEXT) | instid1(VALU_DEP_4)
	v_fmac_f32_e32 v10, v14, v16
	v_mul_f32_e32 v6, v7, v6
	v_rcp_f32_e32 v7, v15
	global_store_b32 v[3:4], v12, off
	v_add_co_u32 v3, vcc_lo, s8, v35
	v_fma_f32 v5, -v11, v10, v5
	v_add_co_ci_u32_e32 v4, vcc_lo, s9, v36, vcc_lo
	v_mul_f32_e32 v11, v49, v51
	s_mov_b32 vcc_lo, s1
	v_min_f32_e32 v9, 0x7cf0bdc2, v9
	v_div_fmas_f32 v5, v5, v16, v10
	v_min_f32_e32 v6, 0x7cf0bdc2, v6
	v_fma_f32 v10, -v15, v7, 1.0
	v_div_scale_f32 v12, null, v11, v11, 1.0
	s_delay_alu instid0(VALU_DEP_4)
	v_div_fixup_f32 v8, v5, v8, 1.0
	v_add_co_u32 v5, s0, s8, v37
	s_waitcnt vmcnt(6)
	v_dual_mul_f32 v9, v9, v87 :: v_dual_mul_f32 v14, v6, v73
	v_dual_mul_f32 v16, v45, v50 :: v_dual_fmac_f32 v7, v10, v7
	v_rcp_f32_e32 v10, v12
	v_div_scale_f32 v17, vcc_lo, 1.0, v13, 1.0
	v_add_co_ci_u32_e64 v6, s0, s9, v38, s0
	global_store_b32 v[3:4], v9, off
	v_dual_mul_f32 v3, v8, v16 :: v_dual_mul_f32 v8, v17, v7
	global_store_b32 v[5:6], v14, off
	v_mul_f32_e32 v5, v47, v50
	v_fma_f32 v4, -v12, v10, 1.0
	v_div_scale_f32 v14, s0, 1.0, v11, 1.0
	v_fma_f32 v6, -v15, v8, v17
	s_delay_alu instid0(VALU_DEP_4) | instskip(NEXT) | instid1(VALU_DEP_4)
	v_div_scale_f32 v9, null, v5, v5, 1.0
	v_fmac_f32_e32 v10, v4, v10
	v_div_scale_f32 v20, null, v18, v18, 1.0
	s_delay_alu instid0(VALU_DEP_4) | instskip(NEXT) | instid1(VALU_DEP_4)
	v_fmac_f32_e32 v8, v6, v7
	v_rcp_f32_e32 v6, v9
	s_delay_alu instid0(VALU_DEP_3) | instskip(SKIP_1) | instid1(VALU_DEP_3)
	v_mul_f32_e32 v19, v14, v10
	v_dual_min_f32 v3, 0x7cf0bdc2, v3 :: v_dual_mul_f32 v0, v0, v50
	v_fma_f32 v15, -v15, v8, v17
	v_rcp_f32_e32 v17, v20
	s_delay_alu instid0(VALU_DEP_3) | instskip(SKIP_3) | instid1(TRANS32_DEP_2)
	v_fma_f32 v22, -v12, v19, v14
	s_waitcnt vmcnt(5)
	v_mul_f32_e32 v16, v3, v92
	v_add_co_u32 v3, s1, s8, v39
	v_fma_f32 v21, -v9, v6, 1.0
	v_add_co_ci_u32_e64 v4, s1, s9, v40, s1
	v_div_fmas_f32 v7, v15, v7, v8
	v_div_scale_f32 v8, s1, 1.0, v5, 1.0
	s_delay_alu instid0(VALU_DEP_4)
	v_fmac_f32_e32 v6, v21, v6
	v_fmac_f32_e32 v19, v22, v10
	v_fma_f32 v15, -v20, v17, 1.0
	v_div_fixup_f32 v7, v7, v13, 1.0
	s_mov_b32 vcc_lo, s0
	v_mul_f32_e32 v13, v8, v6
	v_fma_f32 v12, -v12, v19, v14
	v_fmac_f32_e32 v17, v15, v17
	v_div_scale_f32 v14, s2, 1.0, v18, 1.0
	s_delay_alu instid0(VALU_DEP_4) | instskip(NEXT) | instid1(VALU_DEP_4)
	v_fma_f32 v15, -v9, v13, v8
	v_div_fmas_f32 v10, v12, v10, v19
	v_mul_f32_e32 v0, v7, v0
	s_delay_alu instid0(VALU_DEP_4)
	v_mul_f32_e32 v12, v14, v17
	v_mul_f32_e32 v7, v50, v50
	v_fmac_f32_e32 v13, v15, v6
	v_div_fixup_f32 v10, v10, v11, 1.0
	global_store_b32 v[3:4], v16, off
	v_fma_f32 v11, -v20, v12, v14
	v_min_f32_e32 v0, 0x7cf0bdc2, v0
	v_fma_f32 v3, -v9, v13, v8
	v_mul_f32_e32 v4, v7, v10
	s_mov_b32 vcc_lo, s1
	v_fmac_f32_e32 v12, v11, v17
	s_waitcnt vmcnt(4)
	v_mul_f32_e32 v11, v0, v93
	v_div_fmas_f32 v3, v3, v6, v13
	v_min_f32_e32 v0, 0x7cf0bdc2, v4
	s_mov_b32 vcc_lo, s2
	v_fma_f32 v4, -v20, v12, v14
	v_mul_f32_e32 v7, v46, v51
	v_div_fixup_f32 v5, v3, v5, 1.0
	s_delay_alu instid0(VALU_DEP_3) | instskip(SKIP_1) | instid1(VALU_DEP_3)
	v_div_fmas_f32 v6, v4, v17, v12
	v_add_co_u32 v3, vcc_lo, s8, v41
	v_mul_f32_e32 v8, v5, v7
	v_add_co_ci_u32_e32 v4, vcc_lo, s9, v42, vcc_lo
	s_delay_alu instid0(VALU_DEP_4)
	v_div_fixup_f32 v9, v6, v18, 1.0
	s_waitcnt vmcnt(3)
	v_mul_f32_e32 v12, v0, v94
	v_add_co_u32 v5, vcc_lo, s8, v43
	v_add_co_ci_u32_e32 v6, vcc_lo, s9, v44, vcc_lo
	v_mul_f32_e32 v9, v9, v7
	v_add_co_u32 v7, vcc_lo, s8, v67
	s_waitcnt vmcnt(2)
	v_dual_mul_f32 v13, v0, v90 :: v_dual_min_f32 v0, 0x7cf0bdc2, v8
	v_add_co_ci_u32_e32 v8, vcc_lo, s9, v68, vcc_lo
	s_waitcnt vmcnt(1)
	s_delay_alu instid0(VALU_DEP_2) | instskip(SKIP_4) | instid1(VALU_DEP_3)
	v_mul_f32_e32 v14, v0, v84
	v_min_f32_e32 v0, 0x7cf0bdc2, v9
	v_add_co_u32 v9, vcc_lo, s8, v69
	v_add_co_ci_u32_e32 v10, vcc_lo, s9, v70, vcc_lo
	s_waitcnt vmcnt(0)
	v_mul_f32_e32 v15, v0, v71
	v_add_co_u32 v0, vcc_lo, s8, v1
	v_add_co_ci_u32_e32 v1, vcc_lo, s9, v2, vcc_lo
	s_clause 0x4
	global_store_b32 v[3:4], v11, off
	global_store_b32 v[5:6], v12, off
	;; [unrolled: 1-line block ×5, first 2 shown]
	s_nop 0
	s_sendmsg sendmsg(MSG_DEALLOC_VGPRS)
	s_endpgm
	.section	.rodata,"a",@progbits
	.p2align	6, 0x0
	.amdhsa_kernel _Z12ratt2_kernelIfEvPKT_S2_PS0_S2_S0_
		.amdhsa_group_segment_fixed_size 0
		.amdhsa_private_segment_fixed_size 0
		.amdhsa_kernarg_size 296
		.amdhsa_user_sgpr_count 15
		.amdhsa_user_sgpr_dispatch_ptr 0
		.amdhsa_user_sgpr_queue_ptr 0
		.amdhsa_user_sgpr_kernarg_segment_ptr 1
		.amdhsa_user_sgpr_dispatch_id 0
		.amdhsa_user_sgpr_private_segment_size 0
		.amdhsa_wavefront_size32 1
		.amdhsa_uses_dynamic_stack 0
		.amdhsa_enable_private_segment 0
		.amdhsa_system_sgpr_workgroup_id_x 1
		.amdhsa_system_sgpr_workgroup_id_y 0
		.amdhsa_system_sgpr_workgroup_id_z 0
		.amdhsa_system_sgpr_workgroup_info 0
		.amdhsa_system_vgpr_workitem_id 0
		.amdhsa_next_free_vgpr 95
		.amdhsa_next_free_sgpr 16
		.amdhsa_reserve_vcc 1
		.amdhsa_float_round_mode_32 0
		.amdhsa_float_round_mode_16_64 0
		.amdhsa_float_denorm_mode_32 3
		.amdhsa_float_denorm_mode_16_64 3
		.amdhsa_dx10_clamp 1
		.amdhsa_ieee_mode 1
		.amdhsa_fp16_overflow 0
		.amdhsa_workgroup_processor_mode 1
		.amdhsa_memory_ordered 1
		.amdhsa_forward_progress 0
		.amdhsa_shared_vgpr_count 0
		.amdhsa_exception_fp_ieee_invalid_op 0
		.amdhsa_exception_fp_denorm_src 0
		.amdhsa_exception_fp_ieee_div_zero 0
		.amdhsa_exception_fp_ieee_overflow 0
		.amdhsa_exception_fp_ieee_underflow 0
		.amdhsa_exception_fp_ieee_inexact 0
		.amdhsa_exception_int_div_zero 0
	.end_amdhsa_kernel
	.section	.text._Z12ratt2_kernelIfEvPKT_S2_PS0_S2_S0_,"axG",@progbits,_Z12ratt2_kernelIfEvPKT_S2_PS0_S2_S0_,comdat
.Lfunc_end3:
	.size	_Z12ratt2_kernelIfEvPKT_S2_PS0_S2_S0_, .Lfunc_end3-_Z12ratt2_kernelIfEvPKT_S2_PS0_S2_S0_
                                        ; -- End function
	.section	.AMDGPU.csdata,"",@progbits
; Kernel info:
; codeLenInByte = 3796
; NumSgprs: 18
; NumVgprs: 95
; ScratchSize: 0
; MemoryBound: 0
; FloatMode: 240
; IeeeMode: 1
; LDSByteSize: 0 bytes/workgroup (compile time only)
; SGPRBlocks: 2
; VGPRBlocks: 11
; NumSGPRsForWavesPerEU: 18
; NumVGPRsForWavesPerEU: 95
; Occupancy: 16
; WaveLimiterHint : 0
; COMPUTE_PGM_RSRC2:SCRATCH_EN: 0
; COMPUTE_PGM_RSRC2:USER_SGPR: 15
; COMPUTE_PGM_RSRC2:TRAP_HANDLER: 0
; COMPUTE_PGM_RSRC2:TGID_X_EN: 1
; COMPUTE_PGM_RSRC2:TGID_Y_EN: 0
; COMPUTE_PGM_RSRC2:TGID_Z_EN: 0
; COMPUTE_PGM_RSRC2:TIDIG_COMP_CNT: 0
	.section	.text._Z12ratt3_kernelIfEvPKT_S2_PS0_S2_S0_,"axG",@progbits,_Z12ratt3_kernelIfEvPKT_S2_PS0_S2_S0_,comdat
	.protected	_Z12ratt3_kernelIfEvPKT_S2_PS0_S2_S0_ ; -- Begin function _Z12ratt3_kernelIfEvPKT_S2_PS0_S2_S0_
	.globl	_Z12ratt3_kernelIfEvPKT_S2_PS0_S2_S0_
	.p2align	8
	.type	_Z12ratt3_kernelIfEvPKT_S2_PS0_S2_S0_,@function
_Z12ratt3_kernelIfEvPKT_S2_PS0_S2_S0_:  ; @_Z12ratt3_kernelIfEvPKT_S2_PS0_S2_S0_
; %bb.0:
	s_clause 0x3
	s_load_b32 s2, s[0:1], 0x34
	s_load_b32 s3, s[0:1], 0x28
	s_load_b256 s[4:11], s[0:1], 0x0
	s_load_b32 s0, s[0:1], 0x20
	s_waitcnt lgkmcnt(0)
	s_and_b32 s2, s2, 0xffff
	s_delay_alu instid0(SALU_CYCLE_1) | instskip(SKIP_1) | instid1(SALU_CYCLE_1)
	v_mad_u64_u32 v[1:2], null, s15, s2, v[0:1]
	s_mul_i32 s3, s3, s2
	s_lshl_b32 s2, s3, 1
	v_mov_b32_e32 v2, 0
	s_mul_i32 s1, s3, 14
	s_delay_alu instid0(VALU_DEP_2) | instskip(NEXT) | instid1(VALU_DEP_2)
	v_add_nc_u32_e32 v7, s2, v1
	v_lshlrev_b64 v[3:4], 2, v[1:2]
	v_dual_mov_b32 v8, v2 :: v_dual_add_nc_u32 v1, s3, v1
	s_delay_alu instid0(VALU_DEP_2) | instskip(NEXT) | instid1(VALU_DEP_3)
	v_add_co_u32 v5, vcc_lo, s4, v3
	v_add_co_ci_u32_e32 v6, vcc_lo, s5, v4, vcc_lo
	s_mul_i32 s5, s3, 28
	s_mul_i32 s4, s3, -13
	v_mov_b32_e32 v12, v2
	global_load_b32 v25, v[5:6], off
	v_mad_u64_u32 v[5:6], null, s3, 5, v[7:8]
	v_mov_b32_e32 v6, v2
	s_delay_alu instid0(VALU_DEP_1) | instskip(SKIP_2) | instid1(VALU_DEP_3)
	v_mad_u64_u32 v[9:10], null, s3, -3, v[5:6]
	v_mov_b32_e32 v10, v2
	v_lshlrev_b64 v[5:6], 2, v[5:6]
	v_add_nc_u32_e32 v11, s2, v9
	s_delay_alu instid0(VALU_DEP_3)
	v_lshlrev_b64 v[9:10], 2, v[9:10]
	s_mul_i32 s2, s3, 19
	v_mov_b32_e32 v13, v2
	v_lshlrev_b64 v[7:8], 2, v[7:8]
	v_lshlrev_b64 v[14:15], 2, v[11:12]
	v_add_nc_u32_e32 v12, s2, v11
	v_add_co_u32 v9, vcc_lo, s10, v9
	v_add_co_ci_u32_e32 v10, vcc_lo, s11, v10, vcc_lo
	s_delay_alu instid0(VALU_DEP_3)
	v_mad_u64_u32 v[16:17], null, 0xffffffec, s3, v[12:13]
	v_add_co_u32 v14, vcc_lo, s10, v14
	v_mov_b32_e32 v17, v2
	v_add_co_ci_u32_e32 v15, vcc_lo, s11, v15, vcc_lo
	s_clause 0x1
	global_load_b32 v0, v[9:10], off
	global_load_b32 v51, v[14:15], off
	v_lshlrev_b64 v[9:10], 2, v[16:17]
	s_delay_alu instid0(VALU_DEP_1) | instskip(NEXT) | instid1(VALU_DEP_2)
	v_add_co_u32 v9, vcc_lo, s10, v9
	v_add_co_ci_u32_e32 v10, vcc_lo, s11, v10, vcc_lo
	global_load_b32 v45, v[9:10], off
	v_lshlrev_b64 v[9:10], 2, v[1:2]
	v_add_nc_u32_e32 v1, s5, v1
	s_delay_alu instid0(VALU_DEP_1) | instskip(SKIP_1) | instid1(VALU_DEP_1)
	v_lshlrev_b64 v[14:15], 2, v[1:2]
	v_add_nc_u32_e32 v1, s4, v1
	v_lshlrev_b64 v[17:18], 2, v[1:2]
	v_add_nc_u32_e32 v1, s1, v1
	s_delay_alu instid0(VALU_DEP_2) | instskip(NEXT) | instid1(VALU_DEP_3)
	v_add_co_u32 v17, vcc_lo, s10, v17
	v_add_co_ci_u32_e32 v18, vcc_lo, s11, v18, vcc_lo
	v_add_co_u32 v7, vcc_lo, s10, v7
	v_add_co_ci_u32_e32 v8, vcc_lo, s11, v8, vcc_lo
	global_load_b32 v53, v[17:18], off
	v_mad_u64_u32 v[17:18], null, s3, 21, v[16:17]
	v_mov_b32_e32 v20, v2
	v_add_co_u32 v5, vcc_lo, s10, v5
	v_add_co_ci_u32_e32 v6, vcc_lo, s11, v6, vcc_lo
	v_add_co_u32 v3, vcc_lo, s10, v3
	v_add_nc_u32_e32 v19, s3, v17
	s_clause 0x1
	global_load_b32 v46, v[7:8], off
	global_load_b32 v57, v[5:6], off
	v_add_co_ci_u32_e32 v4, vcc_lo, s11, v4, vcc_lo
	v_add_co_u32 v7, vcc_lo, s10, v9
	v_mad_u64_u32 v[21:22], null, s3, -14, v[19:20]
	v_mov_b32_e32 v24, v2
	v_mov_b32_e32 v22, v2
	v_add_co_ci_u32_e32 v8, vcc_lo, s11, v10, vcc_lo
	v_lshlrev_b64 v[9:10], 2, v[12:13]
	v_add_nc_u32_e32 v23, s3, v21
	s_delay_alu instid0(VALU_DEP_4) | instskip(SKIP_1) | instid1(VALU_DEP_3)
	v_lshlrev_b64 v[11:12], 2, v[21:22]
	v_lshlrev_b64 v[21:22], 2, v[19:20]
	;; [unrolled: 1-line block ×3, first 2 shown]
	s_delay_alu instid0(VALU_DEP_1) | instskip(NEXT) | instid1(VALU_DEP_2)
	v_add_co_u32 v5, vcc_lo, s10, v5
	v_add_co_ci_u32_e32 v6, vcc_lo, s11, v6, vcc_lo
	v_add_co_u32 v11, vcc_lo, s10, v11
	v_add_co_ci_u32_e32 v12, vcc_lo, s11, v12, vcc_lo
	global_load_b32 v50, v[5:6], off
	v_add_co_u32 v5, vcc_lo, s6, v9
	v_add_co_ci_u32_e32 v6, vcc_lo, s7, v10, vcc_lo
	s_clause 0x2
	global_load_b32 v47, v[3:4], off
	global_load_b32 v49, v[11:12], off
	;; [unrolled: 1-line block ×4, first 2 shown]
	v_mad_u64_u32 v[11:12], null, 0xffffffe5, s3, v[1:2]
	v_mov_b32_e32 v18, v2
	s_delay_alu instid0(VALU_DEP_1) | instskip(NEXT) | instid1(VALU_DEP_1)
	v_lshlrev_b64 v[16:17], 2, v[17:18]
	v_add_co_u32 v3, vcc_lo, s6, v16
	s_delay_alu instid0(VALU_DEP_2)
	v_add_co_ci_u32_e32 v4, vcc_lo, s7, v17, vcc_lo
	global_load_b32 v61, v[3:4], off
	v_add_co_u32 v3, vcc_lo, s6, v21
	v_add_co_ci_u32_e32 v4, vcc_lo, s7, v22, vcc_lo
	v_add_co_u32 v7, vcc_lo, s6, v14
	v_add_co_ci_u32_e32 v8, vcc_lo, s7, v15, vcc_lo
	global_load_b32 v62, v[3:4], off
	v_add_co_u32 v5, vcc_lo, s8, v14
	global_load_b32 v56, v[7:8], off
	v_lshlrev_b64 v[3:4], 2, v[1:2]
	v_dual_mov_b32 v12, v2 :: v_dual_add_nc_u32 v1, s5, v11
	v_add_co_ci_u32_e32 v6, vcc_lo, s9, v15, vcc_lo
	s_delay_alu instid0(VALU_DEP_3) | instskip(NEXT) | instid1(VALU_DEP_3)
	v_add_co_u32 v13, vcc_lo, s6, v3
	v_lshlrev_b64 v[19:20], 2, v[11:12]
	s_delay_alu instid0(VALU_DEP_4) | instskip(SKIP_3) | instid1(VALU_DEP_3)
	v_lshlrev_b64 v[11:12], 2, v[1:2]
	v_add_nc_u32_e32 v1, s3, v1
	v_add_co_ci_u32_e32 v14, vcc_lo, s7, v4, vcc_lo
	v_add_co_u32 v7, vcc_lo, s8, v3
	v_mad_u64_u32 v[29:30], null, 0xffffffe8, s3, v[1:2]
	v_add_co_ci_u32_e32 v8, vcc_lo, s9, v4, vcc_lo
	global_load_b32 v58, v[13:14], off
	v_add_co_u32 v13, vcc_lo, s10, v19
	v_mov_b32_e32 v30, v2
	v_add_co_ci_u32_e32 v14, vcc_lo, s11, v20, vcc_lo
	v_add_co_u32 v27, vcc_lo, s8, v9
	v_add_co_ci_u32_e32 v28, vcc_lo, s9, v10, vcc_lo
	s_delay_alu instid0(VALU_DEP_4)
	v_mad_u64_u32 v[9:10], null, s3, 25, v[29:30]
	v_mov_b32_e32 v10, v2
	v_lshlrev_b64 v[3:4], 2, v[1:2]
	global_load_b32 v52, v[13:14], off
	v_add_co_u32 v13, vcc_lo, s6, v11
	v_add_co_ci_u32_e32 v14, vcc_lo, s7, v12, vcc_lo
	v_mad_u64_u32 v[33:34], null, 0xffffffee, s3, v[9:10]
	v_add_co_u32 v31, vcc_lo, s6, v3
	v_add_co_ci_u32_e32 v32, vcc_lo, s7, v4, vcc_lo
	v_add_co_u32 v19, vcc_lo, s8, v11
	s_delay_alu instid0(VALU_DEP_4)
	v_add_nc_u32_e32 v1, s2, v33
	v_add_co_ci_u32_e32 v20, vcc_lo, s9, v12, vcc_lo
	v_lshlrev_b64 v[11:12], 2, v[29:30]
	s_clause 0x1
	global_load_b32 v65, v[13:14], off
	global_load_b32 v64, v[31:32], off
	v_mad_u64_u32 v[29:30], null, 0xffffffe7, s3, v[1:2]
	v_mov_b32_e32 v30, v2
	v_add_co_u32 v11, vcc_lo, s10, v11
	v_add_co_ci_u32_e32 v12, vcc_lo, s11, v12, vcc_lo
	s_delay_alu instid0(VALU_DEP_3) | instskip(SKIP_2) | instid1(VALU_DEP_2)
	v_mad_u64_u32 v[31:32], null, s3, 26, v[29:30]
	v_mov_b32_e32 v34, v2
	v_mov_b32_e32 v32, v2
	v_lshlrev_b64 v[13:14], 2, v[33:34]
	s_delay_alu instid0(VALU_DEP_2) | instskip(NEXT) | instid1(VALU_DEP_2)
	v_lshlrev_b64 v[35:36], 2, v[31:32]
	v_add_co_u32 v13, vcc_lo, s10, v13
	s_delay_alu instid0(VALU_DEP_3)
	v_add_co_ci_u32_e32 v14, vcc_lo, s11, v14, vcc_lo
	v_add_co_u32 v39, vcc_lo, s8, v16
	v_add_co_ci_u32_e32 v40, vcc_lo, s9, v17, vcc_lo
	v_add_nc_u32_e32 v17, s1, v23
	v_lshlrev_b64 v[9:10], 2, v[9:10]
	s_clause 0x1
	global_load_b32 v55, v[11:12], off
	global_load_b32 v54, v[13:14], off
	v_lshlrev_b64 v[11:12], 2, v[1:2]
	v_add_nc_u32_e32 v1, s3, v31
	v_lshlrev_b64 v[23:24], 2, v[17:18]
	v_add_co_u32 v13, vcc_lo, s6, v9
	v_add_co_ci_u32_e32 v14, vcc_lo, s7, v10, vcc_lo
	v_add_co_u32 v41, vcc_lo, s8, v21
	v_add_co_ci_u32_e32 v42, vcc_lo, s9, v22, vcc_lo
	;; [unrolled: 2-line block ×3, first 2 shown]
	global_load_b32 v63, v[13:14], off
	v_add_co_u32 v21, vcc_lo, s6, v11
	global_load_b32 v67, v[17:18], off
	v_lshlrev_b64 v[13:14], 2, v[1:2]
	v_add_nc_u32_e32 v1, s3, v1
	v_lshlrev_b64 v[29:30], 2, v[29:30]
	v_add_co_ci_u32_e32 v22, vcc_lo, s7, v12, vcc_lo
	s_delay_alu instid0(VALU_DEP_3) | instskip(SKIP_1) | instid1(VALU_DEP_4)
	v_lshlrev_b64 v[15:16], 2, v[1:2]
	v_add_nc_u32_e32 v1, s4, v1
	v_add_co_u32 v29, vcc_lo, s10, v29
	v_add_co_ci_u32_e32 v30, vcc_lo, s11, v30, vcc_lo
	global_load_b32 v66, v[21:22], off
	global_load_b32 v59, v[29:30], off
	v_add_co_u32 v43, vcc_lo, s8, v23
	v_add_co_ci_u32_e32 v44, vcc_lo, s9, v24, vcc_lo
	v_add_co_u32 v68, vcc_lo, s6, v35
	v_lshlrev_b64 v[33:34], 2, v[1:2]
	v_add_co_ci_u32_e32 v69, vcc_lo, s7, v36, vcc_lo
	v_add_co_u32 v70, vcc_lo, s6, v13
	v_add_co_ci_u32_e32 v71, vcc_lo, s7, v14, vcc_lo
	v_add_co_u32 v74, vcc_lo, s6, v15
	v_add_co_ci_u32_e32 v75, vcc_lo, s7, v16, vcc_lo
	v_add_co_u32 v33, vcc_lo, s10, v33
	v_add_co_ci_u32_e32 v34, vcc_lo, s11, v34, vcc_lo
	s_waitcnt vmcnt(24)
	v_mul_f32_e32 v29, s0, v25
	s_delay_alu instid0(VALU_DEP_1) | instskip(NEXT) | instid1(VALU_DEP_1)
	v_mul_f32_e32 v86, 0x4c9e9632, v29
	v_div_scale_f32 v72, null, v86, v86, 1.0
	s_delay_alu instid0(VALU_DEP_1) | instskip(SKIP_1) | instid1(VALU_DEP_1)
	v_rcp_f32_e32 v84, v72
	v_add_nc_u32_e32 v1, s1, v1
	v_lshlrev_b64 v[17:18], 2, v[1:2]
	s_delay_alu instid0(VALU_DEP_1) | instskip(NEXT) | instid1(VALU_DEP_2)
	v_add_co_u32 v76, vcc_lo, s6, v17
	v_add_co_ci_u32_e32 v77, vcc_lo, s7, v18, vcc_lo
	s_clause 0x2
	global_load_b32 v78, v[68:69], off
	global_load_b32 v73, v[70:71], off
	;; [unrolled: 1-line block ×5, first 2 shown]
	v_fma_f32 v69, -v72, v84, 1.0
	v_div_scale_f32 v85, vcc_lo, 1.0, v86, 1.0
	s_delay_alu instid0(VALU_DEP_2) | instskip(SKIP_1) | instid1(VALU_DEP_1)
	v_dual_fmac_f32 v84, v69, v84 :: v_dual_add_nc_u32 v1, s3, v1
	s_waitcnt vmcnt(27)
	v_dual_mul_f32 v87, v0, v51 :: v_dual_mul_f32 v88, v85, v84
	s_delay_alu instid0(VALU_DEP_2) | instskip(SKIP_1) | instid1(VALU_DEP_3)
	v_lshlrev_b64 v[21:22], 2, v[1:2]
	v_add_nc_u32_e32 v1, s3, v1
	v_fma_f32 v82, -v72, v88, v85
	s_delay_alu instid0(VALU_DEP_2)
	v_lshlrev_b64 v[23:24], 2, v[1:2]
	v_add_nc_u32_e32 v1, s3, v1
	s_waitcnt vmcnt(26)
	v_mul_f32_e32 v90, v51, v45
	v_fmac_f32_e32 v88, v82, v84
	v_div_scale_f32 v69, null, v87, v87, 1.0
	v_lshlrev_b64 v[25:26], 2, v[1:2]
	v_add_nc_u32_e32 v1, s3, v1
	v_add_co_u32 v74, s0, s6, v21
	s_delay_alu instid0(VALU_DEP_4) | instskip(SKIP_1) | instid1(VALU_DEP_3)
	v_rcp_f32_e32 v89, v69
	v_div_scale_f32 v91, null, v90, v90, 1.0
	v_lshlrev_b64 v[29:30], 2, v[1:2]
	v_add_nc_u32_e32 v1, s3, v1
	v_add_co_ci_u32_e64 v75, s0, s7, v22, s0
	s_delay_alu instid0(VALU_DEP_4) | instskip(SKIP_1) | instid1(VALU_DEP_3)
	v_rcp_f32_e32 v93, v91
	v_fma_f32 v72, -v72, v88, v85
	v_lshlrev_b64 v[31:32], 2, v[1:2]
	v_add_nc_u32_e32 v1, s3, v1
	global_load_b32 v94, v[74:75], off
	v_div_fmas_f32 v88, v72, v84, v88
	v_add_co_u32 v84, vcc_lo, s6, v25
	v_lshlrev_b64 v[37:38], 2, v[1:2]
	v_add_nc_u32_e32 v1, s3, v1
	v_add_co_ci_u32_e32 v85, vcc_lo, s7, v26, vcc_lo
	v_div_fixup_f32 v86, v88, v86, 1.0
	s_delay_alu instid0(VALU_DEP_3) | instskip(NEXT) | instid1(VALU_DEP_2)
	v_lshlrev_b64 v[33:34], 2, v[1:2]
	v_dual_mul_f32 v86, 0x49776020, v86 :: v_dual_add_nc_u32 v1, s3, v1
	s_delay_alu instid0(VALU_DEP_1) | instskip(SKIP_1) | instid1(VALU_DEP_1)
	v_mad_u64_u32 v[79:80], null, 0xffffffdd, s3, v[1:2]
	v_mov_b32_e32 v80, v2
	v_lshlrev_b64 v[76:77], 2, v[79:80]
	v_add_co_u32 v80, s0, s6, v23
	s_delay_alu instid0(VALU_DEP_1) | instskip(NEXT) | instid1(VALU_DEP_3)
	v_add_co_ci_u32_e64 v81, s0, s7, v24, s0
	v_add_co_u32 v82, s0, s10, v76
	v_fma_f32 v76, -v69, v89, 1.0
	v_add_co_ci_u32_e64 v83, s0, s11, v77, s0
	v_div_scale_f32 v92, s0, 1.0, v87, 1.0
	s_delay_alu instid0(VALU_DEP_3)
	v_fmac_f32_e32 v89, v76, v89
	global_load_b32 v77, v[80:81], off
	v_fma_f32 v74, -v91, v93, 1.0
	s_mov_b32 vcc_lo, s0
	global_load_b32 v75, v[84:85], off
	v_mul_f32_e32 v72, v92, v89
	v_fmac_f32_e32 v93, v74, v93
	v_div_scale_f32 v74, s1, 1.0, v90, 1.0
	s_delay_alu instid0(VALU_DEP_3) | instskip(NEXT) | instid1(VALU_DEP_2)
	v_fma_f32 v76, -v69, v72, v92
	v_mul_f32_e32 v95, v74, v93
	s_delay_alu instid0(VALU_DEP_2) | instskip(NEXT) | instid1(VALU_DEP_2)
	v_fmac_f32_e32 v72, v76, v89
	v_fma_f32 v76, -v91, v95, v74
	s_delay_alu instid0(VALU_DEP_2) | instskip(NEXT) | instid1(VALU_DEP_2)
	v_fma_f32 v69, -v69, v72, v92
	v_fmac_f32_e32 v95, v76, v93
	s_delay_alu instid0(VALU_DEP_2)
	v_div_fmas_f32 v89, v69, v89, v72
	v_add_co_u32 v80, vcc_lo, s6, v29
	v_add_co_ci_u32_e32 v81, vcc_lo, s7, v30, vcc_lo
	v_add_co_u32 v84, vcc_lo, s6, v31
	v_fma_f32 v69, -v91, v95, v74
	v_add_co_ci_u32_e32 v85, vcc_lo, s7, v32, vcc_lo
	s_waitcnt vmcnt(28)
	v_div_scale_f32 v91, null, v53, v53, 1.0
	s_mov_b32 vcc_lo, s1
	s_clause 0x1
	global_load_b32 v74, v[84:85], off
	global_load_b32 v76, v[80:81], off
	v_rcp_f32_e32 v84, v91
	v_div_fmas_f32 v85, v69, v93, v95
	v_add_co_u32 v80, vcc_lo, s6, v37
	v_add_co_ci_u32_e32 v81, vcc_lo, s7, v38, vcc_lo
	s_delay_alu instid0(VALU_DEP_3) | instskip(SKIP_3) | instid1(VALU_DEP_2)
	v_div_fixup_f32 v85, v85, v90, 1.0
	global_load_b32 v72, v[80:81], off
	v_fma_f32 v69, -v91, v84, 1.0
	v_div_scale_f32 v80, s0, 1.0, v53, 1.0
	v_fmac_f32_e32 v84, v69, v84
	global_load_b32 v69, v[82:83], off
	s_waitcnt vmcnt(30)
	v_mul_f32_e32 v83, v46, v57
	v_mul_f32_e32 v57, v57, v0
	;; [unrolled: 1-line block ×3, first 2 shown]
	s_delay_alu instid0(VALU_DEP_2) | instskip(NEXT) | instid1(VALU_DEP_2)
	v_mul_f32_e32 v57, v57, v85
	v_fma_f32 v82, -v91, v81, v80
	s_delay_alu instid0(VALU_DEP_1) | instskip(SKIP_1) | instid1(VALU_DEP_2)
	v_fmac_f32_e32 v81, v82, v84
	v_div_fixup_f32 v82, v89, v87, 1.0
	v_fma_f32 v80, -v91, v81, v80
	s_delay_alu instid0(VALU_DEP_2) | instskip(SKIP_2) | instid1(VALU_DEP_2)
	v_mul_f32_e32 v82, v83, v82
	s_waitcnt vmcnt(29)
	v_div_scale_f32 v83, null, v50, v50, 1.0
	v_min_f32_e32 v82, 0x7cf0bdc2, v82
	s_delay_alu instid0(VALU_DEP_2) | instskip(SKIP_1) | instid1(VALU_DEP_1)
	v_rcp_f32_e32 v87, v83
	s_waitcnt vmcnt(25)
	v_mul_f32_e32 v60, v60, v82
	v_div_scale_f32 v82, vcc_lo, 1.0, v50, 1.0
	global_store_b32 v[27:28], v60, off
	v_fma_f32 v85, -v83, v87, 1.0
	v_min_f32_e32 v27, 0x7cf0bdc2, v57
	v_mul_f32_e32 v57, v46, v50
	v_mul_f32_e32 v28, v50, v48
	s_delay_alu instid0(VALU_DEP_4)
	v_dual_mul_f32 v60, v0, v50 :: v_dual_fmac_f32 v87, v85, v87
	s_waitcnt vmcnt(24)
	v_mul_f32_e32 v61, v61, v27
	s_waitcnt vmcnt(23)
	v_mul_f32_e32 v27, v62, v27
	v_mul_f32_e32 v62, v82, v87
	global_store_b32 v[39:40], v61, off
	v_div_scale_f32 v40, null, v57, v57, 1.0
	v_div_scale_f32 v39, null, v28, v28, 1.0
	v_fma_f32 v61, -v83, v62, v82
	global_store_b32 v[41:42], v27, off
	v_div_scale_f32 v41, null, v60, v60, 1.0
	v_rcp_f32_e32 v27, v39
	v_fmac_f32_e32 v62, v61, v87
	v_rcp_f32_e32 v61, v40
	s_delay_alu instid0(VALU_DEP_1) | instskip(SKIP_1) | instid1(TRANS32_DEP_3)
	v_fma_f32 v82, -v83, v62, v82
	v_rcp_f32_e32 v83, v41
	v_fma_f32 v88, -v39, v27, 1.0
	s_delay_alu instid0(VALU_DEP_2) | instskip(SKIP_4) | instid1(VALU_DEP_3)
	v_div_fmas_f32 v62, v82, v87, v62
	s_waitcnt_depctr 0xfff
	v_fma_f32 v87, -v40, v61, 1.0
	v_fmac_f32_e32 v27, v88, v27
	v_div_scale_f32 v88, vcc_lo, 1.0, v28, 1.0
	v_fmac_f32_e32 v61, v87, v61
	v_mul_f32_e32 v89, v49, v48
	v_div_fixup_f32 v62, v62, v50, 1.0
	s_delay_alu instid0(VALU_DEP_4) | instskip(NEXT) | instid1(VALU_DEP_3)
	v_mul_f32_e32 v87, v88, v27
	v_div_scale_f32 v85, null, v89, v89, 1.0
	s_delay_alu instid0(VALU_DEP_1) | instskip(SKIP_2) | instid1(VALU_DEP_1)
	v_rcp_f32_e32 v42, v85
	s_waitcnt_depctr 0xfff
	v_fma_f32 v82, -v85, v42, 1.0
	v_fmac_f32_e32 v42, v82, v42
	v_fma_f32 v82, -v41, v83, 1.0
	s_delay_alu instid0(VALU_DEP_1) | instskip(SKIP_1) | instid1(VALU_DEP_1)
	v_fmac_f32_e32 v83, v82, v83
	v_fma_f32 v82, -v39, v87, v88
	v_fmac_f32_e32 v87, v82, v27
	v_div_scale_f32 v82, s1, 1.0, v57, 1.0
	s_delay_alu instid0(VALU_DEP_2) | instskip(NEXT) | instid1(VALU_DEP_2)
	v_fma_f32 v39, -v39, v87, v88
	v_mul_f32_e32 v88, v82, v61
	s_delay_alu instid0(VALU_DEP_2) | instskip(NEXT) | instid1(VALU_DEP_2)
	v_div_fmas_f32 v27, v39, v27, v87
	v_fma_f32 v39, -v40, v88, v82
	s_mov_b32 vcc_lo, s0
	v_div_scale_f32 v87, s2, 1.0, v60, 1.0
	v_div_fmas_f32 v80, v80, v84, v81
	s_delay_alu instid0(VALU_DEP_3)
	v_fmac_f32_e32 v88, v39, v61
	s_mov_b32 vcc_lo, s1
	v_div_fixup_f32 v90, v27, v28, 1.0
	s_waitcnt vmcnt(20)
	v_mul_f32_e32 v27, v49, v52
	v_div_fixup_f32 v80, v80, v53, 1.0
	v_fma_f32 v40, -v40, v88, v82
	v_mul_f32_e32 v82, v46, v49
	v_div_scale_f32 v84, s0, 1.0, v89, 1.0
	s_delay_alu instid0(VALU_DEP_3) | instskip(NEXT) | instid1(VALU_DEP_3)
	v_div_fmas_f32 v40, v40, v61, v88
	v_dual_mul_f32 v82, v86, v82 :: v_dual_mul_f32 v61, v0, v49
	s_mov_b32 vcc_lo, s2
	s_waitcnt vmcnt(16)
	v_mul_f32_e32 v88, v48, v54
	s_delay_alu instid0(VALU_DEP_2) | instskip(NEXT) | instid1(VALU_DEP_1)
	v_mul_f32_e32 v28, v62, v82
	v_min_f32_e32 v28, 0x7cf0bdc2, v28
	v_div_fixup_f32 v40, v40, v57, 1.0
	s_waitcnt vmcnt(14)
	s_delay_alu instid0(VALU_DEP_2) | instskip(NEXT) | instid1(VALU_DEP_1)
	v_dual_mul_f32 v57, v61, v90 :: v_dual_mul_f32 v28, v67, v28
	v_dual_mul_f32 v27, v40, v27 :: v_dual_min_f32 v40, 0x7cf0bdc2, v57
	s_delay_alu instid0(VALU_DEP_1)
	v_dual_min_f32 v27, 0x7cf0bdc2, v27 :: v_dual_mul_f32 v40, v56, v40
	v_mul_f32_e32 v39, v87, v83
	s_clause 0x1
	global_store_b32 v[43:44], v28, off
	global_store_b32 v[5:6], v40, off
	v_mul_f32_e32 v27, v65, v27
	v_fma_f32 v81, -v41, v39, v87
	v_lshlrev_b64 v[5:6], 2, v[1:2]
	v_div_scale_f32 v44, s1, 1.0, v88, 1.0
	s_delay_alu instid0(VALU_DEP_3) | instskip(SKIP_1) | instid1(VALU_DEP_2)
	v_fmac_f32_e32 v39, v81, v83
	v_mul_f32_e32 v81, v84, v42
	v_fma_f32 v41, -v41, v39, v87
	s_delay_alu instid0(VALU_DEP_2) | instskip(NEXT) | instid1(VALU_DEP_2)
	v_fma_f32 v87, -v85, v81, v84
	v_div_fmas_f32 v39, v41, v83, v39
	v_mul_f32_e32 v83, v49, v47
	v_div_scale_f32 v41, null, v88, v88, 1.0
	s_delay_alu instid0(VALU_DEP_4) | instskip(NEXT) | instid1(VALU_DEP_4)
	v_fmac_f32_e32 v81, v87, v42
	v_div_fixup_f32 v39, v39, v60, 1.0
	s_delay_alu instid0(VALU_DEP_4) | instskip(NEXT) | instid1(VALU_DEP_4)
	v_mul_f32_e32 v62, v86, v83
	v_rcp_f32_e32 v87, v41
	s_delay_alu instid0(VALU_DEP_1) | instskip(NEXT) | instid1(VALU_DEP_1)
	v_mul_f32_e32 v62, v80, v62
	v_min_f32_e32 v57, 0x7cf0bdc2, v62
	s_waitcnt_depctr 0xfff
	v_fma_f32 v60, -v41, v87, 1.0
	v_mul_f32_e32 v56, v58, v57
	s_clause 0x1
	global_store_b32 v[7:8], v56, off
	global_store_b32 v[19:20], v27, off
	v_mad_u64_u32 v[7:8], null, s3, 36, v[79:80]
	v_add_co_u32 v19, vcc_lo, s6, v33
	v_add_co_ci_u32_e32 v20, vcc_lo, s7, v34, vcc_lo
	v_mov_b32_e32 v8, v2
	v_add_co_u32 v27, vcc_lo, s6, v5
	global_load_b32 v57, v[19:20], off
	v_add_co_ci_u32_e32 v28, vcc_lo, s7, v6, vcc_lo
	v_lshlrev_b64 v[19:20], 2, v[7:8]
	v_add_nc_u32_e32 v1, s3, v7
	v_fmac_f32_e32 v87, v60, v87
	v_mul_f32_e32 v51, v51, v49
	global_load_b32 v60, v[27:28], off
	s_waitcnt vmcnt(14)
	v_mul_f32_e32 v56, v48, v59
	v_add_co_u32 v7, vcc_lo, s6, v19
	v_add_co_ci_u32_e32 v8, vcc_lo, s7, v20, vcc_lo
	v_mul_f32_e32 v39, v51, v39
	s_delay_alu instid0(VALU_DEP_4)
	v_div_scale_f32 v58, null, v56, v56, 1.0
	global_load_b32 v67, v[7:8], off
	v_lshlrev_b64 v[27:28], 2, v[1:2]
	v_add_nc_u32_e32 v1, s3, v1
	v_min_f32_e32 v39, 0x7cf0bdc2, v39
	v_fma_f32 v62, -v85, v81, v84
	v_rcp_f32_e32 v65, v58
	s_delay_alu instid0(VALU_DEP_3) | instskip(SKIP_3) | instid1(VALU_DEP_4)
	v_lshlrev_b64 v[1:2], 2, v[1:2]
	v_add_co_u32 v7, vcc_lo, s6, v27
	v_add_co_ci_u32_e32 v8, vcc_lo, s7, v28, vcc_lo
	v_mul_f32_e32 v43, v39, v64
	v_add_co_u32 v39, vcc_lo, s6, v1
	v_add_co_ci_u32_e32 v40, vcc_lo, s7, v2, vcc_lo
	global_load_b32 v79, v[7:8], off
	s_mov_b32 vcc_lo, s0
	v_mul_f32_e32 v64, v44, v87
	global_load_b32 v39, v[39:40], off
	v_div_fmas_f32 v7, v62, v42, v81
	v_fma_f32 v42, -v58, v65, 1.0
	v_mul_f32_e32 v40, v46, v55
	v_fma_f32 v8, -v41, v64, v44
	v_add_co_u32 v3, vcc_lo, s8, v3
	v_div_fixup_f32 v62, v7, v89, 1.0
	v_mul_f32_e32 v7, v48, v53
	s_delay_alu instid0(VALU_DEP_4) | instskip(SKIP_1) | instid1(VALU_DEP_3)
	v_dual_fmac_f32 v64, v8, v87 :: v_dual_fmac_f32 v65, v42, v65
	v_div_scale_f32 v8, s0, 1.0, v56, 1.0
	v_div_scale_f32 v42, null, v7, v7, 1.0
	v_add_co_ci_u32_e32 v4, vcc_lo, s9, v4, vcc_lo
	v_mul_f32_e32 v40, v62, v40
	v_fma_f32 v41, -v41, v64, v44
	s_delay_alu instid0(VALU_DEP_4)
	v_rcp_f32_e32 v53, v42
	s_mov_b32 vcc_lo, s1
	v_mul_f32_e32 v44, v8, v65
	global_store_b32 v[3:4], v43, off
	v_div_fmas_f32 v41, v41, v87, v64
	v_dual_min_f32 v3, 0x7cf0bdc2, v40 :: v_dual_mul_f32 v4, v0, v55
	v_fma_f32 v64, -v58, v44, v8
	s_mov_b32 vcc_lo, s0
	s_delay_alu instid0(VALU_DEP_3) | instskip(SKIP_3) | instid1(VALU_DEP_3)
	v_div_fixup_f32 v40, v41, v88, 1.0
	v_fma_f32 v41, -v42, v53, 1.0
	v_mul_f32_e32 v43, v63, v3
	v_dual_mul_f32 v63, v46, v54 :: v_dual_fmac_f32 v44, v64, v65
	v_dual_mul_f32 v64, v4, v40 :: v_dual_fmac_f32 v53, v41, v53
	v_mul_f32_e32 v0, v0, v54
	s_delay_alu instid0(VALU_DEP_3) | instskip(NEXT) | instid1(VALU_DEP_4)
	v_div_scale_f32 v41, null, v63, v63, 1.0
	v_fma_f32 v3, -v58, v44, v8
	v_div_scale_f32 v8, s1, 1.0, v7, 1.0
	s_delay_alu instid0(VALU_DEP_3) | instskip(NEXT) | instid1(VALU_DEP_2)
	v_rcp_f32_e32 v58, v41
	v_div_fmas_f32 v44, v3, v65, v44
	s_delay_alu instid0(VALU_DEP_2)
	v_mul_f32_e32 v65, v8, v53
	v_add_co_u32 v3, vcc_lo, s8, v9
	v_add_co_ci_u32_e32 v4, vcc_lo, s9, v10, vcc_lo
	v_dual_min_f32 v9, 0x7cf0bdc2, v64 :: v_dual_mul_f32 v10, v47, v55
	v_div_fixup_f32 v44, v44, v56, 1.0
	v_fma_f32 v64, -v42, v65, v8
	s_delay_alu instid0(TRANS32_DEP_1)
	v_fma_f32 v81, -v41, v58, 1.0
	global_store_b32 v[3:4], v43, off
	s_mov_b32 vcc_lo, s1
	v_mul_f32_e32 v3, v10, v44
	v_dual_fmac_f32 v65, v64, v53 :: v_dual_fmac_f32 v58, v81, v58
	v_div_scale_f32 v10, s0, 1.0, v63, 1.0
	s_delay_alu instid0(VALU_DEP_3) | instskip(NEXT) | instid1(VALU_DEP_3)
	v_min_f32_e32 v43, 0x7cf0bdc2, v3
	v_fma_f32 v3, -v42, v65, v8
	s_waitcnt vmcnt(13)
	v_div_scale_f32 v42, null, v71, v71, 1.0
	v_mul_f32_e32 v44, v10, v58
	v_mul_f32_e32 v9, v66, v9
	v_div_fmas_f32 v8, v3, v53, v65
	v_add_co_u32 v3, vcc_lo, s8, v11
	s_delay_alu instid0(VALU_DEP_4)
	v_fma_f32 v64, -v41, v44, v10
	v_add_co_ci_u32_e32 v4, vcc_lo, s9, v12, vcc_lo
	v_rcp_f32_e32 v53, v42
	v_mul_f32_e32 v11, v78, v43
	v_div_fixup_f32 v43, v8, v7, 1.0
	v_fmac_f32_e32 v44, v64, v58
	v_add_co_u32 v7, vcc_lo, s8, v35
	v_mul_f32_e32 v35, v49, v54
	v_add_co_ci_u32_e32 v8, vcc_lo, s9, v36, vcc_lo
	s_delay_alu instid0(VALU_DEP_4) | instskip(SKIP_1) | instid1(VALU_DEP_3)
	v_fma_f32 v10, -v41, v44, v10
	s_mov_b32 vcc_lo, s0
	v_div_scale_f32 v41, null, v35, v35, 1.0
	v_fma_f32 v64, -v42, v53, 1.0
	s_delay_alu instid0(VALU_DEP_3) | instskip(SKIP_1) | instid1(VALU_DEP_4)
	v_div_fmas_f32 v10, v10, v58, v44
	v_mul_f32_e32 v12, v45, v55
	v_rcp_f32_e32 v44, v41
	v_div_scale_f32 v36, s1, 1.0, v71, 1.0
	s_delay_alu instid0(VALU_DEP_2)
	v_dual_fmac_f32 v53, v64, v53 :: v_dual_mul_f32 v12, v43, v12
	s_clause 0x1
	global_store_b32 v[3:4], v9, off
	global_store_b32 v[7:8], v11, off
	v_mul_f32_e32 v58, v52, v55
	v_div_fixup_f32 v10, v10, v63, 1.0
	v_dual_mul_f32 v43, v36, v53 :: v_dual_min_f32 v12, 0x7cf0bdc2, v12
	v_fma_f32 v9, -v41, v44, 1.0
	v_add_co_u32 v3, vcc_lo, s8, v13
	s_delay_alu instid0(VALU_DEP_3) | instskip(NEXT) | instid1(VALU_DEP_3)
	v_fma_f32 v64, -v42, v43, v36
	v_dual_mul_f32 v7, v12, v73 :: v_dual_fmac_f32 v44, v9, v44
	v_div_scale_f32 v9, s0, 1.0, v35, 1.0
	s_delay_alu instid0(VALU_DEP_3) | instskip(SKIP_1) | instid1(VALU_DEP_3)
	v_dual_fmac_f32 v43, v64, v53 :: v_dual_mul_f32 v8, v58, v10
	v_add_co_ci_u32_e32 v4, vcc_lo, s9, v14, vcc_lo
	v_mul_f32_e32 v12, v9, v44
	s_delay_alu instid0(VALU_DEP_3) | instskip(SKIP_2) | instid1(VALU_DEP_3)
	v_fma_f32 v10, -v42, v43, v36
	v_div_scale_f32 v13, null, v83, v83, 1.0
	s_mov_b32 vcc_lo, s1
	v_fma_f32 v14, -v41, v12, v9
	v_mul_f32_e32 v11, v49, v55
	v_div_fmas_f32 v10, v10, v53, v43
	global_store_b32 v[3:4], v7, off
	v_rcp_f32_e32 v7, v13
	v_fmac_f32_e32 v12, v14, v44
	v_dual_min_f32 v8, 0x7cf0bdc2, v8 :: v_dual_mul_f32 v11, v86, v11
	v_div_fixup_f32 v10, v10, v71, 1.0
	v_add_co_u32 v3, vcc_lo, s8, v15
	s_delay_alu instid0(VALU_DEP_4)
	v_fma_f32 v9, -v41, v12, v9
	v_div_scale_f32 v14, null, v61, v61, 1.0
	v_add_co_ci_u32_e32 v4, vcc_lo, s9, v16, vcc_lo
	v_mul_f32_e32 v8, v8, v70
	s_mov_b32 vcc_lo, s0
	v_mul_f32_e32 v10, v11, v10
	v_fma_f32 v11, -v13, v7, 1.0
	v_div_fmas_f32 v9, v9, v44, v12
	v_rcp_f32_e32 v12, v14
	global_store_b32 v[3:4], v8, off
	v_add_co_u32 v3, s0, s8, v17
	v_dual_min_f32 v10, 0x7cf0bdc2, v10 :: v_dual_fmac_f32 v7, v11, v7
	v_div_scale_f32 v11, vcc_lo, 1.0, v83, 1.0
	v_add_co_ci_u32_e64 v4, s0, s9, v18, s0
	v_mul_f32_e32 v18, v45, v49
	s_waitcnt vmcnt(12)
	v_mul_f32_e32 v8, v68, v10
	v_mul_f32_e32 v10, v50, v55
	v_div_fixup_f32 v9, v9, v35, 1.0
	v_mul_f32_e32 v15, v11, v7
	v_fma_f32 v16, -v14, v12, 1.0
	v_div_scale_f32 v35, null, v18, v18, 1.0
	s_delay_alu instid0(VALU_DEP_4)
	v_mul_f32_e32 v9, v10, v9
	v_mul_f32_e32 v10, v86, v88
	v_fma_f32 v17, -v13, v15, v11
	v_fmac_f32_e32 v12, v16, v12
	v_div_scale_f32 v16, s0, 1.0, v61, 1.0
	v_rcp_f32_e32 v36, v35
	s_delay_alu instid0(VALU_DEP_3) | instskip(NEXT) | instid1(VALU_DEP_2)
	v_dual_mul_f32 v10, v80, v10 :: v_dual_fmac_f32 v15, v17, v7
	v_mul_f32_e32 v17, v16, v12
	global_store_b32 v[3:4], v8, off
	v_dual_min_f32 v9, 0x7cf0bdc2, v9 :: v_dual_min_f32 v8, 0x7cf0bdc2, v10
	v_fma_f32 v3, -v13, v15, v11
	v_fma_f32 v4, -v14, v17, v16
	v_fma_f32 v10, -v35, v36, 1.0
	s_waitcnt vmcnt(10)
	v_mul_f32_e32 v11, v8, v77
	v_div_fmas_f32 v7, v3, v7, v15
	v_fmac_f32_e32 v17, v4, v12
	v_add_co_u32 v3, vcc_lo, s8, v21
	v_fmac_f32_e32 v36, v10, v36
	v_div_scale_f32 v10, s1, 1.0, v18, 1.0
	s_delay_alu instid0(VALU_DEP_4) | instskip(SKIP_2) | instid1(VALU_DEP_4)
	v_fma_f32 v8, -v14, v17, v16
	v_div_fixup_f32 v7, v7, v83, 1.0
	v_add_co_ci_u32_e32 v4, vcc_lo, s9, v22, vcc_lo
	v_mul_f32_e32 v14, v10, v36
	s_mov_b32 vcc_lo, s0
	s_delay_alu instid0(VALU_DEP_3)
	v_mul_f32_e32 v13, v7, v88
	v_div_fmas_f32 v12, v8, v12, v17
	v_add_co_u32 v7, vcc_lo, s8, v23
	v_fma_f32 v15, -v35, v14, v10
	v_mul_f32_e32 v9, v9, v94
	v_add_co_ci_u32_e32 v8, vcc_lo, s9, v24, vcc_lo
	v_div_fixup_f32 v12, v12, v61, 1.0
	s_delay_alu instid0(VALU_DEP_4)
	v_fmac_f32_e32 v14, v15, v36
	s_clause 0x1
	global_store_b32 v[3:4], v9, off
	global_store_b32 v[7:8], v11, off
	v_add_co_u32 v3, vcc_lo, s8, v25
	v_mul_f32_e32 v8, v12, v63
	v_fma_f32 v9, -v35, v14, v10
	v_div_scale_f32 v10, null, v51, v51, 1.0
	v_add_co_ci_u32_e32 v4, vcc_lo, s9, v26, vcc_lo
	s_mov_b32 vcc_lo, s1
	s_delay_alu instid0(VALU_DEP_2) | instskip(SKIP_4) | instid1(VALU_DEP_3)
	v_rcp_f32_e32 v12, v10
	v_dual_min_f32 v13, 0x7cf0bdc2, v13 :: v_dual_min_f32 v8, 0x7cf0bdc2, v8
	v_div_fmas_f32 v9, v9, v36, v14
	s_waitcnt vmcnt(5)
	v_div_scale_f32 v14, null, v69, v69, 1.0
	v_mul_f32_e32 v7, v13, v75
	v_mul_f32_e32 v13, v8, v76
	v_div_fixup_f32 v8, v9, v18, 1.0
	v_mul_f32_e32 v11, v90, v63
	s_delay_alu instid0(TRANS32_DEP_1)
	v_fma_f32 v9, -v10, v12, 1.0
	v_rcp_f32_e32 v16, v14
	global_store_b32 v[3:4], v7, off
	v_add_co_u32 v3, vcc_lo, s8, v29
	v_dual_fmac_f32 v12, v9, v12 :: v_dual_mul_f32 v9, v48, v69
	v_min_f32_e32 v7, 0x7cf0bdc2, v11
	v_add_co_ci_u32_e32 v4, vcc_lo, s9, v30, vcc_lo
	v_div_scale_f32 v15, vcc_lo, 1.0, v51, 1.0
	s_delay_alu instid0(VALU_DEP_4) | instskip(NEXT) | instid1(VALU_DEP_4)
	v_div_scale_f32 v17, null, v9, v9, 1.0
	v_mul_f32_e32 v11, v7, v74
	v_add_co_u32 v7, s0, s8, v31
	s_delay_alu instid0(VALU_DEP_3) | instskip(SKIP_4) | instid1(VALU_DEP_4)
	v_rcp_f32_e32 v18, v17
	v_mul_f32_e32 v0, v8, v0
	v_mul_f32_e32 v21, v15, v12
	v_fma_f32 v22, -v14, v16, 1.0
	v_add_co_ci_u32_e64 v8, s0, s9, v32, s0
	v_min_f32_e32 v0, 0x7cf0bdc2, v0
	s_clause 0x1
	global_store_b32 v[3:4], v13, off
	global_store_b32 v[7:8], v11, off
	v_fma_f32 v7, -v10, v21, v15
	v_fmac_f32_e32 v16, v22, v16
	v_div_scale_f32 v8, s0, 1.0, v69, 1.0
	v_fma_f32 v11, -v17, v18, 1.0
	v_add_co_u32 v3, s1, s8, v37
	s_delay_alu instid0(VALU_DEP_1)
	v_add_co_ci_u32_e64 v4, s1, s9, v38, s1
	v_mul_f32_e32 v0, v0, v72
	v_mul_f32_e32 v13, v8, v16
	v_fmac_f32_e32 v21, v7, v12
	v_fmac_f32_e32 v18, v11, v18
	v_div_scale_f32 v7, s1, 1.0, v9, 1.0
	s_delay_alu instid0(VALU_DEP_4)
	v_fma_f32 v11, -v14, v13, v8
	global_store_b32 v[3:4], v0, off
	v_fma_f32 v3, -v10, v21, v15
	v_mul_f32_e32 v4, v7, v18
	v_dual_mul_f32 v0, v86, v54 :: v_dual_fmac_f32 v13, v11, v16
	v_mul_f32_e32 v11, v52, v54
	s_delay_alu instid0(VALU_DEP_4) | instskip(NEXT) | instid1(VALU_DEP_4)
	v_div_fmas_f32 v3, v3, v12, v21
	v_fma_f32 v10, -v17, v4, v7
	s_mov_b32 vcc_lo, s0
	v_fma_f32 v8, -v14, v13, v8
	v_mul_f32_e32 v0, v62, v0
	v_div_fixup_f32 v3, v3, v51, 1.0
	v_fmac_f32_e32 v4, v10, v18
	v_mul_f32_e32 v10, v86, v56
	v_div_fmas_f32 v8, v8, v16, v13
	s_mov_b32 vcc_lo, s1
	v_min_f32_e32 v0, 0x7cf0bdc2, v0
	v_fma_f32 v7, -v17, v4, v7
	v_mul_f32_e32 v3, v3, v11
	v_div_fixup_f32 v8, v8, v69, 1.0
	s_delay_alu instid0(VALU_DEP_3) | instskip(NEXT) | instid1(VALU_DEP_2)
	v_div_fmas_f32 v4, v7, v18, v4
	v_dual_mul_f32 v7, v10, v8 :: v_dual_mul_f32 v8, v47, v59
	s_waitcnt vmcnt(4)
	v_dual_mul_f32 v11, v0, v57 :: v_dual_min_f32 v0, 0x7cf0bdc2, v3
	s_delay_alu instid0(VALU_DEP_3)
	v_div_fixup_f32 v9, v4, v9, 1.0
	v_add_co_u32 v3, vcc_lo, s8, v33
	v_add_co_ci_u32_e32 v4, vcc_lo, s9, v34, vcc_lo
	s_waitcnt vmcnt(3)
	v_mul_f32_e32 v12, v0, v60
	v_dual_min_f32 v0, 0x7cf0bdc2, v7 :: v_dual_mul_f32 v7, v8, v9
	v_mul_f32_e32 v8, v46, v59
	v_add_co_u32 v5, vcc_lo, s8, v5
	v_add_co_ci_u32_e32 v6, vcc_lo, s9, v6, vcc_lo
	s_delay_alu instid0(VALU_DEP_3)
	v_mul_f32_e32 v9, v40, v8
	s_waitcnt vmcnt(2)
	v_dual_mul_f32 v13, v67, v0 :: v_dual_min_f32 v0, 0x7cf0bdc2, v7
	v_add_co_u32 v7, vcc_lo, s8, v19
	v_add_co_ci_u32_e32 v8, vcc_lo, s9, v20, vcc_lo
	s_waitcnt vmcnt(1)
	s_delay_alu instid0(VALU_DEP_3) | instskip(SKIP_4) | instid1(VALU_DEP_3)
	v_mul_f32_e32 v14, v79, v0
	v_min_f32_e32 v0, 0x7cf0bdc2, v9
	v_add_co_u32 v9, vcc_lo, s8, v27
	v_add_co_ci_u32_e32 v10, vcc_lo, s9, v28, vcc_lo
	s_waitcnt vmcnt(0)
	v_mul_f32_e32 v15, v0, v39
	v_add_co_u32 v0, vcc_lo, s8, v1
	v_add_co_ci_u32_e32 v1, vcc_lo, s9, v2, vcc_lo
	s_clause 0x4
	global_store_b32 v[3:4], v11, off
	global_store_b32 v[5:6], v12, off
	;; [unrolled: 1-line block ×5, first 2 shown]
	s_nop 0
	s_sendmsg sendmsg(MSG_DEALLOC_VGPRS)
	s_endpgm
	.section	.rodata,"a",@progbits
	.p2align	6, 0x0
	.amdhsa_kernel _Z12ratt3_kernelIfEvPKT_S2_PS0_S2_S0_
		.amdhsa_group_segment_fixed_size 0
		.amdhsa_private_segment_fixed_size 0
		.amdhsa_kernarg_size 296
		.amdhsa_user_sgpr_count 15
		.amdhsa_user_sgpr_dispatch_ptr 0
		.amdhsa_user_sgpr_queue_ptr 0
		.amdhsa_user_sgpr_kernarg_segment_ptr 1
		.amdhsa_user_sgpr_dispatch_id 0
		.amdhsa_user_sgpr_private_segment_size 0
		.amdhsa_wavefront_size32 1
		.amdhsa_uses_dynamic_stack 0
		.amdhsa_enable_private_segment 0
		.amdhsa_system_sgpr_workgroup_id_x 1
		.amdhsa_system_sgpr_workgroup_id_y 0
		.amdhsa_system_sgpr_workgroup_id_z 0
		.amdhsa_system_sgpr_workgroup_info 0
		.amdhsa_system_vgpr_workitem_id 0
		.amdhsa_next_free_vgpr 96
		.amdhsa_next_free_sgpr 16
		.amdhsa_reserve_vcc 1
		.amdhsa_float_round_mode_32 0
		.amdhsa_float_round_mode_16_64 0
		.amdhsa_float_denorm_mode_32 3
		.amdhsa_float_denorm_mode_16_64 3
		.amdhsa_dx10_clamp 1
		.amdhsa_ieee_mode 1
		.amdhsa_fp16_overflow 0
		.amdhsa_workgroup_processor_mode 1
		.amdhsa_memory_ordered 1
		.amdhsa_forward_progress 0
		.amdhsa_shared_vgpr_count 0
		.amdhsa_exception_fp_ieee_invalid_op 0
		.amdhsa_exception_fp_denorm_src 0
		.amdhsa_exception_fp_ieee_div_zero 0
		.amdhsa_exception_fp_ieee_overflow 0
		.amdhsa_exception_fp_ieee_underflow 0
		.amdhsa_exception_fp_ieee_inexact 0
		.amdhsa_exception_int_div_zero 0
	.end_amdhsa_kernel
	.section	.text._Z12ratt3_kernelIfEvPKT_S2_PS0_S2_S0_,"axG",@progbits,_Z12ratt3_kernelIfEvPKT_S2_PS0_S2_S0_,comdat
.Lfunc_end4:
	.size	_Z12ratt3_kernelIfEvPKT_S2_PS0_S2_S0_, .Lfunc_end4-_Z12ratt3_kernelIfEvPKT_S2_PS0_S2_S0_
                                        ; -- End function
	.section	.AMDGPU.csdata,"",@progbits
; Kernel info:
; codeLenInByte = 4748
; NumSgprs: 18
; NumVgprs: 96
; ScratchSize: 0
; MemoryBound: 0
; FloatMode: 240
; IeeeMode: 1
; LDSByteSize: 0 bytes/workgroup (compile time only)
; SGPRBlocks: 2
; VGPRBlocks: 11
; NumSGPRsForWavesPerEU: 18
; NumVGPRsForWavesPerEU: 96
; Occupancy: 16
; WaveLimiterHint : 0
; COMPUTE_PGM_RSRC2:SCRATCH_EN: 0
; COMPUTE_PGM_RSRC2:USER_SGPR: 15
; COMPUTE_PGM_RSRC2:TRAP_HANDLER: 0
; COMPUTE_PGM_RSRC2:TGID_X_EN: 1
; COMPUTE_PGM_RSRC2:TGID_Y_EN: 0
; COMPUTE_PGM_RSRC2:TGID_Z_EN: 0
; COMPUTE_PGM_RSRC2:TIDIG_COMP_CNT: 0
	.section	.text._Z12ratt4_kernelIfEvPKT_S2_PS0_S2_S0_,"axG",@progbits,_Z12ratt4_kernelIfEvPKT_S2_PS0_S2_S0_,comdat
	.protected	_Z12ratt4_kernelIfEvPKT_S2_PS0_S2_S0_ ; -- Begin function _Z12ratt4_kernelIfEvPKT_S2_PS0_S2_S0_
	.globl	_Z12ratt4_kernelIfEvPKT_S2_PS0_S2_S0_
	.p2align	8
	.type	_Z12ratt4_kernelIfEvPKT_S2_PS0_S2_S0_,@function
_Z12ratt4_kernelIfEvPKT_S2_PS0_S2_S0_:  ; @_Z12ratt4_kernelIfEvPKT_S2_PS0_S2_S0_
; %bb.0:
	s_clause 0x3
	s_load_b32 s2, s[0:1], 0x34
	s_load_b32 s3, s[0:1], 0x28
	s_load_b256 s[4:11], s[0:1], 0x0
	s_load_b32 s0, s[0:1], 0x20
	s_waitcnt lgkmcnt(0)
	s_and_b32 s2, s2, 0xffff
	s_delay_alu instid0(SALU_CYCLE_1) | instskip(SKIP_1) | instid1(SALU_CYCLE_1)
	v_mad_u64_u32 v[1:2], null, s15, s2, v[0:1]
	s_mul_i32 s2, s3, s2
	s_mul_i32 s12, s2, 3
	v_mov_b32_e32 v2, 0
	s_mul_i32 s3, s2, 0xffffffd1
	s_delay_alu instid0(VALU_DEP_1) | instskip(SKIP_2) | instid1(VALU_DEP_3)
	v_dual_mov_b32 v6, v2 :: v_dual_add_nc_u32 v5, s12, v1
	v_lshlrev_b64 v[3:4], 2, v[1:2]
	v_add_nc_u32_e32 v1, s2, v1
	v_mad_u64_u32 v[7:8], null, s2, 6, v[5:6]
	s_delay_alu instid0(VALU_DEP_3) | instskip(NEXT) | instid1(VALU_DEP_4)
	v_add_co_u32 v9, vcc_lo, s4, v3
	v_add_co_ci_u32_e32 v10, vcc_lo, s5, v4, vcc_lo
	v_mov_b32_e32 v8, v2
	s_mul_i32 s4, s2, 48
	v_lshlrev_b64 v[5:6], 2, v[5:6]
	global_load_b32 v23, v[9:10], off
	v_mad_u64_u32 v[9:10], null, s2, -5, v[7:8]
	v_mov_b32_e32 v10, v2
	s_delay_alu instid0(VALU_DEP_1) | instskip(SKIP_2) | instid1(VALU_DEP_2)
	v_mad_u64_u32 v[11:12], null, s2, 11, v[9:10]
	v_mov_b32_e32 v12, v2
	v_lshlrev_b64 v[9:10], 2, v[9:10]
	v_lshlrev_b64 v[12:13], 2, v[11:12]
	s_delay_alu instid0(VALU_DEP_2) | instskip(NEXT) | instid1(VALU_DEP_3)
	v_add_co_u32 v9, vcc_lo, s10, v9
	v_add_co_ci_u32_e32 v10, vcc_lo, s11, v10, vcc_lo
	s_delay_alu instid0(VALU_DEP_3) | instskip(NEXT) | instid1(VALU_DEP_4)
	v_add_co_u32 v12, vcc_lo, s10, v12
	v_add_co_ci_u32_e32 v13, vcc_lo, s11, v13, vcc_lo
	s_clause 0x1
	global_load_b32 v43, v[9:10], off
	global_load_b32 v0, v[12:13], off
	v_mad_u64_u32 v[12:13], null, s2, 13, v[1:2]
	v_mov_b32_e32 v13, v2
	v_lshlrev_b64 v[9:10], 2, v[1:2]
	s_delay_alu instid0(VALU_DEP_1) | instskip(NEXT) | instid1(VALU_DEP_2)
	v_add_co_u32 v9, vcc_lo, s10, v9
	v_add_co_ci_u32_e32 v10, vcc_lo, s11, v10, vcc_lo
	global_load_b32 v48, v[9:10], off
	s_waitcnt vmcnt(3)
	v_mul_f32_e32 v23, s0, v23
	s_delay_alu instid0(VALU_DEP_1) | instskip(NEXT) | instid1(VALU_DEP_1)
	v_mul_f32_e32 v69, 0x4c9e9632, v23
	v_div_scale_f32 v72, null, v69, v69, 1.0
	s_delay_alu instid0(VALU_DEP_1) | instskip(SKIP_3) | instid1(VALU_DEP_2)
	v_rcp_f32_e32 v74, v72
	s_waitcnt vmcnt(1)
	v_mul_f32_e32 v78, v43, v0
	v_lshlrev_b64 v[13:14], 2, v[12:13]
	v_div_scale_f32 v79, null, v78, v78, 1.0
	s_delay_alu instid0(VALU_DEP_2) | instskip(SKIP_4) | instid1(VALU_DEP_4)
	v_mad_u64_u32 v[15:16], null, s2, 37, v[12:13]
	v_mov_b32_e32 v16, v2
	v_add_co_u32 v9, vcc_lo, s10, v13
	v_add_co_ci_u32_e32 v10, vcc_lo, s11, v14, vcc_lo
	v_add_co_u32 v5, vcc_lo, s10, v5
	v_mad_u64_u32 v[12:13], null, 0xffffffdd, s2, v[15:16]
	v_mov_b32_e32 v13, v2
	global_load_b32 v46, v[9:10], off
	v_add_co_ci_u32_e32 v6, vcc_lo, s11, v6, vcc_lo
	v_rcp_f32_e32 v80, v79
	v_lshlrev_b64 v[9:10], 2, v[12:13]
	v_mad_u64_u32 v[13:14], null, s2, 35, v[11:12]
	v_mov_b32_e32 v14, v2
	s_delay_alu instid0(VALU_DEP_3) | instskip(NEXT) | instid1(VALU_DEP_4)
	v_add_co_u32 v9, vcc_lo, s10, v9
	v_add_co_ci_u32_e32 v10, vcc_lo, s11, v10, vcc_lo
	s_delay_alu instid0(VALU_DEP_4) | instskip(SKIP_4) | instid1(VALU_DEP_1)
	v_mad_u64_u32 v[17:18], null, s2, 36, v[12:13]
	global_load_b32 v44, v[9:10], off
	v_lshlrev_b64 v[9:10], 2, v[13:14]
	v_add_nc_u32_e32 v1, s3, v17
	v_lshlrev_b64 v[7:8], 2, v[7:8]
	v_add_co_u32 v7, vcc_lo, s10, v7
	s_delay_alu instid0(VALU_DEP_2)
	v_add_co_ci_u32_e32 v8, vcc_lo, s11, v8, vcc_lo
	s_clause 0x1
	global_load_b32 v45, v[5:6], off
	global_load_b32 v49, v[7:8], off
	v_lshlrev_b64 v[5:6], 2, v[1:2]
	v_add_nc_u32_e32 v1, s12, v1
	v_add_co_u32 v7, vcc_lo, s6, v9
	v_add_co_ci_u32_e32 v8, vcc_lo, s7, v10, vcc_lo
	s_delay_alu instid0(VALU_DEP_3)
	v_lshlrev_b64 v[11:12], 2, v[1:2]
	v_add_co_u32 v5, vcc_lo, s10, v5
	v_add_co_ci_u32_e32 v6, vcc_lo, s11, v6, vcc_lo
	global_load_b32 v41, v[7:8], off
	v_add_co_u32 v7, vcc_lo, s10, v11
	v_add_co_ci_u32_e32 v8, vcc_lo, s11, v12, vcc_lo
	s_clause 0x1
	global_load_b32 v47, v[5:6], off
	global_load_b32 v53, v[7:8], off
	v_mad_u64_u32 v[5:6], null, s2, 45, v[1:2]
	s_delay_alu instid0(VALU_DEP_1) | instskip(NEXT) | instid1(VALU_DEP_1)
	v_dual_mov_b32 v6, v2 :: v_dual_add_nc_u32 v1, s3, v5
	v_lshlrev_b64 v[5:6], 2, v[5:6]
	s_delay_alu instid0(VALU_DEP_2) | instskip(SKIP_1) | instid1(VALU_DEP_1)
	v_lshlrev_b64 v[7:8], 2, v[1:2]
	v_add_nc_u32_e32 v1, s4, v1
	v_mad_u64_u32 v[11:12], null, 0xffffffd7, s2, v[1:2]
	v_mov_b32_e32 v12, v2
	s_delay_alu instid0(VALU_DEP_1) | instskip(SKIP_2) | instid1(VALU_DEP_2)
	v_mad_u64_u32 v[13:14], null, s2, 12, v[11:12]
	v_mov_b32_e32 v14, v2
	v_lshlrev_b64 v[11:12], 2, v[11:12]
	v_lshlrev_b64 v[18:19], 2, v[13:14]
	;; [unrolled: 1-line block ×3, first 2 shown]
	s_delay_alu instid0(VALU_DEP_2) | instskip(NEXT) | instid1(VALU_DEP_3)
	v_add_co_u32 v18, vcc_lo, s10, v18
	v_add_co_ci_u32_e32 v19, vcc_lo, s11, v19, vcc_lo
	v_add_co_u32 v11, vcc_lo, s10, v11
	v_add_co_ci_u32_e32 v12, vcc_lo, s11, v12, vcc_lo
	global_load_b32 v56, v[18:19], off
	v_add_co_u32 v3, vcc_lo, s10, v3
	v_add_co_ci_u32_e32 v4, vcc_lo, s11, v4, vcc_lo
	s_clause 0x1
	global_load_b32 v52, v[11:12], off
	global_load_b32 v50, v[3:4], off
	v_add_co_u32 v3, vcc_lo, s6, v14
	v_add_co_ci_u32_e32 v4, vcc_lo, s7, v15, vcc_lo
	v_mov_b32_e32 v18, v2
	v_add_co_u32 v21, vcc_lo, s8, v14
	global_load_b32 v42, v[3:4], off
	v_add_co_ci_u32_e32 v22, vcc_lo, s9, v15, vcc_lo
	v_lshlrev_b64 v[3:4], 2, v[17:18]
	v_add_co_u32 v39, vcc_lo, s8, v9
	v_mad_u64_u32 v[11:12], null, s2, 30, v[13:14]
	v_add_co_ci_u32_e32 v40, vcc_lo, s9, v10, vcc_lo
	s_delay_alu instid0(VALU_DEP_4) | instskip(SKIP_4) | instid1(VALU_DEP_4)
	v_add_co_u32 v9, vcc_lo, s6, v3
	v_mov_b32_e32 v12, v2
	v_add_co_ci_u32_e32 v10, vcc_lo, s7, v4, vcc_lo
	v_add_co_u32 v13, vcc_lo, s8, v3
	v_add_co_ci_u32_e32 v14, vcc_lo, s9, v4, vcc_lo
	v_mad_u64_u32 v[3:4], null, 0xffffffdb, s2, v[11:12]
	v_mov_b32_e32 v4, v2
	global_load_b32 v57, v[9:10], off
	v_add_co_u32 v9, vcc_lo, s6, v5
	v_add_co_ci_u32_e32 v10, vcc_lo, s7, v6, vcc_lo
	v_add_co_u32 v7, vcc_lo, s10, v7
	v_lshlrev_b64 v[15:16], 2, v[3:4]
	v_add_co_ci_u32_e32 v8, vcc_lo, s11, v8, vcc_lo
	v_add_co_u32 v17, vcc_lo, s8, v5
	v_add_co_ci_u32_e32 v18, vcc_lo, s9, v6, vcc_lo
	s_delay_alu instid0(VALU_DEP_4)
	v_add_co_u32 v6, vcc_lo, s10, v15
	global_load_b32 v59, v[9:10], off
	global_load_b32 v51, v[7:8], off
	v_add_co_ci_u32_e32 v7, vcc_lo, s11, v16, vcc_lo
	v_lshlrev_b64 v[4:5], 2, v[1:2]
	v_lshlrev_b64 v[10:11], 2, v[11:12]
	global_load_b32 v61, v[6:7], off
	v_mad_u64_u32 v[15:16], null, s2, 38, v[3:4]
	v_mov_b32_e32 v16, v2
	v_add_co_u32 v8, vcc_lo, s6, v4
	v_add_co_ci_u32_e32 v9, vcc_lo, s7, v5, vcc_lo
	v_add_co_u32 v19, vcc_lo, s8, v4
	v_add_nc_u32_e32 v1, s2, v15
	v_lshlrev_b64 v[3:4], 2, v[15:16]
	v_add_co_ci_u32_e32 v20, vcc_lo, s9, v5, vcc_lo
	v_add_co_u32 v7, vcc_lo, s6, v10
	s_delay_alu instid0(VALU_DEP_4)
	v_lshlrev_b64 v[5:6], 2, v[1:2]
	v_add_nc_u32_e32 v1, s3, v1
	global_load_b32 v60, v[8:9], off
	v_add_co_ci_u32_e32 v8, vcc_lo, s7, v11, vcc_lo
	v_add_co_u32 v15, vcc_lo, s6, v3
	v_lshlrev_b64 v[24:25], 2, v[1:2]
	v_add_nc_u32_e32 v1, s4, v1
	v_add_co_ci_u32_e32 v16, vcc_lo, s7, v4, vcc_lo
	s_clause 0x1
	global_load_b32 v64, v[7:8], off
	global_load_b32 v63, v[15:16], off
	v_lshlrev_b64 v[7:8], 2, v[1:2]
	v_add_nc_u32_e32 v1, s2, v1
	v_add_co_u32 v9, vcc_lo, s8, v10
	v_add_co_ci_u32_e32 v10, vcc_lo, s9, v11, vcc_lo
	s_delay_alu instid0(VALU_DEP_3) | instskip(SKIP_4) | instid1(VALU_DEP_4)
	v_mad_u64_u32 v[15:16], null, 0xffffffc7, s2, v[1:2]
	v_mov_b32_e32 v16, v2
	v_add_co_u32 v11, vcc_lo, s6, v5
	v_add_co_ci_u32_e32 v12, vcc_lo, s7, v6, vcc_lo
	v_add_co_u32 v24, vcc_lo, s10, v24
	v_mad_u64_u32 v[26:27], null, s2, 58, v[15:16]
	global_load_b32 v58, v[11:12], off
	v_lshlrev_b64 v[11:12], 2, v[1:2]
	v_add_co_ci_u32_e32 v25, vcc_lo, s11, v25, vcc_lo
	v_lshlrev_b64 v[28:29], 2, v[15:16]
	v_add_nc_u32_e32 v1, s2, v26
	global_load_b32 v54, v[24:25], off
	v_add_co_u32 v24, vcc_lo, s6, v7
	v_add_co_ci_u32_e32 v25, vcc_lo, s7, v8, vcc_lo
	v_lshlrev_b64 v[15:16], 2, v[1:2]
	v_add_nc_u32_e32 v1, s2, v1
	v_add_co_u32 v30, vcc_lo, s6, v11
	v_add_co_ci_u32_e32 v31, vcc_lo, s7, v12, vcc_lo
	s_delay_alu instid0(VALU_DEP_3)
	v_mad_u64_u32 v[32:33], null, 0xffffffcd, s2, v[1:2]
	v_mov_b32_e32 v33, v2
	s_clause 0x1
	global_load_b32 v65, v[24:25], off
	global_load_b32 v62, v[30:31], off
	v_add_co_u32 v28, vcc_lo, s10, v28
	v_add_co_ci_u32_e32 v29, vcc_lo, s11, v29, vcc_lo
	v_mad_u64_u32 v[34:35], null, s2, 52, v[32:33]
	v_lshlrev_b64 v[31:32], 2, v[32:33]
	v_fma_f32 v33, -v72, v74, 1.0
	global_load_b32 v55, v[28:29], off
	v_lshlrev_b64 v[23:24], 2, v[1:2]
	v_dual_mov_b32 v35, v2 :: v_dual_fmac_f32 v74, v33, v74
	v_mov_b32_e32 v27, v2
	v_add_nc_u32_e32 v1, s2, v34
	s_delay_alu instid0(VALU_DEP_2) | instskip(NEXT) | instid1(VALU_DEP_2)
	v_lshlrev_b64 v[25:26], 2, v[26:27]
	v_lshlrev_b64 v[27:28], 2, v[1:2]
	v_add_nc_u32_e32 v1, s2, v1
	s_delay_alu instid0(VALU_DEP_3) | instskip(NEXT) | instid1(VALU_DEP_4)
	v_add_co_u32 v29, vcc_lo, s6, v25
	v_add_co_ci_u32_e32 v30, vcc_lo, s7, v26, vcc_lo
	v_add_co_u32 v36, vcc_lo, s6, v15
	v_add_co_ci_u32_e32 v37, vcc_lo, s7, v16, vcc_lo
	;; [unrolled: 2-line block ×3, first 2 shown]
	v_div_scale_f32 v75, vcc_lo, 1.0, v69, 1.0
	s_clause 0x2
	global_load_b32 v71, v[29:30], off
	global_load_b32 v70, v[36:37], off
	global_load_b32 v66, v[66:67], off
	v_add_co_u32 v67, s0, s10, v31
	v_mul_f32_e32 v36, v75, v74
	v_add_co_ci_u32_e64 v68, s0, s11, v32, s0
	v_lshlrev_b64 v[37:38], 2, v[34:35]
	v_fma_f32 v35, -v79, v80, 1.0
	s_delay_alu instid0(VALU_DEP_4)
	v_fma_f32 v33, -v72, v36, v75
	global_load_b32 v73, v[67:68], off
	v_div_scale_f32 v67, s0, 1.0, v78, 1.0
	v_fmac_f32_e32 v80, v35, v80
	v_fmac_f32_e32 v36, v33, v74
	v_lshlrev_b64 v[29:30], 2, v[1:2]
	v_add_nc_u32_e32 v1, s2, v1
	s_delay_alu instid0(VALU_DEP_3) | instskip(SKIP_1) | instid1(VALU_DEP_3)
	v_fma_f32 v68, -v72, v36, v75
	v_mul_f32_e32 v72, v67, v80
	v_lshlrev_b64 v[31:32], 2, v[1:2]
	s_delay_alu instid0(VALU_DEP_3)
	v_div_fmas_f32 v35, v68, v74, v36
	s_waitcnt vmcnt(27)
	v_mul_f32_e32 v68, v48, v48
	v_fma_f32 v76, -v79, v72, v67
	v_add_nc_u32_e32 v1, s2, v1
	v_add_co_u32 v74, vcc_lo, s6, v37
	v_div_fixup_f32 v69, v35, v69, 1.0
	s_delay_alu instid0(VALU_DEP_4) | instskip(SKIP_2) | instid1(VALU_DEP_3)
	v_fmac_f32_e32 v72, v76, v80
	v_add_co_ci_u32_e32 v75, vcc_lo, s7, v38, vcc_lo
	v_add_co_u32 v76, vcc_lo, s6, v27
	v_fma_f32 v67, -v79, v72, v67
	v_add_co_ci_u32_e32 v77, vcc_lo, s7, v28, vcc_lo
	s_mov_b32 vcc_lo, s0
	v_lshlrev_b64 v[33:34], 2, v[1:2]
	s_delay_alu instid0(VALU_DEP_3)
	v_div_fmas_f32 v67, v67, v80, v72
	s_clause 0x1
	global_load_b32 v75, v[74:75], off
	global_load_b32 v74, v[76:77], off
	v_div_fixup_f32 v67, v67, v78, 1.0
	s_waitcnt vmcnt(28)
	v_dual_mul_f32 v81, v68, v46 :: v_dual_mul_f32 v68, 0x49776020, v69
	s_delay_alu instid0(VALU_DEP_1) | instskip(NEXT) | instid1(VALU_DEP_1)
	v_mul_f32_e32 v85, v68, v81
	v_div_scale_f32 v81, null, v85, v85, 1.0
	v_div_scale_f32 v88, vcc_lo, 1.0, v85, 1.0
	s_delay_alu instid0(VALU_DEP_2) | instskip(SKIP_4) | instid1(VALU_DEP_1)
	v_rcp_f32_e32 v72, v81
	s_waitcnt vmcnt(27)
	v_mul_f32_e32 v69, v48, v44
	s_waitcnt_depctr 0xfff
	v_fma_f32 v79, -v81, v72, 1.0
	v_fmac_f32_e32 v72, v79, v72
	s_waitcnt vmcnt(25)
	v_mul_f32_e32 v80, v45, v49
	v_add_nc_u32_e32 v1, s2, v1
	v_div_scale_f32 v86, null, v69, v69, 1.0
	v_mul_f32_e32 v89, v88, v72
	s_delay_alu instid0(VALU_DEP_4) | instskip(NEXT) | instid1(VALU_DEP_4)
	v_mul_f32_e32 v78, v80, v67
	v_lshlrev_b64 v[35:36], 2, v[1:2]
	v_add_nc_u32_e32 v1, s2, v1
	v_rcp_f32_e32 v87, v86
	s_delay_alu instid0(VALU_DEP_1) | instskip(SKIP_2) | instid1(VALU_DEP_1)
	v_mad_u64_u32 v[82:83], null, 0xffffffcc, s2, v[1:2]
	s_waitcnt vmcnt(22)
	v_dual_mov_b32 v83, v2 :: v_dual_mul_f32 v90, v47, v53
	v_lshlrev_b64 v[76:77], 2, v[82:83]
	v_min_f32_e32 v83, 0x7cf0bdc2, v78
	v_add_co_u32 v78, s0, s6, v29
	s_delay_alu instid0(VALU_DEP_1) | instskip(NEXT) | instid1(VALU_DEP_3)
	v_add_co_ci_u32_e64 v79, s0, s7, v30, s0
	v_mul_f32_e32 v41, v41, v83
	v_add_co_u32 v83, s0, s10, v76
	v_fma_f32 v76, -v86, v87, 1.0
	v_add_co_ci_u32_e64 v84, s0, s11, v77, s0
	global_store_b32 v[39:40], v41, off
	v_fma_f32 v39, -v81, v89, v88
	v_div_scale_f32 v41, s0, 1.0, v69, 1.0
	v_fmac_f32_e32 v87, v76, v87
	v_div_scale_f32 v91, null, v90, v90, 1.0
	s_delay_alu instid0(VALU_DEP_4) | instskip(SKIP_1) | instid1(VALU_DEP_1)
	v_fmac_f32_e32 v89, v39, v72
	v_add_co_u32 v39, s1, s6, v31
	v_add_co_ci_u32_e64 v40, s1, s7, v32, s1
	s_delay_alu instid0(VALU_DEP_3)
	v_fma_f32 v76, -v81, v89, v88
	v_mul_f32_e32 v88, v41, v87
	v_rcp_f32_e32 v81, v91
	s_clause 0x1
	global_load_b32 v79, v[78:79], off
	global_load_b32 v78, v[39:40], off
	v_fma_f32 v92, -v86, v88, v41
	s_delay_alu instid0(VALU_DEP_1)
	v_fmac_f32_e32 v88, v92, v87
	v_div_fmas_f32 v89, v76, v72, v89
	v_add_co_u32 v76, vcc_lo, s6, v33
	v_add_co_ci_u32_e32 v77, vcc_lo, s7, v34, vcc_lo
	v_mul_f32_e32 v72, v43, v44
	s_mov_b32 vcc_lo, s0
	v_div_fixup_f32 v89, v89, v85, 1.0
	global_load_b32 v77, v[76:77], off
	v_fma_f32 v39, -v91, v81, 1.0
	v_div_scale_f32 v76, null, v72, v72, 1.0
	v_div_scale_f32 v40, s1, 1.0, v90, 1.0
	s_delay_alu instid0(VALU_DEP_3) | instskip(NEXT) | instid1(VALU_DEP_3)
	v_fmac_f32_e32 v81, v39, v81
	v_rcp_f32_e32 v92, v76
	v_fma_f32 v39, -v86, v88, v41
	v_div_scale_f32 v86, s0, 1.0, v72, 1.0
	s_delay_alu instid0(VALU_DEP_2)
	v_div_fmas_f32 v87, v39, v87, v88
	s_mov_b32 vcc_lo, s1
	s_waitcnt vmcnt(24)
	v_div_scale_f32 v94, s1, 1.0, v56, 1.0
	s_waitcnt_depctr 0xfff
	v_fma_f32 v39, -v76, v92, 1.0
	v_div_fixup_f32 v87, v87, v69, 1.0
	s_delay_alu instid0(VALU_DEP_2) | instskip(NEXT) | instid1(VALU_DEP_1)
	v_fmac_f32_e32 v92, v39, v92
	v_dual_mul_f32 v88, v86, v92 :: v_dual_mul_f32 v41, v40, v81
	s_delay_alu instid0(VALU_DEP_1) | instskip(NEXT) | instid1(VALU_DEP_1)
	v_fma_f32 v39, -v91, v41, v40
	v_fmac_f32_e32 v41, v39, v81
	s_delay_alu instid0(VALU_DEP_1) | instskip(NEXT) | instid1(VALU_DEP_1)
	v_fma_f32 v39, -v91, v41, v40
	v_div_fmas_f32 v91, v39, v81, v41
	v_div_scale_f32 v41, null, v56, v56, 1.0
	v_fma_f32 v39, -v76, v88, v86
	s_delay_alu instid0(VALU_DEP_2) | instskip(NEXT) | instid1(VALU_DEP_1)
	v_rcp_f32_e32 v93, v41
	v_fmac_f32_e32 v88, v39, v92
	s_waitcnt_depctr 0xfff
	v_fma_f32 v39, -v41, v93, 1.0
	s_delay_alu instid0(VALU_DEP_1) | instskip(NEXT) | instid1(VALU_DEP_1)
	v_fmac_f32_e32 v93, v39, v93
	v_mul_f32_e32 v95, v94, v93
	s_delay_alu instid0(VALU_DEP_1) | instskip(NEXT) | instid1(VALU_DEP_1)
	v_fma_f32 v39, -v41, v95, v94
	v_fmac_f32_e32 v95, v39, v93
	v_add_co_u32 v39, vcc_lo, s6, v35
	v_add_co_ci_u32_e32 v40, vcc_lo, s7, v36, vcc_lo
	s_mov_b32 vcc_lo, s0
	s_delay_alu instid0(VALU_DEP_3) | instskip(SKIP_2) | instid1(VALU_DEP_1)
	v_fma_f32 v41, -v41, v95, v94
	global_load_b32 v81, v[39:40], off
	v_fma_f32 v39, -v76, v88, v86
	v_div_fmas_f32 v88, v39, v92, v88
	v_lshlrev_b64 v[39:40], 2, v[1:2]
	v_mul_f32_e32 v1, v80, v89
	global_load_b32 v80, v[83:84], off
	v_mad_u64_u32 v[83:84], null, s2, 53, v[82:83]
	v_dual_mov_b32 v84, v2 :: v_dual_min_f32 v1, 0x7cf0bdc2, v1
	s_mov_b32 vcc_lo, s1
	v_div_fixup_f32 v88, v88, v72, 1.0
	v_div_fmas_f32 v92, v41, v93, v95
	v_add_co_u32 v85, vcc_lo, s6, v39
	s_waitcnt vmcnt(23)
	v_dual_mul_f32 v82, v42, v1 :: v_dual_add_nc_u32 v1, s2, v83
	v_lshlrev_b64 v[41:42], 2, v[83:84]
	v_add_co_ci_u32_e32 v86, vcc_lo, s7, v40, vcc_lo
	global_store_b32 v[21:22], v82, off
	v_div_fixup_f32 v56, v92, v56, 1.0
	v_add_co_u32 v21, s0, s6, v41
	s_delay_alu instid0(VALU_DEP_1)
	v_add_co_ci_u32_e64 v22, s0, s7, v42, s0
	s_clause 0x1
	global_load_b32 v76, v[85:86], off
	global_load_b32 v84, v[21:22], off
	s_waitcnt vmcnt(21)
	v_mul_f32_e32 v85, v48, v61
	v_mul_f32_e32 v61, v61, v50
	s_delay_alu instid0(VALU_DEP_2) | instskip(SKIP_1) | instid1(VALU_DEP_2)
	v_div_scale_f32 v86, null, v85, v85, 1.0
	v_div_scale_f32 v83, vcc_lo, 1.0, v85, 1.0
	v_rcp_f32_e32 v89, v86
	s_waitcnt_depctr 0xfff
	v_fma_f32 v93, -v86, v89, 1.0
	s_delay_alu instid0(VALU_DEP_1) | instskip(SKIP_1) | instid1(VALU_DEP_2)
	v_fmac_f32_e32 v89, v93, v89
	v_div_scale_f32 v93, null, v49, v49, 1.0
	v_mul_f32_e32 v82, v83, v89
	s_delay_alu instid0(VALU_DEP_1) | instskip(NEXT) | instid1(VALU_DEP_1)
	v_fma_f32 v21, -v86, v82, v83
	v_fmac_f32_e32 v82, v21, v89
	s_delay_alu instid0(VALU_DEP_1) | instskip(SKIP_3) | instid1(VALU_DEP_1)
	v_fma_f32 v21, -v86, v82, v83
	v_rcp_f32_e32 v83, v93
	s_waitcnt_depctr 0xfff
	v_fma_f32 v22, -v93, v83, 1.0
	v_fmac_f32_e32 v83, v22, v83
	v_div_fmas_f32 v21, v21, v89, v82
	v_div_scale_f32 v82, null, v61, v61, 1.0
	v_mul_f32_e32 v89, v49, v51
	s_delay_alu instid0(VALU_DEP_2) | instskip(SKIP_2) | instid1(VALU_DEP_1)
	v_rcp_f32_e32 v86, v82
	s_waitcnt_depctr 0xfff
	v_fma_f32 v22, -v82, v86, 1.0
	v_fmac_f32_e32 v86, v22, v86
	v_div_fixup_f32 v22, v91, v90, 1.0
	v_div_scale_f32 v90, vcc_lo, 1.0, v61, 1.0
	s_delay_alu instid0(VALU_DEP_1) | instskip(NEXT) | instid1(VALU_DEP_1)
	v_dual_mul_f32 v88, v88, v89 :: v_dual_mul_f32 v89, v90, v86
	v_min_f32_e32 v88, 0x7cf0bdc2, v88
	s_delay_alu instid0(VALU_DEP_2) | instskip(NEXT) | instid1(VALU_DEP_1)
	v_fma_f32 v91, -v82, v89, v90
	v_fmac_f32_e32 v89, v91, v86
	v_mul_f32_e32 v91, v49, v52
	s_delay_alu instid0(VALU_DEP_1) | instskip(NEXT) | instid1(VALU_DEP_1)
	v_mul_f32_e32 v91, v68, v91
	v_mul_f32_e32 v56, v56, v91
	s_delay_alu instid0(VALU_DEP_1) | instskip(NEXT) | instid1(VALU_DEP_1)
	v_dual_mul_f32 v91, v49, v43 :: v_dual_min_f32 v56, 0x7cf0bdc2, v56
	v_mul_f32_e32 v22, v91, v22
	v_mul_f32_e32 v91, v91, v87
	v_div_fixup_f32 v21, v21, v85, 1.0
	v_mul_f32_e32 v85, v49, v53
	v_mul_f32_e32 v53, v53, v50
	s_delay_alu instid0(VALU_DEP_4) | instskip(NEXT) | instid1(VALU_DEP_3)
	v_dual_min_f32 v22, 0x7cf0bdc2, v22 :: v_dual_min_f32 v91, 0x7cf0bdc2, v91
	v_mul_f32_e32 v21, v85, v21
	v_div_scale_f32 v85, s0, 1.0, v49, 1.0
	s_delay_alu instid0(VALU_DEP_3)
	v_dual_mul_f32 v57, v57, v91 :: v_dual_mul_f32 v22, v59, v22
	s_waitcnt vmcnt(20)
	v_mul_f32_e32 v59, v60, v88
	s_waitcnt vmcnt(19)
	v_dual_min_f32 v21, 0x7cf0bdc2, v21 :: v_dual_mul_f32 v60, v64, v56
	global_store_b32 v[13:14], v57, off
	v_lshlrev_b64 v[13:14], 2, v[1:2]
	v_add_nc_u32_e32 v1, s2, v1
	s_clause 0x1
	global_store_b32 v[17:18], v22, off
	global_store_b32 v[19:20], v59, off
	s_waitcnt vmcnt(18)
	v_dual_mul_f32 v59, v63, v21 :: v_dual_mul_f32 v64, v85, v83
	v_fma_f32 v63, -v82, v89, v90
	v_lshlrev_b64 v[19:20], 2, v[1:2]
	v_add_co_u32 v17, s1, s6, v13
	s_delay_alu instid0(VALU_DEP_1) | instskip(SKIP_1) | instid1(VALU_DEP_4)
	v_add_co_ci_u32_e64 v18, s1, s7, v14, s1
	v_add_nc_u32_e32 v1, s2, v1
	v_add_co_u32 v21, s1, s6, v19
	s_delay_alu instid0(VALU_DEP_1)
	v_add_co_ci_u32_e64 v22, s1, s7, v20, s1
	global_load_b32 v90, v[17:18], off
	v_div_fmas_f32 v63, v63, v86, v89
	v_fma_f32 v82, -v93, v64, v85
	global_load_b32 v91, v[21:22], off
	v_lshlrev_b64 v[17:18], 2, v[1:2]
	v_add_nc_u32_e32 v1, s2, v1
	v_div_fixup_f32 v61, v63, v61, 1.0
	v_fmac_f32_e32 v64, v82, v83
	global_store_b32 v[9:10], v60, off
	v_div_scale_f32 v88, null, v53, v53, 1.0
	v_lshlrev_b64 v[1:2], 2, v[1:2]
	v_add_co_u32 v56, s1, s6, v17
	s_delay_alu instid0(VALU_DEP_1) | instskip(SKIP_1) | instid1(VALU_DEP_4)
	v_add_co_ci_u32_e64 v57, s1, s7, v18, s1
	v_fma_f32 v63, -v93, v64, v85
	v_add_co_u32 v21, vcc_lo, s6, v1
	v_add_co_ci_u32_e32 v22, vcc_lo, s7, v2, vcc_lo
	global_load_b32 v56, v[56:57], off
	s_mov_b32 vcc_lo, s0
	v_rcp_f32_e32 v82, v88
	global_load_b32 v21, v[21:22], off
	v_mul_f32_e32 v57, v49, v49
	v_div_fmas_f32 v22, v63, v83, v64
	v_add_co_u32 v3, s0, s8, v3
	s_delay_alu instid0(VALU_DEP_1) | instskip(NEXT) | instid1(VALU_DEP_4)
	v_add_co_ci_u32_e64 v4, s0, s9, v4, s0
	v_mul_f32_e32 v57, v57, v61
	s_delay_alu instid0(VALU_DEP_4) | instskip(SKIP_3) | instid1(VALU_DEP_3)
	v_div_fixup_f32 v22, v22, v49, 1.0
	v_fma_f32 v63, -v88, v82, 1.0
	v_div_scale_f32 v49, vcc_lo, 1.0, v53, 1.0
	s_waitcnt vmcnt(20)
	v_dual_min_f32 v9, 0x7cf0bdc2, v57 :: v_dual_mul_f32 v10, v22, v54
	s_delay_alu instid0(VALU_DEP_3) | instskip(SKIP_4) | instid1(VALU_DEP_3)
	v_fmac_f32_e32 v82, v63, v82
	global_store_b32 v[3:4], v59, off
	v_dual_mul_f32 v9, v58, v9 :: v_dual_mul_f32 v58, v0, v48
	v_min_f32_e32 v57, 0x7cf0bdc2, v10
	v_mul_f32_e32 v22, v49, v82
	v_div_scale_f32 v60, null, v58, v58, 1.0
	s_waitcnt vmcnt(19)
	s_delay_alu instid0(VALU_DEP_3) | instskip(NEXT) | instid1(VALU_DEP_3)
	v_mul_f32_e32 v64, v65, v57
	v_fma_f32 v10, -v88, v22, v49
	s_delay_alu instid0(VALU_DEP_3) | instskip(NEXT) | instid1(VALU_DEP_1)
	v_rcp_f32_e32 v65, v60
	v_fmac_f32_e32 v22, v10, v82
	s_waitcnt_depctr 0xfff
	v_fma_f32 v83, -v60, v65, 1.0
	s_delay_alu instid0(VALU_DEP_1) | instskip(SKIP_1) | instid1(VALU_DEP_1)
	v_fmac_f32_e32 v65, v83, v65
	v_mul_f32_e32 v85, v52, v50
	v_div_scale_f32 v61, null, v85, v85, 1.0
	s_delay_alu instid0(VALU_DEP_1) | instskip(SKIP_2) | instid1(VALU_DEP_1)
	v_rcp_f32_e32 v63, v61
	s_waitcnt_depctr 0xfff
	v_fma_f32 v3, -v61, v63, 1.0
	v_fmac_f32_e32 v63, v3, v63
	v_add_co_u32 v3, s1, s8, v5
	s_delay_alu instid0(VALU_DEP_1) | instskip(SKIP_1) | instid1(VALU_DEP_1)
	v_add_co_ci_u32_e64 v4, s1, s9, v6, s1
	v_add_co_u32 v5, s1, s8, v7
	v_add_co_ci_u32_e64 v6, s1, s9, v8, s1
	v_fma_f32 v8, -v88, v22, v49
	s_clause 0x1
	global_store_b32 v[3:4], v9, off
	global_store_b32 v[5:6], v64, off
	v_mul_f32_e32 v7, v48, v54
	v_mul_f32_e32 v9, v43, v48
	v_div_fmas_f32 v8, v8, v82, v22
	v_div_scale_f32 v22, s1, 1.0, v58, 1.0
	s_delay_alu instid0(VALU_DEP_2) | instskip(NEXT) | instid1(VALU_DEP_1)
	v_div_fixup_f32 v8, v8, v53, 1.0
	v_dual_mul_f32 v4, v22, v65 :: v_dual_mul_f32 v5, v8, v7
	s_delay_alu instid0(VALU_DEP_1) | instskip(SKIP_2) | instid1(VALU_DEP_3)
	v_fma_f32 v6, -v60, v4, v22
	s_waitcnt vmcnt(13)
	v_dual_mul_f32 v7, v54, v55 :: v_dual_mul_f32 v8, v48, v73
	v_min_f32_e32 v5, 0x7cf0bdc2, v5
	s_delay_alu instid0(VALU_DEP_3) | instskip(SKIP_1) | instid1(VALU_DEP_1)
	v_fmac_f32_e32 v4, v6, v65
	v_div_scale_f32 v59, s0, 1.0, v85, 1.0
	s_mov_b32 vcc_lo, s0
	v_mul_f32_e32 v6, v9, v52
	s_delay_alu instid0(VALU_DEP_3) | instskip(NEXT) | instid1(VALU_DEP_3)
	v_fma_f32 v9, -v60, v4, v22
	v_mul_f32_e32 v10, v59, v63
	s_delay_alu instid0(VALU_DEP_3) | instskip(NEXT) | instid1(VALU_DEP_2)
	v_mul_f32_e32 v48, v68, v6
	v_fma_f32 v49, -v61, v10, v59
	s_delay_alu instid0(VALU_DEP_1) | instskip(NEXT) | instid1(VALU_DEP_1)
	v_dual_fmac_f32 v10, v49, v63 :: v_dual_mul_f32 v49, v62, v5
	v_fma_f32 v3, -v61, v10, v59
	s_delay_alu instid0(VALU_DEP_1) | instskip(SKIP_3) | instid1(VALU_DEP_3)
	v_div_fmas_f32 v3, v3, v63, v10
	s_mov_b32 vcc_lo, s1
	v_div_scale_f32 v10, null, v8, v8, 1.0
	v_div_fmas_f32 v4, v9, v65, v4
	v_div_fixup_f32 v3, v3, v85, 1.0
	v_div_scale_f32 v9, null, v48, v48, 1.0
	s_delay_alu instid0(VALU_DEP_4) | instskip(NEXT) | instid1(VALU_DEP_3)
	v_rcp_f32_e32 v22, v10
	v_div_fixup_f32 v6, v4, v58, 1.0
	s_delay_alu instid0(VALU_DEP_3) | instskip(NEXT) | instid1(VALU_DEP_3)
	v_mul_f32_e32 v3, v3, v7
	v_rcp_f32_e32 v58, v9
	s_delay_alu instid0(VALU_DEP_2) | instskip(NEXT) | instid1(VALU_DEP_2)
	v_mul_f32_e32 v7, v6, v7
	v_min_f32_e32 v5, 0x7cf0bdc2, v3
	v_add_co_u32 v3, vcc_lo, s8, v11
	v_add_co_ci_u32_e32 v4, vcc_lo, s9, v12, vcc_lo
	v_mul_f32_e32 v12, v47, v52
	s_delay_alu instid0(TRANS32_DEP_2) | instskip(SKIP_2) | instid1(VALU_DEP_4)
	v_fma_f32 v53, -v10, v22, 1.0
	v_mul_f32_e32 v11, v71, v5
	v_add_co_u32 v5, s0, s8, v25
	v_div_scale_f32 v60, null, v12, v12, 1.0
	s_delay_alu instid0(VALU_DEP_4) | instskip(SKIP_1) | instid1(VALU_DEP_3)
	v_fmac_f32_e32 v22, v53, v22
	v_div_scale_f32 v53, vcc_lo, 1.0, v8, 1.0
	v_rcp_f32_e32 v25, v60
	v_add_co_ci_u32_e64 v6, s0, s9, v26, s0
	v_fma_f32 v59, -v9, v58, 1.0
	s_delay_alu instid0(VALU_DEP_3)
	v_dual_min_f32 v7, 0x7cf0bdc2, v7 :: v_dual_mul_f32 v26, v53, v22
	s_clause 0x1
	global_store_b32 v[3:4], v49, off
	global_store_b32 v[5:6], v11, off
	v_add_co_u32 v3, s1, s8, v15
	v_fmac_f32_e32 v58, v59, v58
	v_fma_f32 v11, -v60, v25, 1.0
	v_div_scale_f32 v59, s0, 1.0, v48, 1.0
	v_add_co_ci_u32_e64 v4, s1, s9, v16, s1
	v_mul_f32_e32 v5, v70, v7
	v_fma_f32 v6, -v10, v26, v53
	v_fmac_f32_e32 v25, v11, v25
	v_div_scale_f32 v11, s1, 1.0, v12, 1.0
	v_mul_f32_e32 v7, v59, v58
	s_delay_alu instid0(VALU_DEP_4)
	v_fmac_f32_e32 v26, v6, v22
	global_store_b32 v[3:4], v5, off
	v_mul_f32_e32 v5, v11, v25
	v_mul_f32_e32 v15, v43, v54
	v_fma_f32 v6, -v9, v7, v59
	v_fma_f32 v4, -v10, v26, v53
	s_delay_alu instid0(VALU_DEP_4) | instskip(NEXT) | instid1(VALU_DEP_4)
	v_fma_f32 v10, -v60, v5, v11
	v_mul_f32_e32 v3, v87, v15
	s_delay_alu instid0(VALU_DEP_4) | instskip(NEXT) | instid1(VALU_DEP_4)
	v_fmac_f32_e32 v7, v6, v58
	v_div_fmas_f32 v4, v4, v22, v26
	v_mul_f32_e32 v15, v44, v52
	v_fmac_f32_e32 v5, v10, v25
	s_mov_b32 vcc_lo, s0
	v_fma_f32 v9, -v9, v7, v59
	v_div_fixup_f32 v4, v4, v8, 1.0
	v_mul_f32_e32 v6, v50, v54
	v_fma_f32 v8, -v60, v5, v11
	v_div_scale_f32 v11, null, v15, v15, 1.0
	v_div_fmas_f32 v7, v9, v58, v7
	s_mov_b32 vcc_lo, s1
	v_mul_f32_e32 v4, v6, v4
	s_delay_alu instid0(VALU_DEP_3) | instskip(SKIP_4) | instid1(VALU_DEP_4)
	v_rcp_f32_e32 v22, v11
	v_div_fmas_f32 v5, v8, v25, v5
	v_mul_f32_e32 v6, v45, v54
	v_div_fixup_f32 v7, v7, v48, 1.0
	v_dual_min_f32 v3, 0x7cf0bdc2, v3 :: v_dual_min_f32 v8, 0x7cf0bdc2, v4
	v_div_fixup_f32 v5, v5, v12, 1.0
	s_waitcnt vmcnt(6)
	v_div_scale_f32 v25, null, v80, v80, 1.0
	v_mul_f32_e32 v7, v7, v6
	v_mul_f32_e32 v16, v3, v66
	v_add_co_u32 v3, vcc_lo, s8, v23
	v_fma_f32 v9, -v11, v22, 1.0
	v_add_co_ci_u32_e32 v4, vcc_lo, s9, v24, vcc_lo
	v_mul_f32_e32 v12, v75, v8
	v_mul_f32_e32 v8, v5, v6
	v_add_co_u32 v5, vcc_lo, s8, v37
	v_min_f32_e32 v7, 0x7cf0bdc2, v7
	v_add_co_ci_u32_e32 v6, vcc_lo, s9, v38, vcc_lo
	v_fmac_f32_e32 v22, v9, v22
	v_div_scale_f32 v24, vcc_lo, 1.0, v15, 1.0
	s_delay_alu instid0(VALU_DEP_4)
	v_mul_f32_e32 v23, v7, v74
	v_add_co_u32 v7, s0, s8, v27
	v_min_f32_e32 v10, 0x7cf0bdc2, v8
	v_add_co_ci_u32_e64 v8, s0, s9, v28, s0
	v_mul_f32_e32 v27, v24, v22
	v_rcp_f32_e32 v28, v25
	v_add_co_u32 v9, s0, s8, v29
	global_store_b32 v[3:4], v16, off
	v_fma_f32 v3, -v11, v27, v24
	v_mul_f32_e32 v26, v10, v79
	v_add_co_ci_u32_e64 v10, s0, s9, v30, s0
	s_clause 0x2
	global_store_b32 v[5:6], v12, off
	global_store_b32 v[7:8], v23, off
	;; [unrolled: 1-line block ×3, first 2 shown]
	v_fmac_f32_e32 v27, v3, v22
	v_fma_f32 v5, -v25, v28, 1.0
	v_mul_f32_e32 v9, v0, v50
	v_add_co_u32 v3, s0, s8, v31
	s_delay_alu instid0(VALU_DEP_1)
	v_add_co_ci_u32_e64 v4, s0, s9, v32, s0
	v_fma_f32 v6, -v11, v27, v24
	v_fmac_f32_e32 v28, v5, v28
	v_div_scale_f32 v10, s0, 1.0, v80, 1.0
	v_div_scale_f32 v11, null, v9, v9, 1.0
	v_mul_f32_e32 v7, v57, v78
	v_div_fmas_f32 v12, v6, v22, v27
	s_delay_alu instid0(VALU_DEP_4) | instskip(NEXT) | instid1(VALU_DEP_4)
	v_mul_f32_e32 v16, v10, v28
	v_rcp_f32_e32 v22, v11
	v_add_co_u32 v5, vcc_lo, s8, v33
	v_mul_f32_e32 v8, v57, v77
	v_add_co_ci_u32_e32 v6, vcc_lo, s9, v34, vcc_lo
	global_store_b32 v[3:4], v7, off
	v_fma_f32 v7, -v25, v16, v10
	v_mul_f32_e32 v3, v46, v54
	v_div_fixup_f32 v4, v12, v15, 1.0
	global_store_b32 v[5:6], v8, off
	v_fma_f32 v5, -v11, v22, 1.0
	v_dual_fmac_f32 v16, v7, v28 :: v_dual_mul_f32 v7, v0, v47
	v_mul_f32_e32 v8, v4, v3
	v_add_co_u32 v3, vcc_lo, s8, v35
	s_delay_alu instid0(VALU_DEP_4)
	v_fmac_f32_e32 v22, v5, v22
	v_div_scale_f32 v5, s1, 1.0, v9, 1.0
	v_div_scale_f32 v12, null, v7, v7, 1.0
	v_fma_f32 v10, -v25, v16, v10
	v_mul_f32_e32 v0, v0, v51
	v_add_co_ci_u32_e32 v4, vcc_lo, s9, v36, vcc_lo
	s_mov_b32 vcc_lo, s0
	v_rcp_f32_e32 v15, v12
	v_mul_f32_e32 v23, v5, v22
	v_div_fmas_f32 v10, v10, v28, v16
	v_div_scale_f32 v16, null, v0, v0, 1.0
	v_mul_f32_e32 v6, v57, v81
	s_delay_alu instid0(VALU_DEP_4) | instskip(SKIP_1) | instid1(VALU_DEP_4)
	v_fma_f32 v24, -v11, v23, v5
	v_min_f32_e32 v8, 0x7cf0bdc2, v8
	v_rcp_f32_e32 v27, v16
	v_mul_f32_e32 v26, v68, v69
	s_delay_alu instid0(TRANS32_DEP_2) | instskip(SKIP_3) | instid1(VALU_DEP_4)
	v_fma_f32 v25, -v12, v15, 1.0
	v_fmac_f32_e32 v23, v24, v22
	v_div_fixup_f32 v10, v10, v80, 1.0
	v_div_scale_f32 v24, s0, 1.0, v7, 1.0
	v_fmac_f32_e32 v15, v25, v15
	global_store_b32 v[3:4], v6, off
	v_fma_f32 v3, -v11, v23, v5
	v_fma_f32 v4, -v16, v27, 1.0
	s_mov_b32 vcc_lo, s1
	s_waitcnt vmcnt(5)
	v_mul_f32_e32 v6, v8, v76
	v_dual_mul_f32 v8, v26, v10 :: v_dual_mul_f32 v5, v24, v15
	v_div_fmas_f32 v10, v3, v22, v23
	v_fmac_f32_e32 v27, v4, v27
	v_div_scale_f32 v22, s1, 1.0, v0, 1.0
	v_add_co_u32 v3, vcc_lo, s8, v39
	v_fma_f32 v11, -v12, v5, v24
	v_add_co_ci_u32_e32 v4, vcc_lo, s9, v40, vcc_lo
	v_div_fixup_f32 v9, v10, v9, 1.0
	v_mul_f32_e32 v10, v22, v27
	s_delay_alu instid0(VALU_DEP_4)
	v_fmac_f32_e32 v5, v11, v15
	global_store_b32 v[3:4], v6, off
	s_mov_b32 vcc_lo, s0
	v_mul_f32_e32 v6, v69, v9
	v_fma_f32 v4, -v16, v10, v22
	v_fma_f32 v3, -v12, v5, v24
	v_min_f32_e32 v8, 0x7cf0bdc2, v8
	s_delay_alu instid0(VALU_DEP_4) | instskip(NEXT) | instid1(VALU_DEP_4)
	v_min_f32_e32 v6, 0x7cf0bdc2, v6
	v_fmac_f32_e32 v10, v4, v27
	s_delay_alu instid0(VALU_DEP_4)
	v_div_fmas_f32 v5, v3, v15, v5
	v_add_co_u32 v3, vcc_lo, s8, v41
	s_waitcnt vmcnt(3)
	v_mul_f32_e32 v12, v6, v90
	v_fma_f32 v9, -v16, v10, v22
	v_add_co_ci_u32_e32 v4, vcc_lo, s9, v42, vcc_lo
	s_mov_b32 vcc_lo, s1
	v_div_fixup_f32 v5, v5, v7, 1.0
	s_delay_alu instid0(VALU_DEP_3) | instskip(SKIP_2) | instid1(VALU_DEP_4)
	v_div_fmas_f32 v7, v9, v27, v10
	v_mul_f32_e32 v11, v84, v8
	v_mul_f32_e32 v8, v44, v55
	v_dual_mul_f32 v10, v45, v44 :: v_dual_mul_f32 v9, v72, v5
	s_delay_alu instid0(VALU_DEP_4) | instskip(SKIP_1) | instid1(VALU_DEP_3)
	v_div_fixup_f32 v0, v7, v0, 1.0
	v_add_co_u32 v5, vcc_lo, s8, v13
	v_dual_mul_f32 v8, v67, v8 :: v_dual_min_f32 v9, 0x7cf0bdc2, v9
	s_delay_alu instid0(VALU_DEP_3) | instskip(SKIP_1) | instid1(VALU_DEP_3)
	v_mul_f32_e32 v0, v10, v0
	v_add_co_ci_u32_e32 v6, vcc_lo, s9, v14, vcc_lo
	v_min_f32_e32 v8, 0x7cf0bdc2, v8
	v_add_co_u32 v7, vcc_lo, s8, v19
	s_delay_alu instid0(VALU_DEP_4) | instskip(SKIP_1) | instid1(VALU_DEP_3)
	v_min_f32_e32 v0, 0x7cf0bdc2, v0
	s_waitcnt vmcnt(1)
	v_dual_mul_f32 v14, v9, v56 :: v_dual_mul_f32 v13, v8, v91
	v_add_co_ci_u32_e32 v8, vcc_lo, s9, v20, vcc_lo
	v_add_co_u32 v9, vcc_lo, s8, v17
	v_add_co_ci_u32_e32 v10, vcc_lo, s9, v18, vcc_lo
	s_waitcnt vmcnt(0)
	v_mul_f32_e32 v15, v0, v21
	v_add_co_u32 v0, vcc_lo, s8, v1
	v_add_co_ci_u32_e32 v1, vcc_lo, s9, v2, vcc_lo
	s_clause 0x4
	global_store_b32 v[3:4], v11, off
	global_store_b32 v[5:6], v12, off
	global_store_b32 v[7:8], v13, off
	global_store_b32 v[9:10], v14, off
	global_store_b32 v[0:1], v15, off
	s_nop 0
	s_sendmsg sendmsg(MSG_DEALLOC_VGPRS)
	s_endpgm
	.section	.rodata,"a",@progbits
	.p2align	6, 0x0
	.amdhsa_kernel _Z12ratt4_kernelIfEvPKT_S2_PS0_S2_S0_
		.amdhsa_group_segment_fixed_size 0
		.amdhsa_private_segment_fixed_size 0
		.amdhsa_kernarg_size 296
		.amdhsa_user_sgpr_count 15
		.amdhsa_user_sgpr_dispatch_ptr 0
		.amdhsa_user_sgpr_queue_ptr 0
		.amdhsa_user_sgpr_kernarg_segment_ptr 1
		.amdhsa_user_sgpr_dispatch_id 0
		.amdhsa_user_sgpr_private_segment_size 0
		.amdhsa_wavefront_size32 1
		.amdhsa_uses_dynamic_stack 0
		.amdhsa_enable_private_segment 0
		.amdhsa_system_sgpr_workgroup_id_x 1
		.amdhsa_system_sgpr_workgroup_id_y 0
		.amdhsa_system_sgpr_workgroup_id_z 0
		.amdhsa_system_sgpr_workgroup_info 0
		.amdhsa_system_vgpr_workitem_id 0
		.amdhsa_next_free_vgpr 96
		.amdhsa_next_free_sgpr 16
		.amdhsa_reserve_vcc 1
		.amdhsa_float_round_mode_32 0
		.amdhsa_float_round_mode_16_64 0
		.amdhsa_float_denorm_mode_32 3
		.amdhsa_float_denorm_mode_16_64 3
		.amdhsa_dx10_clamp 1
		.amdhsa_ieee_mode 1
		.amdhsa_fp16_overflow 0
		.amdhsa_workgroup_processor_mode 1
		.amdhsa_memory_ordered 1
		.amdhsa_forward_progress 0
		.amdhsa_shared_vgpr_count 0
		.amdhsa_exception_fp_ieee_invalid_op 0
		.amdhsa_exception_fp_denorm_src 0
		.amdhsa_exception_fp_ieee_div_zero 0
		.amdhsa_exception_fp_ieee_overflow 0
		.amdhsa_exception_fp_ieee_underflow 0
		.amdhsa_exception_fp_ieee_inexact 0
		.amdhsa_exception_int_div_zero 0
	.end_amdhsa_kernel
	.section	.text._Z12ratt4_kernelIfEvPKT_S2_PS0_S2_S0_,"axG",@progbits,_Z12ratt4_kernelIfEvPKT_S2_PS0_S2_S0_,comdat
.Lfunc_end5:
	.size	_Z12ratt4_kernelIfEvPKT_S2_PS0_S2_S0_, .Lfunc_end5-_Z12ratt4_kernelIfEvPKT_S2_PS0_S2_S0_
                                        ; -- End function
	.section	.AMDGPU.csdata,"",@progbits
; Kernel info:
; codeLenInByte = 4904
; NumSgprs: 18
; NumVgprs: 96
; ScratchSize: 0
; MemoryBound: 0
; FloatMode: 240
; IeeeMode: 1
; LDSByteSize: 0 bytes/workgroup (compile time only)
; SGPRBlocks: 2
; VGPRBlocks: 11
; NumSGPRsForWavesPerEU: 18
; NumVGPRsForWavesPerEU: 96
; Occupancy: 16
; WaveLimiterHint : 0
; COMPUTE_PGM_RSRC2:SCRATCH_EN: 0
; COMPUTE_PGM_RSRC2:USER_SGPR: 15
; COMPUTE_PGM_RSRC2:TRAP_HANDLER: 0
; COMPUTE_PGM_RSRC2:TGID_X_EN: 1
; COMPUTE_PGM_RSRC2:TGID_Y_EN: 0
; COMPUTE_PGM_RSRC2:TGID_Z_EN: 0
; COMPUTE_PGM_RSRC2:TIDIG_COMP_CNT: 0
	.section	.text._Z12ratt5_kernelIfEvPKT_S2_PS0_S2_S0_,"axG",@progbits,_Z12ratt5_kernelIfEvPKT_S2_PS0_S2_S0_,comdat
	.protected	_Z12ratt5_kernelIfEvPKT_S2_PS0_S2_S0_ ; -- Begin function _Z12ratt5_kernelIfEvPKT_S2_PS0_S2_S0_
	.globl	_Z12ratt5_kernelIfEvPKT_S2_PS0_S2_S0_
	.p2align	8
	.type	_Z12ratt5_kernelIfEvPKT_S2_PS0_S2_S0_,@function
_Z12ratt5_kernelIfEvPKT_S2_PS0_S2_S0_:  ; @_Z12ratt5_kernelIfEvPKT_S2_PS0_S2_S0_
; %bb.0:
	s_clause 0x3
	s_load_b32 s2, s[0:1], 0x34
	s_load_b32 s3, s[0:1], 0x28
	s_load_b256 s[4:11], s[0:1], 0x0
	s_load_b32 s0, s[0:1], 0x20
	s_waitcnt lgkmcnt(0)
	s_and_b32 s2, s2, 0xffff
	s_delay_alu instid0(SALU_CYCLE_1)
	v_mad_u64_u32 v[1:2], null, s15, s2, v[0:1]
	s_mul_i32 s3, s3, s2
	v_mov_b32_e32 v2, 0
	s_mul_i32 s2, s3, 0xffffffbf
	s_mul_i32 s1, s3, 0xffffffbc
	;; [unrolled: 1-line block ×3, first 2 shown]
	s_delay_alu instid0(VALU_DEP_1) | instskip(SKIP_2) | instid1(VALU_DEP_3)
	v_lshlrev_b64 v[3:4], 2, v[1:2]
	v_mad_u64_u32 v[5:6], null, s3, 6, v[1:2]
	v_add_nc_u32_e32 v1, s3, v1
	v_add_co_u32 v7, vcc_lo, s4, v3
	s_delay_alu instid0(VALU_DEP_2)
	v_mad_u64_u32 v[14:15], null, s3, 24, v[1:2]
	v_mov_b32_e32 v15, v2
	v_add_co_ci_u32_e32 v8, vcc_lo, s5, v4, vcc_lo
	s_mul_i32 s4, s3, 0x46
	v_mov_b32_e32 v12, v2
	v_lshlrev_b64 v[0:1], 2, v[1:2]
	v_mad_u64_u32 v[16:17], null, s3, 51, v[14:15]
	v_mov_b32_e32 v6, v2
	global_load_b32 v41, v[7:8], off
	s_mul_i32 s5, s3, 0xffffffbb
	v_mad_u64_u32 v[9:10], null, s3, 10, v[5:6]
	v_mov_b32_e32 v10, v2
	s_delay_alu instid0(VALU_DEP_1) | instskip(SKIP_1) | instid1(VALU_DEP_2)
	v_mad_u64_u32 v[7:8], null, s3, -9, v[9:10]
	v_mov_b32_e32 v8, v2
	v_lshl_add_u32 v11, s3, 3, v7
	s_delay_alu instid0(VALU_DEP_2) | instskip(NEXT) | instid1(VALU_DEP_2)
	v_lshlrev_b64 v[7:8], 2, v[7:8]
	v_lshlrev_b64 v[12:13], 2, v[11:12]
	s_delay_alu instid0(VALU_DEP_2) | instskip(NEXT) | instid1(VALU_DEP_3)
	v_add_co_u32 v7, vcc_lo, s10, v7
	v_add_co_ci_u32_e32 v8, vcc_lo, s11, v8, vcc_lo
	s_delay_alu instid0(VALU_DEP_3) | instskip(NEXT) | instid1(VALU_DEP_4)
	v_add_co_u32 v12, vcc_lo, s10, v12
	v_add_co_ci_u32_e32 v13, vcc_lo, s11, v13, vcc_lo
	s_clause 0x1
	global_load_b32 v31, v[7:8], off
	global_load_b32 v29, v[12:13], off
	v_add_co_u32 v7, vcc_lo, s10, v0
	v_add_co_ci_u32_e32 v8, vcc_lo, s11, v1, vcc_lo
	v_add_nc_u32_e32 v1, s2, v16
	v_lshlrev_b64 v[5:6], 2, v[5:6]
	v_lshlrev_b64 v[12:13], 2, v[14:15]
	s_delay_alu instid0(VALU_DEP_3) | instskip(SKIP_1) | instid1(VALU_DEP_4)
	v_lshlrev_b64 v[17:18], 2, v[1:2]
	v_add_nc_u32_e32 v1, s3, v1
	v_add_co_u32 v14, vcc_lo, s10, v5
	v_add_co_ci_u32_e32 v15, vcc_lo, s11, v6, vcc_lo
	v_add_co_u32 v12, vcc_lo, s10, v12
	v_add_co_ci_u32_e32 v13, vcc_lo, s11, v13, vcc_lo
	s_clause 0x1
	global_load_b32 v0, v[7:8], off
	global_load_b32 v42, v[12:13], off
	v_lshlrev_b64 v[19:20], 2, v[1:2]
	v_lshlrev_b64 v[9:10], 2, v[9:10]
	v_mad_u64_u32 v[5:6], null, 0x41, s3, v[1:2]
	v_mov_b32_e32 v6, v2
	global_load_b32 v39, v[14:15], off
	v_add_co_u32 v7, vcc_lo, s10, v19
	v_add_co_ci_u32_e32 v8, vcc_lo, s11, v20, vcc_lo
	v_add_co_u32 v9, vcc_lo, s10, v9
	v_add_co_ci_u32_e32 v10, vcc_lo, s11, v10, vcc_lo
	v_mad_u64_u32 v[19:20], null, 0xffffffb5, s3, v[5:6]
	v_mov_b32_e32 v20, v2
	s_clause 0x1
	global_load_b32 v33, v[7:8], off
	global_load_b32 v30, v[9:10], off
	v_mad_u64_u32 v[12:13], null, s3, 60, v[11:12]
	v_mad_u64_u32 v[7:8], null, 0x4c, s3, v[19:20]
	s_waitcnt vmcnt(5)
	v_dual_mov_b32 v8, v2 :: v_dual_mul_f32 v85, v31, v29
	s_delay_alu instid0(VALU_DEP_1) | instskip(NEXT) | instid1(VALU_DEP_1)
	v_div_scale_f32 v86, null, v85, v85, 1.0
	v_rcp_f32_e32 v88, v86
	v_mov_b32_e32 v13, v2
	s_delay_alu instid0(VALU_DEP_1) | instskip(SKIP_3) | instid1(VALU_DEP_4)
	v_lshlrev_b64 v[9:10], 2, v[12:13]
	v_mad_u64_u32 v[13:14], null, 0xffffffb6, s3, v[7:8]
	v_mov_b32_e32 v14, v2
	v_lshlrev_b64 v[7:8], 2, v[7:8]
	v_add_co_u32 v11, vcc_lo, s6, v9
	s_waitcnt vmcnt(3)
	v_mul_f32_e32 v42, v0, v42
	v_mad_u64_u32 v[21:22], null, 0xffffffbd, s3, v[12:13]
	v_add_co_ci_u32_e32 v12, vcc_lo, s7, v10, vcc_lo
	v_add_nc_u32_e32 v1, s3, v13
	v_lshlrev_b64 v[13:14], 2, v[13:14]
	v_mov_b32_e32 v22, v2
	global_load_b32 v43, v[11:12], off
	v_lshlrev_b64 v[11:12], 2, v[1:2]
	v_lshl_add_u32 v1, s3, 2, v1
	v_add_co_u32 v13, vcc_lo, s10, v13
	v_add_co_ci_u32_e32 v14, vcc_lo, s11, v14, vcc_lo
	s_delay_alu instid0(VALU_DEP_3) | instskip(SKIP_3) | instid1(VALU_DEP_3)
	v_lshlrev_b64 v[23:24], 2, v[1:2]
	v_add_nc_u32_e32 v1, s4, v1
	v_add_co_u32 v25, vcc_lo, s10, v11
	v_add_co_ci_u32_e32 v26, vcc_lo, s11, v12, vcc_lo
	v_lshlrev_b64 v[11:12], 2, v[1:2]
	v_add_nc_u32_e32 v1, s5, v1
	v_lshlrev_b64 v[21:22], 2, v[21:22]
	v_add_co_u32 v23, vcc_lo, s10, v23
	global_load_b32 v40, v[13:14], off
	v_lshlrev_b64 v[13:14], 2, v[1:2]
	v_add_co_ci_u32_e32 v24, vcc_lo, s11, v24, vcc_lo
	v_add_co_u32 v21, vcc_lo, s10, v21
	v_add_co_ci_u32_e32 v22, vcc_lo, s11, v22, vcc_lo
	s_delay_alu instid0(VALU_DEP_4)
	v_add_co_u32 v13, vcc_lo, s10, v13
	v_add_co_ci_u32_e32 v14, vcc_lo, s11, v14, vcc_lo
	s_clause 0x2
	global_load_b32 v32, v[25:26], off
	global_load_b32 v36, v[23:24], off
	;; [unrolled: 1-line block ×3, first 2 shown]
	v_add_nc_u32_e32 v1, s4, v1
	global_load_b32 v37, v[13:14], off
	v_add_co_u32 v13, vcc_lo, s10, v17
	v_add_co_ci_u32_e32 v14, vcc_lo, s11, v18, vcc_lo
	v_lshlrev_b64 v[17:18], 2, v[19:20]
	v_mad_u64_u32 v[21:22], null, 0xffffffb3, s3, v[1:2]
	v_mov_b32_e32 v22, v2
	global_load_b32 v35, v[13:14], off
	v_lshlrev_b64 v[5:6], 2, v[5:6]
	v_add_co_u32 v17, vcc_lo, s10, v17
	v_add_co_ci_u32_e32 v18, vcc_lo, s11, v18, vcc_lo
	global_load_b32 v46, v[17:18], off
	v_mad_u64_u32 v[13:14], null, s3, 14, v[21:22]
	v_mov_b32_e32 v14, v2
	v_lshlrev_b64 v[18:19], 2, v[21:22]
	v_mov_b32_e32 v17, v2
	s_delay_alu instid0(VALU_DEP_3) | instskip(NEXT) | instid1(VALU_DEP_2)
	v_lshlrev_b64 v[14:15], 2, v[13:14]
	v_lshlrev_b64 v[16:17], 2, v[16:17]
	s_delay_alu instid0(VALU_DEP_2) | instskip(NEXT) | instid1(VALU_DEP_3)
	v_add_co_u32 v14, vcc_lo, s10, v14
	v_add_co_ci_u32_e32 v15, vcc_lo, s11, v15, vcc_lo
	global_load_b32 v34, v[14:15], off
	v_add_co_u32 v14, vcc_lo, s10, v18
	v_add_co_ci_u32_e32 v15, vcc_lo, s11, v19, vcc_lo
	global_load_b32 v45, v[14:15], off
	v_add_co_u32 v14, vcc_lo, s6, v16
	v_add_co_ci_u32_e32 v15, vcc_lo, s7, v17, vcc_lo
	v_add_co_u32 v18, vcc_lo, s6, v5
	v_add_co_ci_u32_e32 v19, vcc_lo, s7, v6, vcc_lo
	v_add_co_u32 v63, vcc_lo, s8, v16
	s_clause 0x1
	global_load_b32 v77, v[14:15], off
	global_load_b32 v78, v[18:19], off
	v_add_co_ci_u32_e32 v64, vcc_lo, s9, v17, vcc_lo
	v_add_co_u32 v65, vcc_lo, s8, v9
	v_add_co_ci_u32_e32 v66, vcc_lo, s9, v10, vcc_lo
	v_add_co_u32 v9, vcc_lo, s6, v7
	;; [unrolled: 2-line block ×3, first 2 shown]
	v_add_co_ci_u32_e32 v68, vcc_lo, s9, v6, vcc_lo
	v_lshlrev_b64 v[5:6], 2, v[1:2]
	global_load_b32 v79, v[9:10], off
	v_add_co_u32 v9, vcc_lo, s6, v11
	v_add_co_ci_u32_e32 v10, vcc_lo, s7, v12, vcc_lo
	v_add_co_u32 v14, vcc_lo, s6, v5
	v_add_co_ci_u32_e32 v15, vcc_lo, s7, v6, vcc_lo
	v_lshl_add_u32 v1, s3, 6, v13
	s_clause 0x1
	global_load_b32 v80, v[9:10], off
	global_load_b32 v81, v[14:15], off
	v_add_co_u32 v69, vcc_lo, s8, v7
	v_lshlrev_b64 v[25:26], 2, v[1:2]
	v_add_nc_u32_e32 v1, s3, v1
	v_add_co_ci_u32_e32 v70, vcc_lo, s9, v8, vcc_lo
	v_add_co_u32 v71, vcc_lo, s8, v11
	s_delay_alu instid0(VALU_DEP_3) | instskip(SKIP_3) | instid1(VALU_DEP_3)
	v_lshlrev_b64 v[23:24], 2, v[1:2]
	v_add_nc_u32_e32 v1, s3, v1
	v_add_co_ci_u32_e32 v72, vcc_lo, s9, v12, vcc_lo
	v_add_co_u32 v7, vcc_lo, s6, v25
	v_lshlrev_b64 v[21:22], 2, v[1:2]
	v_add_nc_u32_e32 v1, s3, v1
	v_add_co_ci_u32_e32 v8, vcc_lo, s7, v26, vcc_lo
	v_add_co_u32 v27, vcc_lo, s8, v5
	s_delay_alu instid0(VALU_DEP_3) | instskip(SKIP_3) | instid1(VALU_DEP_3)
	v_lshlrev_b64 v[19:20], 2, v[1:2]
	v_add_nc_u32_e32 v1, s3, v1
	v_add_co_ci_u32_e32 v28, vcc_lo, s9, v6, vcc_lo
	v_add_co_u32 v5, vcc_lo, s6, v23
	v_lshlrev_b64 v[15:16], 2, v[1:2]
	v_add_nc_u32_e32 v1, s2, v1
	v_add_co_ci_u32_e32 v6, vcc_lo, s7, v24, vcc_lo
	global_load_b32 v61, v[7:8], off
	v_add_co_u32 v7, vcc_lo, s6, v21
	v_add_co_ci_u32_e32 v8, vcc_lo, s7, v22, vcc_lo
	v_mad_u64_u32 v[13:14], null, 0x42, s3, v[1:2]
	v_add_co_u32 v9, vcc_lo, s6, v19
	v_add_co_ci_u32_e32 v10, vcc_lo, s7, v20, vcc_lo
	v_mov_b32_e32 v14, v2
	v_add_co_u32 v17, vcc_lo, s6, v15
	v_add_co_ci_u32_e32 v18, vcc_lo, s7, v16, vcc_lo
	v_lshlrev_b64 v[11:12], 2, v[1:2]
	s_clause 0x3
	global_load_b32 v62, v[5:6], off
	global_load_b32 v55, v[7:8], off
	;; [unrolled: 1-line block ×4, first 2 shown]
	v_mad_u64_u32 v[5:6], null, 0xffffffb7, s3, v[13:14]
	v_lshlrev_b64 v[17:18], 2, v[13:14]
	v_mov_b32_e32 v6, v2
	v_add_co_u32 v7, vcc_lo, s10, v11
	v_add_co_ci_u32_e32 v8, vcc_lo, s11, v12, vcc_lo
	s_delay_alu instid0(VALU_DEP_3)
	v_mad_u64_u32 v[9:10], null, 0x4a, s3, v[5:6]
	v_add_co_u32 v11, vcc_lo, s6, v17
	v_mov_b32_e32 v10, v2
	v_add_co_ci_u32_e32 v12, vcc_lo, s7, v18, vcc_lo
	v_lshlrev_b64 v[5:6], 2, v[5:6]
	global_load_b32 v60, v[7:8], off
	global_load_b32 v51, v[11:12], off
	v_lshlrev_b64 v[11:12], 2, v[9:10]
	v_add_co_u32 v5, vcc_lo, s10, v5
	v_add_co_ci_u32_e32 v6, vcc_lo, s11, v6, vcc_lo
	s_delay_alu instid0(VALU_DEP_3) | instskip(NEXT) | instid1(VALU_DEP_4)
	v_add_co_u32 v47, vcc_lo, s6, v11
	v_add_co_ci_u32_e32 v48, vcc_lo, s7, v12, vcc_lo
	global_load_b32 v44, v[5:6], off
	global_load_b32 v47, v[47:48], off
	v_mul_f32_e32 v5, s0, v41
	v_mad_u64_u32 v[7:8], null, 0xffffffc4, s3, v[9:10]
	v_mov_b32_e32 v8, v2
	s_delay_alu instid0(VALU_DEP_3) | instskip(NEXT) | instid1(VALU_DEP_2)
	v_mul_f32_e32 v82, 0x4c9e9632, v5
	v_lshlrev_b64 v[8:9], 2, v[7:8]
	s_delay_alu instid0(VALU_DEP_2) | instskip(NEXT) | instid1(VALU_DEP_2)
	v_div_scale_f32 v83, null, v82, v82, 1.0
	v_mad_u64_u32 v[13:14], null, s3, 61, v[7:8]
	v_add_co_u32 v7, vcc_lo, s10, v8
	s_delay_alu instid0(VALU_DEP_4) | instskip(NEXT) | instid1(VALU_DEP_4)
	v_add_co_ci_u32_e32 v8, vcc_lo, s11, v9, vcc_lo
	v_rcp_f32_e32 v84, v83
	s_delay_alu instid0(VALU_DEP_3) | instskip(SKIP_4) | instid1(VALU_DEP_2)
	v_add_nc_u32_e32 v1, s3, v13
	global_load_b32 v48, v[7:8], off
	v_lshlrev_b64 v[9:10], 2, v[1:2]
	v_add_nc_u32_e32 v1, s1, v1
	v_fma_f32 v54, -v83, v84, 1.0
	v_lshlrev_b64 v[56:57], 2, v[1:2]
	v_dual_mov_b32 v14, v2 :: v_dual_add_nc_u32 v1, s12, v1
	s_delay_alu instid0(VALU_DEP_3) | instskip(NEXT) | instid1(VALU_DEP_2)
	v_fmac_f32_e32 v84, v54, v84
	v_lshlrev_b64 v[5:6], 2, v[1:2]
	v_add_nc_u32_e32 v1, s3, v1
	s_delay_alu instid0(VALU_DEP_4) | instskip(NEXT) | instid1(VALU_DEP_1)
	v_lshlrev_b64 v[13:14], 2, v[13:14]
	v_add_co_u32 v7, vcc_lo, s6, v13
	s_delay_alu instid0(VALU_DEP_2)
	v_add_co_ci_u32_e32 v8, vcc_lo, s7, v14, vcc_lo
	v_add_co_u32 v58, vcc_lo, s6, v9
	v_add_co_ci_u32_e32 v59, vcc_lo, s7, v10, vcc_lo
	v_add_co_u32 v56, vcc_lo, s10, v56
	v_add_co_ci_u32_e32 v57, vcc_lo, s11, v57, vcc_lo
	s_clause 0x1
	global_load_b32 v52, v[7:8], off
	global_load_b32 v49, v[58:59], off
	v_lshlrev_b64 v[7:8], 2, v[1:2]
	v_add_nc_u32_e32 v1, s1, v1
	global_load_b32 v41, v[56:57], off
	v_add_co_u32 v56, vcc_lo, s6, v5
	v_add_co_ci_u32_e32 v57, vcc_lo, s7, v6, vcc_lo
	v_add_co_u32 v73, vcc_lo, s6, v7
	v_add_co_ci_u32_e32 v74, vcc_lo, s7, v8, vcc_lo
	s_clause 0x1
	global_load_b32 v57, v[56:57], off
	global_load_b32 v54, v[73:74], off
	v_fma_f32 v56, -v86, v88, 1.0
	v_lshlrev_b64 v[58:59], 2, v[1:2]
	v_div_scale_f32 v87, vcc_lo, 1.0, v82, 1.0
	s_delay_alu instid0(VALU_DEP_3) | instskip(NEXT) | instid1(VALU_DEP_3)
	v_dual_fmac_f32 v88, v56, v88 :: v_dual_add_nc_u32 v1, s12, v1
	v_add_co_u32 v58, s0, s10, v58
	s_delay_alu instid0(VALU_DEP_1) | instskip(NEXT) | instid1(VALU_DEP_3)
	v_add_co_ci_u32_e64 v59, s0, s11, v59, s0
	v_mad_u64_u32 v[75:76], null, 0xffffffba, s3, v[1:2]
	v_mov_b32_e32 v76, v2
	v_div_scale_f32 v91, s0, 1.0, v85, 1.0
	global_load_b32 v56, v[58:59], off
	v_mul_f32_e32 v89, v87, v84
	v_lshlrev_b64 v[73:74], 2, v[75:76]
	v_mul_f32_e32 v76, v91, v88
	s_delay_alu instid0(VALU_DEP_3) | instskip(NEXT) | instid1(VALU_DEP_3)
	v_fma_f32 v90, -v83, v89, v87
	v_add_co_u32 v58, s1, s10, v73
	s_delay_alu instid0(VALU_DEP_1) | instskip(NEXT) | instid1(VALU_DEP_4)
	v_add_co_ci_u32_e64 v59, s1, s11, v74, s1
	v_fma_f32 v73, -v86, v76, v91
	v_div_scale_f32 v74, null, v42, v42, 1.0
	v_fmac_f32_e32 v89, v90, v84
	global_load_b32 v58, v[58:59], off
	v_fmac_f32_e32 v76, v73, v88
	v_rcp_f32_e32 v73, v74
	s_waitcnt_depctr 0xfff
	v_fma_f32 v90, -v74, v73, 1.0
	s_waitcnt vmcnt(32)
	s_delay_alu instid0(VALU_DEP_1) | instskip(SKIP_3) | instid1(VALU_DEP_3)
	v_dual_fmac_f32 v73, v90, v73 :: v_dual_mul_f32 v90, v39, v30
	v_fma_f32 v83, -v83, v89, v87
	v_div_scale_f32 v87, null, v33, v33, 1.0
	v_fma_f32 v59, -v86, v76, v91
	v_div_fmas_f32 v83, v83, v84, v89
	s_delay_alu instid0(VALU_DEP_3) | instskip(SKIP_1) | instid1(VALU_DEP_2)
	v_rcp_f32_e32 v89, v87
	s_mov_b32 vcc_lo, s0
	v_div_fmas_f32 v59, v59, v88, v76
	s_delay_alu instid0(VALU_DEP_2) | instskip(SKIP_2) | instid1(VALU_DEP_3)
	v_div_fixup_f32 v82, v83, v82, 1.0
	s_waitcnt vmcnt(30)
	v_mul_f32_e32 v91, v30, v40
	v_div_fixup_f32 v59, v59, v85, 1.0
	v_div_scale_f32 v85, vcc_lo, 1.0, v42, 1.0
	s_waitcnt_depctr 0xfff
	v_fma_f32 v88, -v87, v89, 1.0
	s_delay_alu instid0(VALU_DEP_1) | instskip(NEXT) | instid1(VALU_DEP_1)
	v_dual_mul_f32 v84, v30, v0 :: v_dual_fmac_f32 v89, v88, v89
	v_div_scale_f32 v86, null, v84, v84, 1.0
	v_mul_f32_e32 v88, v85, v73
	s_delay_alu instid0(VALU_DEP_2)
	v_rcp_f32_e32 v76, v86
	s_waitcnt vmcnt(25)
	v_mul_f32_e32 v31, v31, v35
	s_waitcnt_depctr 0xfff
	v_fma_f32 v83, -v86, v76, 1.0
	v_mul_f32_e32 v59, v90, v59
	v_div_scale_f32 v90, s0, 1.0, v33, 1.0
	s_delay_alu instid0(VALU_DEP_3) | instskip(SKIP_1) | instid1(VALU_DEP_1)
	v_fmac_f32_e32 v76, v83, v76
	v_fma_f32 v83, -v74, v88, v85
	v_dual_min_f32 v59, 0x7cf0bdc2, v59 :: v_dual_fmac_f32 v88, v83, v73
	s_delay_alu instid0(VALU_DEP_1)
	v_mul_f32_e32 v43, v43, v59
	v_div_scale_f32 v83, s1, 1.0, v84, 1.0
	v_mul_f32_e32 v59, v90, v89
	global_store_b32 v[65:66], v43, off
	v_mul_f32_e32 v66, v83, v76
	v_fma_f32 v65, -v74, v88, v85
	v_fma_f32 v43, -v87, v59, v90
	v_mul_f32_e32 v74, v32, v36
	v_div_scale_f32 v85, null, v91, v91, 1.0
	s_delay_alu instid0(VALU_DEP_4) | instskip(SKIP_4) | instid1(VALU_DEP_3)
	v_div_fmas_f32 v65, v65, v73, v88
	v_fma_f32 v73, -v86, v66, v83
	v_fmac_f32_e32 v59, v43, v89
	v_div_scale_f32 v43, null, v74, v74, 1.0
	s_mov_b32 vcc_lo, s0
	v_fmac_f32_e32 v66, v73, v76
	v_rcp_f32_e32 v73, v85
	s_delay_alu instid0(VALU_DEP_2) | instskip(SKIP_4) | instid1(VALU_DEP_4)
	v_rcp_f32_e32 v88, v43
	v_fma_f32 v87, -v87, v59, v90
	v_div_fixup_f32 v42, v65, v42, 1.0
	v_fma_f32 v83, -v86, v66, v83
	v_mul_f32_e32 v86, v30, v38
	v_div_fmas_f32 v87, v87, v89, v59
	v_mul_f32_e32 v89, v32, v37
	s_mov_b32 vcc_lo, s1
	s_delay_alu instid0(TRANS32_DEP_2) | instskip(SKIP_3) | instid1(VALU_DEP_4)
	v_fma_f32 v59, -v85, v73, 1.0
	v_div_fmas_f32 v66, v83, v76, v66
	v_fma_f32 v76, -v43, v88, 1.0
	v_div_scale_f32 v90, null, v89, v89, 1.0
	v_fmac_f32_e32 v73, v59, v73
	v_dual_mul_f32 v83, v0, v35 :: v_dual_mul_f32 v86, v86, v42
	s_delay_alu instid0(VALU_DEP_4) | instskip(SKIP_4) | instid1(VALU_DEP_3)
	v_fmac_f32_e32 v88, v76, v88
	v_div_scale_f32 v76, vcc_lo, 1.0, v74, 1.0
	v_mul_f32_e32 v59, 0x49776020, v82
	v_rcp_f32_e32 v65, v90
	v_div_fixup_f32 v66, v66, v84, 1.0
	v_mul_f32_e32 v82, v76, v88
	v_div_fixup_f32 v84, v87, v33, 1.0
	s_delay_alu instid0(VALU_DEP_2) | instskip(NEXT) | instid1(VALU_DEP_1)
	v_fma_f32 v42, -v43, v82, v76
	v_dual_mul_f32 v83, v59, v83 :: v_dual_fmac_f32 v82, v42, v88
	s_waitcnt vmcnt(23)
	s_delay_alu instid0(VALU_DEP_1) | instskip(NEXT) | instid1(TRANS32_DEP_1)
	v_dual_mul_f32 v83, v84, v83 :: v_dual_mul_f32 v42, v46, v34
	v_fma_f32 v84, -v90, v65, 1.0
	v_min_f32_e32 v86, 0x7cf0bdc2, v86
	v_fma_f32 v43, -v43, v82, v76
	s_delay_alu instid0(VALU_DEP_4)
	v_min_f32_e32 v83, 0x7cf0bdc2, v83
	v_div_scale_f32 v76, null, v42, v42, 1.0
	v_fmac_f32_e32 v65, v84, v65
	v_mul_f32_e32 v87, v35, v46
	v_div_scale_f32 v46, s0, 1.0, v89, 1.0
	v_div_fmas_f32 v82, v43, v88, v82
	v_rcp_f32_e32 v88, v76
	s_waitcnt vmcnt(21)
	s_delay_alu instid0(VALU_DEP_2)
	v_dual_mul_f32 v77, v77, v86 :: v_dual_mul_f32 v84, v46, v65
	v_mul_f32_e32 v66, v66, v87
	v_div_scale_f32 v87, s1, 1.0, v42, 1.0
	s_waitcnt vmcnt(20)
	v_mul_f32_e32 v78, v78, v83
	v_fma_f32 v43, -v90, v84, v46
	v_div_fixup_f32 v74, v82, v74, 1.0
	s_mov_b32 vcc_lo, s0
	global_store_b32 v[63:64], v77, off
	v_add_co_u32 v25, s0, s8, v25
	v_fmac_f32_e32 v84, v43, v65
	v_fma_f32 v43, -v76, v88, 1.0
	v_div_scale_f32 v86, s2, 1.0, v91, 1.0
	v_add_co_ci_u32_e64 v26, s0, s9, v26, s0
	s_delay_alu instid0(VALU_DEP_3) | instskip(SKIP_2) | instid1(VALU_DEP_3)
	v_fmac_f32_e32 v88, v43, v88
	v_mul_f32_e32 v43, v35, v40
	v_fma_f32 v46, -v90, v84, v46
	v_dual_mul_f32 v40, v40, v34 :: v_dual_mul_f32 v83, v87, v88
	s_delay_alu instid0(VALU_DEP_3) | instskip(NEXT) | instid1(VALU_DEP_3)
	v_mul_f32_e32 v74, v43, v74
	v_div_fmas_f32 v46, v46, v65, v84
	v_mul_f32_e32 v84, v86, v73
	s_mov_b32 vcc_lo, s1
	v_fma_f32 v65, -v76, v83, v87
	v_mul_f32_e32 v82, v35, v45
	v_min_f32_e32 v74, 0x7cf0bdc2, v74
	v_mul_f32_e32 v90, v33, v45
	v_div_fixup_f32 v45, v46, v89, 1.0
	v_dual_fmac_f32 v83, v65, v88 :: v_dual_min_f32 v46, 0x7cf0bdc2, v66
	s_waitcnt vmcnt(18)
	v_mul_f32_e32 v63, v80, v74
	v_fma_f32 v65, -v85, v84, v86
	v_div_scale_f32 v89, null, v90, v90, 1.0
	v_fma_f32 v66, -v76, v83, v87
	v_mul_f32_e32 v76, v43, v45
	v_mul_f32_e32 v46, v79, v46
	s_clause 0x2
	global_store_b32 v[67:68], v78, off
	global_store_b32 v[69:70], v46, off
	;; [unrolled: 1-line block ×3, first 2 shown]
	v_min_f32_e32 v64, 0x7cf0bdc2, v76
	v_div_fmas_f32 v66, v66, v88, v83
	v_add_co_u32 v3, vcc_lo, s10, v3
	v_add_co_ci_u32_e32 v4, vcc_lo, s11, v4, vcc_lo
	s_waitcnt vmcnt(17)
	v_mul_f32_e32 v69, v81, v64
	v_mad_u64_u32 v[63:64], null, 0x47, s3, v[75:76]
	v_div_scale_f32 v75, null, v40, v40, 1.0
	v_div_fixup_f32 v66, v66, v42, 1.0
	v_fmac_f32_e32 v84, v65, v73
	global_load_b32 v74, v[3:4], off
	v_rcp_f32_e32 v77, v75
	global_store_b32 v[27:28], v69, off
	v_mul_f32_e32 v46, v82, v66
	v_lshlrev_b64 v[65:66], 2, v[1:2]
	v_fma_f32 v3, -v85, v84, v86
	v_add_nc_u32_e32 v1, s5, v63
	s_mov_b32 vcc_lo, s2
	v_rcp_f32_e32 v70, v89
	v_fma_f32 v27, -v75, v77, 1.0
	s_delay_alu instid0(VALU_DEP_2) | instskip(SKIP_1) | instid1(VALU_DEP_3)
	v_lshlrev_b64 v[67:68], 2, v[1:2]
	v_add_nc_u32_e32 v1, s4, v1
	v_dual_fmac_f32 v77, v27, v77 :: v_dual_min_f32 v64, 0x7cf0bdc2, v46
	v_div_fmas_f32 v46, v3, v73, v84
	v_add_co_u32 v3, vcc_lo, s6, v65
	v_add_co_ci_u32_e32 v4, vcc_lo, s7, v66, vcc_lo
	s_delay_alu instid0(VALU_DEP_3) | instskip(NEXT) | instid1(TRANS32_DEP_1)
	v_div_fixup_f32 v46, v46, v91, 1.0
	v_fma_f32 v71, -v89, v70, 1.0
	s_waitcnt vmcnt(17)
	v_mul_f32_e32 v61, v61, v64
	global_load_b32 v73, v[3:4], off
	v_add_co_u32 v3, vcc_lo, s10, v67
	v_add_co_ci_u32_e32 v4, vcc_lo, s11, v68, vcc_lo
	v_mov_b32_e32 v64, v2
	v_fmac_f32_e32 v70, v71, v70
	global_store_b32 v[25:26], v61, off
	global_load_b32 v76, v[3:4], off
	v_dual_mul_f32 v3, v46, v82 :: v_dual_mul_f32 v82, v39, v35
	v_mul_f32_e32 v39, v39, v33
	v_div_scale_f32 v67, vcc_lo, 1.0, v90, 1.0
	s_delay_alu instid0(VALU_DEP_3) | instskip(SKIP_1) | instid1(VALU_DEP_4)
	v_min_f32_e32 v71, 0x7cf0bdc2, v3
	v_lshlrev_b64 v[3:4], 2, v[63:64]
	v_div_scale_f32 v83, null, v39, v39, 1.0
	s_waitcnt vmcnt(18)
	s_delay_alu instid0(VALU_DEP_3) | instskip(NEXT) | instid1(VALU_DEP_3)
	v_mul_f32_e32 v78, v71, v62
	v_add_co_u32 v25, s0, s6, v3
	s_delay_alu instid0(VALU_DEP_1) | instskip(SKIP_4) | instid1(VALU_DEP_1)
	v_add_co_ci_u32_e64 v26, s0, s7, v4, s0
	v_div_scale_f32 v79, s0, 1.0, v40, 1.0
	v_rcp_f32_e32 v85, v83
	global_load_b32 v80, v[25:26], off
	v_mul_f32_e32 v81, v79, v77
	v_fma_f32 v62, -v75, v81, v79
	v_mul_f32_e32 v68, v67, v70
	v_fma_f32 v87, -v83, v85, 1.0
	s_waitcnt vmcnt(15)
	s_delay_alu instid0(VALU_DEP_3) | instskip(NEXT) | instid1(VALU_DEP_3)
	v_dual_mul_f32 v60, v0, v60 :: v_dual_fmac_f32 v81, v62, v77
	v_fma_f32 v72, -v89, v68, v67
	s_delay_alu instid0(VALU_DEP_3) | instskip(NEXT) | instid1(VALU_DEP_3)
	v_fmac_f32_e32 v85, v87, v85
	v_div_scale_f32 v88, null, v60, v60, 1.0
	s_delay_alu instid0(VALU_DEP_4) | instskip(NEXT) | instid1(VALU_DEP_4)
	v_fma_f32 v75, -v75, v81, v79
	v_fmac_f32_e32 v68, v72, v70
	s_delay_alu instid0(VALU_DEP_3) | instskip(NEXT) | instid1(VALU_DEP_1)
	v_rcp_f32_e32 v79, v88
	v_fma_f32 v28, -v89, v68, v67
	s_delay_alu instid0(VALU_DEP_1) | instskip(NEXT) | instid1(VALU_DEP_1)
	v_div_fmas_f32 v25, v28, v70, v68
	v_div_fixup_f32 v61, v25, v90, 1.0
	v_lshlrev_b64 v[25:26], 2, v[1:2]
	v_add_nc_u32_e32 v1, s3, v1
	s_delay_alu instid0(VALU_DEP_3) | instskip(NEXT) | instid1(VALU_DEP_2)
	v_mul_f32_e32 v84, v82, v61
	v_lshlrev_b64 v[61:62], 2, v[1:2]
	v_add_nc_u32_e32 v1, s3, v1
	v_add_co_u32 v27, vcc_lo, s6, v25
	v_add_co_ci_u32_e32 v28, vcc_lo, s7, v26, vcc_lo
	s_delay_alu instid0(VALU_DEP_3)
	v_lshlrev_b64 v[63:64], 2, v[1:2]
	v_add_nc_u32_e32 v1, s3, v1
	global_load_b32 v86, v[27:28], off
	v_add_co_u32 v27, vcc_lo, s6, v61
	v_add_co_ci_u32_e32 v28, vcc_lo, s7, v62, vcc_lo
	v_add_co_u32 v67, vcc_lo, s6, v63
	v_add_co_ci_u32_e32 v68, vcc_lo, s7, v64, vcc_lo
	s_clause 0x1
	global_load_b32 v89, v[27:28], off
	global_load_b32 v90, v[67:68], off
	v_lshlrev_b64 v[27:28], 2, v[1:2]
	v_add_nc_u32_e32 v1, s3, v1
	s_delay_alu instid0(VALU_DEP_1) | instskip(SKIP_1) | instid1(VALU_DEP_4)
	v_lshlrev_b64 v[71:72], 2, v[1:2]
	v_add_nc_u32_e32 v1, s3, v1
	v_add_co_u32 v69, vcc_lo, s6, v27
	v_add_co_ci_u32_e32 v70, vcc_lo, s7, v28, vcc_lo
	s_delay_alu instid0(VALU_DEP_4) | instskip(NEXT) | instid1(VALU_DEP_4)
	v_add_co_u32 v67, vcc_lo, s6, v71
	v_lshlrev_b64 v[1:2], 2, v[1:2]
	v_add_co_ci_u32_e32 v68, vcc_lo, s7, v72, vcc_lo
	s_clause 0x1
	global_load_b32 v87, v[69:70], off
	global_load_b32 v67, v[67:68], off
	v_add_co_u32 v69, vcc_lo, s6, v1
	v_add_co_ci_u32_e32 v70, vcc_lo, s7, v2, vcc_lo
	s_mov_b32 vcc_lo, s0
	v_div_scale_f32 v68, s1, 1.0, v39, 1.0
	v_div_fmas_f32 v75, v75, v77, v81
	v_fma_f32 v77, -v88, v79, 1.0
	global_load_b32 v69, v[69:70], off
	v_add_co_u32 v23, vcc_lo, s8, v23
	v_add_co_ci_u32_e32 v24, vcc_lo, s9, v24, vcc_lo
	v_dual_fmac_f32 v79, v77, v79 :: v_dual_mul_f32 v70, v68, v85
	v_min_f32_e32 v81, 0x7cf0bdc2, v84
	v_div_fixup_f32 v75, v75, v40, 1.0
	v_div_scale_f32 v77, s0, 1.0, v60, 1.0
	s_delay_alu instid0(VALU_DEP_4)
	v_fma_f32 v84, -v83, v70, v68
	global_store_b32 v[23:24], v78, off
	v_mul_f32_e32 v23, v81, v55
	v_mul_f32_e32 v24, v82, v75
	v_dual_mul_f32 v55, v77, v79 :: v_dual_fmac_f32 v70, v84, v85
	v_add_co_u32 v21, vcc_lo, s8, v21
	s_delay_alu instid0(VALU_DEP_3)
	v_min_f32_e32 v24, 0x7cf0bdc2, v24
	s_waitcnt vmcnt(19)
	v_mul_f32_e32 v78, v33, v44
	v_fma_f32 v68, -v83, v70, v68
	v_add_co_ci_u32_e32 v22, vcc_lo, s9, v22, vcc_lo
	s_mov_b32 vcc_lo, s1
	v_fma_f32 v75, -v88, v55, v77
	s_delay_alu instid0(VALU_DEP_3) | instskip(SKIP_2) | instid1(VALU_DEP_4)
	v_div_fmas_f32 v68, v68, v85, v70
	v_div_scale_f32 v70, null, v78, v78, 1.0
	v_add_co_u32 v19, vcc_lo, s8, v19
	v_fmac_f32_e32 v55, v75, v79
	s_delay_alu instid0(VALU_DEP_4) | instskip(SKIP_3) | instid1(VALU_DEP_3)
	v_div_fixup_f32 v39, v68, v39, 1.0
	v_mul_f32_e32 v24, v24, v53
	v_rcp_f32_e32 v53, v70
	v_add_co_ci_u32_e32 v20, vcc_lo, s9, v20, vcc_lo
	v_mul_f32_e32 v31, v31, v39
	v_fma_f32 v68, -v88, v55, v77
	s_mov_b32 vcc_lo, s0
	s_clause 0x1
	global_store_b32 v[21:22], v23, off
	global_store_b32 v[19:20], v24, off
	v_mul_f32_e32 v20, v29, v33
	v_div_fmas_f32 v39, v68, v79, v55
	v_fma_f32 v55, -v70, v53, 1.0
	s_waitcnt vmcnt(17)
	v_div_scale_f32 v68, null, v48, v48, 1.0
	v_add_co_u32 v15, s0, s8, v15
	s_delay_alu instid0(VALU_DEP_3) | instskip(SKIP_4) | instid1(VALU_DEP_3)
	v_fmac_f32_e32 v53, v55, v53
	v_div_scale_f32 v55, vcc_lo, 1.0, v78, 1.0
	v_div_fixup_f32 v39, v39, v60, 1.0
	v_min_f32_e32 v31, 0x7cf0bdc2, v31
	v_rcp_f32_e32 v60, v68
	v_mul_f32_e32 v22, v55, v53
	v_mul_f32_e32 v38, v38, v35
	v_add_co_ci_u32_e64 v16, s0, s9, v16, s0
	v_mul_f32_e32 v19, v31, v50
	s_delay_alu instid0(VALU_DEP_4) | instskip(NEXT) | instid1(VALU_DEP_4)
	v_fma_f32 v23, -v70, v22, v55
	v_mul_f32_e32 v21, v38, v39
	v_div_scale_f32 v31, null, v20, v20, 1.0
	s_delay_alu instid0(TRANS32_DEP_1) | instskip(NEXT) | instid1(VALU_DEP_4)
	v_fma_f32 v24, -v68, v60, 1.0
	v_dual_fmac_f32 v22, v23, v53 :: v_dual_mul_f32 v29, v29, v35
	s_delay_alu instid0(VALU_DEP_3) | instskip(NEXT) | instid1(VALU_DEP_2)
	v_rcp_f32_e32 v23, v31
	v_dual_min_f32 v21, 0x7cf0bdc2, v21 :: v_dual_fmac_f32 v60, v24, v60
	v_div_scale_f32 v24, s0, 1.0, v48, 1.0
	s_delay_alu instid0(VALU_DEP_3) | instskip(NEXT) | instid1(VALU_DEP_3)
	v_fma_f32 v33, -v70, v22, v55
	v_mul_f32_e32 v21, v51, v21
	v_add_co_u32 v17, s1, s8, v17
	s_delay_alu instid0(VALU_DEP_4) | instskip(NEXT) | instid1(TRANS32_DEP_1)
	v_mul_f32_e32 v38, v24, v60
	v_fma_f32 v39, -v31, v23, 1.0
	v_add_co_ci_u32_e64 v18, s1, s9, v18, s1
	v_div_fmas_f32 v22, v33, v53, v22
	s_delay_alu instid0(VALU_DEP_4) | instskip(SKIP_3) | instid1(VALU_DEP_3)
	v_fma_f32 v33, -v68, v38, v24
	s_waitcnt vmcnt(14)
	v_dual_mul_f32 v50, v0, v41 :: v_dual_fmac_f32 v23, v39, v23
	v_div_scale_f32 v39, s1, 1.0, v20, 1.0
	v_fmac_f32_e32 v38, v33, v60
	s_clause 0x1
	global_store_b32 v[15:16], v19, off
	global_store_b32 v[17:18], v21, off
	s_mov_b32 vcc_lo, s0
	v_mul_f32_e32 v33, v39, v23
	v_div_fixup_f32 v22, v22, v78, 1.0
	v_fma_f32 v15, -v68, v38, v24
	v_mul_f32_e32 v21, v30, v35
	v_div_scale_f32 v51, null, v50, v50, 1.0
	v_fma_f32 v16, -v31, v33, v39
	s_delay_alu instid0(VALU_DEP_4) | instskip(SKIP_2) | instid1(VALU_DEP_3)
	v_div_fmas_f32 v15, v15, v60, v38
	v_dual_mul_f32 v17, v29, v22 :: v_dual_mul_f32 v18, v59, v29
	s_mov_b32 vcc_lo, s1
	v_fmac_f32_e32 v33, v16, v23
	s_delay_alu instid0(VALU_DEP_3) | instskip(SKIP_1) | instid1(VALU_DEP_2)
	v_div_fixup_f32 v15, v15, v48, 1.0
	v_rcp_f32_e32 v53, v51
	v_fma_f32 v19, -v31, v33, v39
	s_delay_alu instid0(VALU_DEP_2) | instskip(NEXT) | instid1(VALU_DEP_2)
	v_mul_f32_e32 v15, v18, v15
	v_div_fmas_f32 v18, v19, v23, v33
	s_delay_alu instid0(VALU_DEP_2)
	v_min_f32_e32 v15, 0x7cf0bdc2, v15
	s_waitcnt_depctr 0xfff
	v_fma_f32 v16, -v51, v53, 1.0
	v_add_co_u32 v11, vcc_lo, s8, v11
	v_div_fixup_f32 v18, v18, v20, 1.0
	v_add_co_ci_u32_e32 v12, vcc_lo, s9, v12, vcc_lo
	v_add_co_u32 v13, vcc_lo, s8, v13
	s_delay_alu instid0(VALU_DEP_3) | instskip(SKIP_2) | instid1(VALU_DEP_3)
	v_dual_mul_f32 v18, v21, v18 :: v_dual_min_f32 v17, 0x7cf0bdc2, v17
	v_fmac_f32_e32 v53, v16, v53
	v_div_scale_f32 v16, s0, 1.0, v50, 1.0
	v_dual_min_f32 v18, 0x7cf0bdc2, v18 :: v_dual_mul_f32 v17, v47, v17
	v_mul_f32_e32 v15, v52, v15
	v_add_co_ci_u32_e32 v14, vcc_lo, s9, v14, vcc_lo
	s_clause 0x1
	global_store_b32 v[11:12], v17, off
	global_store_b32 v[13:14], v15, off
	v_dual_mul_f32 v12, v35, v36 :: v_dual_mul_f32 v19, v16, v53
	s_mov_b32 vcc_lo, s0
	v_mul_f32_e32 v11, v18, v49
	v_mul_f32_e32 v17, v35, v37
	v_add_co_u32 v5, s0, s8, v5
	v_fma_f32 v20, -v51, v19, v16
	v_add_co_ci_u32_e64 v6, s0, s9, v6, s0
	s_delay_alu instid0(VALU_DEP_2) | instskip(SKIP_2) | instid1(VALU_DEP_2)
	v_fmac_f32_e32 v19, v20, v53
	s_waitcnt vmcnt(11)
	v_div_scale_f32 v20, null, v56, v56, 1.0
	v_fma_f32 v16, -v51, v19, v16
	s_delay_alu instid0(VALU_DEP_2) | instskip(NEXT) | instid1(VALU_DEP_1)
	v_rcp_f32_e32 v21, v20
	v_div_fmas_f32 v16, v16, v53, v19
	v_add_co_u32 v9, vcc_lo, s8, v9
	v_add_co_ci_u32_e32 v10, vcc_lo, s9, v10, vcc_lo
	s_delay_alu instid0(VALU_DEP_3)
	v_div_fixup_f32 v13, v16, v50, 1.0
	s_waitcnt_depctr 0xfff
	v_fma_f32 v14, -v20, v21, 1.0
	v_div_scale_f32 v15, vcc_lo, 1.0, v56, 1.0
	global_store_b32 v[9:10], v11, off
	v_mul_f32_e32 v11, v17, v13
	v_mul_f32_e32 v17, v35, v35
	s_waitcnt vmcnt(10)
	v_dual_fmac_f32 v21, v14, v21 :: v_dual_mul_f32 v14, v0, v58
	s_delay_alu instid0(VALU_DEP_3) | instskip(SKIP_1) | instid1(VALU_DEP_3)
	v_dual_mul_f32 v12, v12, v13 :: v_dual_min_f32 v11, 0x7cf0bdc2, v11
	v_mul_f32_e32 v0, v0, v34
	v_div_scale_f32 v16, null, v14, v14, 1.0
	s_delay_alu instid0(VALU_DEP_3) | instskip(SKIP_1) | instid1(VALU_DEP_3)
	v_min_f32_e32 v12, 0x7cf0bdc2, v12
	v_mul_f32_e32 v18, v15, v21
	v_rcp_f32_e32 v10, v16
	s_delay_alu instid0(VALU_DEP_2) | instskip(NEXT) | instid1(VALU_DEP_2)
	v_mul_f32_e32 v9, v57, v12
	v_fma_f32 v12, -v20, v18, v15
	global_store_b32 v[5:6], v9, off
	v_dual_fmac_f32 v18, v12, v21 :: v_dual_mul_f32 v9, v54, v11
	v_fma_f32 v12, -v16, v10, 1.0
	v_mul_f32_e32 v11, v59, v17
	s_delay_alu instid0(VALU_DEP_3) | instskip(NEXT) | instid1(VALU_DEP_3)
	v_fma_f32 v15, -v20, v18, v15
	v_fmac_f32_e32 v10, v12, v10
	v_div_scale_f32 v12, s0, 1.0, v14, 1.0
	s_delay_alu instid0(VALU_DEP_3) | instskip(SKIP_1) | instid1(VALU_DEP_3)
	v_div_fmas_f32 v15, v15, v21, v18
	v_add_co_u32 v5, vcc_lo, s8, v7
	v_mul_f32_e32 v18, v12, v10
	v_add_co_ci_u32_e32 v6, vcc_lo, s9, v8, vcc_lo
	s_mov_b32 vcc_lo, s0
	v_div_fixup_f32 v15, v15, v56, 1.0
	s_delay_alu instid0(VALU_DEP_3) | instskip(SKIP_4) | instid1(VALU_DEP_2)
	v_fma_f32 v21, -v16, v18, v12
	global_store_b32 v[5:6], v9, off
	s_waitcnt vmcnt(9)
	v_dual_mul_f32 v8, v30, v74 :: v_dual_mul_f32 v7, v11, v15
	v_fmac_f32_e32 v18, v21, v10
	v_div_scale_f32 v15, null, v8, v8, 1.0
	s_delay_alu instid0(VALU_DEP_3) | instskip(NEXT) | instid1(VALU_DEP_3)
	v_min_f32_e32 v5, 0x7cf0bdc2, v7
	v_fma_f32 v6, -v16, v18, v12
	v_div_scale_f32 v12, null, v43, v43, 1.0
	s_delay_alu instid0(VALU_DEP_4)
	v_rcp_f32_e32 v9, v15
	s_waitcnt vmcnt(8)
	v_mul_f32_e32 v16, v73, v5
	v_div_fmas_f32 v6, v6, v10, v18
	v_rcp_f32_e32 v18, v12
	v_mul_f32_e32 v13, v44, v41
	v_add_co_u32 v5, vcc_lo, s8, v65
	s_delay_alu instid0(VALU_DEP_3) | instskip(SKIP_1) | instid1(VALU_DEP_4)
	v_div_fixup_f32 v14, v6, v14, 1.0
	v_add_co_ci_u32_e32 v6, vcc_lo, s9, v66, vcc_lo
	v_div_scale_f32 v19, null, v13, v13, 1.0
	v_div_scale_f32 v11, s1, 1.0, v13, 1.0
	s_delay_alu instid0(VALU_DEP_1) | instskip(NEXT) | instid1(VALU_DEP_2)
	s_mov_b32 vcc_lo, s1
	v_rcp_f32_e32 v20, v19
	s_waitcnt vmcnt(7)
	v_dual_mul_f32 v14, v17, v14 :: v_dual_mul_f32 v17, v35, v76
	global_store_b32 v[5:6], v16, off
	v_fma_f32 v22, -v19, v20, 1.0
	s_delay_alu instid0(VALU_DEP_1) | instskip(NEXT) | instid1(VALU_DEP_1)
	v_fmac_f32_e32 v20, v22, v20
	v_mul_f32_e32 v7, v11, v20
	s_delay_alu instid0(VALU_DEP_1) | instskip(NEXT) | instid1(VALU_DEP_1)
	v_fma_f32 v10, -v19, v7, v11
	v_fmac_f32_e32 v7, v10, v20
	v_fma_f32 v10, -v15, v9, 1.0
	s_delay_alu instid0(VALU_DEP_2) | instskip(NEXT) | instid1(VALU_DEP_2)
	v_fma_f32 v11, -v19, v7, v11
	v_fmac_f32_e32 v9, v10, v9
	v_div_scale_f32 v10, s0, 1.0, v8, 1.0
	v_fma_f32 v19, -v12, v18, 1.0
	s_delay_alu instid0(VALU_DEP_4) | instskip(SKIP_1) | instid1(VALU_DEP_4)
	v_div_fmas_f32 v7, v11, v20, v7
	v_mul_f32_e32 v20, v30, v32
	v_mul_f32_e32 v11, v10, v9
	s_mov_b32 vcc_lo, s0
	v_fmac_f32_e32 v18, v19, v18
	v_div_scale_f32 v19, s1, 1.0, v43, 1.0
	v_div_scale_f32 v21, null, v20, v20, 1.0
	v_div_fixup_f32 v7, v7, v13, 1.0
	v_min_f32_e32 v13, 0x7cf0bdc2, v14
	v_fma_f32 v14, -v15, v11, v10
	v_mul_f32_e32 v22, v19, v18
	v_rcp_f32_e32 v23, v21
	v_mul_f32_e32 v7, v7, v17
	s_waitcnt vmcnt(6)
	v_mul_f32_e32 v13, v80, v13
	v_fmac_f32_e32 v11, v14, v9
	v_fma_f32 v5, -v12, v22, v19
	v_min_f32_e32 v6, 0x7cf0bdc2, v7
	s_delay_alu instid0(VALU_DEP_3) | instskip(NEXT) | instid1(VALU_DEP_3)
	v_fma_f32 v7, -v15, v11, v10
	v_fmac_f32_e32 v22, v5, v18
	s_delay_alu instid0(TRANS32_DEP_1) | instskip(SKIP_1) | instid1(VALU_DEP_4)
	v_fma_f32 v5, -v21, v23, 1.0
	v_div_scale_f32 v10, s0, 1.0, v20, 1.0
	v_div_fmas_f32 v7, v7, v9, v11
	s_delay_alu instid0(VALU_DEP_4) | instskip(NEXT) | instid1(VALU_DEP_4)
	v_fma_f32 v9, -v12, v22, v19
	v_fmac_f32_e32 v23, v5, v23
	s_mov_b32 vcc_lo, s1
	s_delay_alu instid0(VALU_DEP_3) | instskip(NEXT) | instid1(VALU_DEP_3)
	v_div_fixup_f32 v5, v7, v8, 1.0
	v_div_fmas_f32 v7, v9, v18, v22
	s_delay_alu instid0(VALU_DEP_3) | instskip(SKIP_2) | instid1(VALU_DEP_3)
	v_mul_f32_e32 v8, v10, v23
	v_add_co_u32 v3, vcc_lo, s8, v3
	v_add_co_ci_u32_e32 v4, vcc_lo, s9, v4, vcc_lo
	v_fma_f32 v12, -v21, v8, v10
	v_mul_f32_e32 v11, v0, v5
	v_add_co_u32 v5, vcc_lo, s8, v25
	s_waitcnt vmcnt(5)
	s_delay_alu instid0(VALU_DEP_3)
	v_dual_mul_f32 v9, v86, v6 :: v_dual_fmac_f32 v8, v12, v23
	v_add_co_ci_u32_e32 v6, vcc_lo, s9, v26, vcc_lo
	v_div_fixup_f32 v7, v7, v43, 1.0
	s_clause 0x1
	global_store_b32 v[3:4], v13, off
	global_store_b32 v[5:6], v9, off
	v_fma_f32 v3, -v21, v8, v10
	s_mov_b32 vcc_lo, s0
	v_mul_f32_e32 v7, v7, v0
	v_dual_mul_f32 v0, v45, v0 :: v_dual_min_f32 v11, 0x7cf0bdc2, v11
	s_delay_alu instid0(VALU_DEP_3) | instskip(SKIP_1) | instid1(VALU_DEP_3)
	v_div_fmas_f32 v6, v3, v23, v8
	v_add_co_u32 v3, vcc_lo, s8, v61
	v_dual_min_f32 v5, 0x7cf0bdc2, v7 :: v_dual_min_f32 v0, 0x7cf0bdc2, v0
	v_mul_f32_e32 v7, v46, v42
	s_delay_alu instid0(VALU_DEP_4) | instskip(SKIP_3) | instid1(VALU_DEP_3)
	v_div_fixup_f32 v8, v6, v20, 1.0
	v_add_co_ci_u32_e32 v4, vcc_lo, s9, v62, vcc_lo
	s_waitcnt vmcnt(2)
	v_mul_f32_e32 v13, v0, v87
	v_dual_min_f32 v0, 0x7cf0bdc2, v7 :: v_dual_mul_f32 v9, v8, v40
	v_mul_f32_e32 v12, v5, v90
	v_add_co_u32 v5, vcc_lo, s8, v63
	v_add_co_ci_u32_e32 v6, vcc_lo, s9, v64, vcc_lo
	v_add_co_u32 v7, vcc_lo, s8, v27
	s_waitcnt vmcnt(1)
	v_mul_f32_e32 v14, v0, v67
	v_min_f32_e32 v0, 0x7cf0bdc2, v9
	v_add_co_ci_u32_e32 v8, vcc_lo, s9, v28, vcc_lo
	v_add_co_u32 v9, vcc_lo, s8, v71
	v_mul_f32_e32 v11, v89, v11
	v_add_co_ci_u32_e32 v10, vcc_lo, s9, v72, vcc_lo
	s_waitcnt vmcnt(0)
	v_mul_f32_e32 v15, v0, v69
	v_add_co_u32 v0, vcc_lo, s8, v1
	v_add_co_ci_u32_e32 v1, vcc_lo, s9, v2, vcc_lo
	s_clause 0x4
	global_store_b32 v[3:4], v11, off
	global_store_b32 v[5:6], v12, off
	;; [unrolled: 1-line block ×5, first 2 shown]
	s_nop 0
	s_sendmsg sendmsg(MSG_DEALLOC_VGPRS)
	s_endpgm
	.section	.rodata,"a",@progbits
	.p2align	6, 0x0
	.amdhsa_kernel _Z12ratt5_kernelIfEvPKT_S2_PS0_S2_S0_
		.amdhsa_group_segment_fixed_size 0
		.amdhsa_private_segment_fixed_size 0
		.amdhsa_kernarg_size 296
		.amdhsa_user_sgpr_count 15
		.amdhsa_user_sgpr_dispatch_ptr 0
		.amdhsa_user_sgpr_queue_ptr 0
		.amdhsa_user_sgpr_kernarg_segment_ptr 1
		.amdhsa_user_sgpr_dispatch_id 0
		.amdhsa_user_sgpr_private_segment_size 0
		.amdhsa_wavefront_size32 1
		.amdhsa_uses_dynamic_stack 0
		.amdhsa_enable_private_segment 0
		.amdhsa_system_sgpr_workgroup_id_x 1
		.amdhsa_system_sgpr_workgroup_id_y 0
		.amdhsa_system_sgpr_workgroup_id_z 0
		.amdhsa_system_sgpr_workgroup_info 0
		.amdhsa_system_vgpr_workitem_id 0
		.amdhsa_next_free_vgpr 92
		.amdhsa_next_free_sgpr 16
		.amdhsa_reserve_vcc 1
		.amdhsa_float_round_mode_32 0
		.amdhsa_float_round_mode_16_64 0
		.amdhsa_float_denorm_mode_32 3
		.amdhsa_float_denorm_mode_16_64 3
		.amdhsa_dx10_clamp 1
		.amdhsa_ieee_mode 1
		.amdhsa_fp16_overflow 0
		.amdhsa_workgroup_processor_mode 1
		.amdhsa_memory_ordered 1
		.amdhsa_forward_progress 0
		.amdhsa_shared_vgpr_count 0
		.amdhsa_exception_fp_ieee_invalid_op 0
		.amdhsa_exception_fp_denorm_src 0
		.amdhsa_exception_fp_ieee_div_zero 0
		.amdhsa_exception_fp_ieee_overflow 0
		.amdhsa_exception_fp_ieee_underflow 0
		.amdhsa_exception_fp_ieee_inexact 0
		.amdhsa_exception_int_div_zero 0
	.end_amdhsa_kernel
	.section	.text._Z12ratt5_kernelIfEvPKT_S2_PS0_S2_S0_,"axG",@progbits,_Z12ratt5_kernelIfEvPKT_S2_PS0_S2_S0_,comdat
.Lfunc_end6:
	.size	_Z12ratt5_kernelIfEvPKT_S2_PS0_S2_S0_, .Lfunc_end6-_Z12ratt5_kernelIfEvPKT_S2_PS0_S2_S0_
                                        ; -- End function
	.section	.AMDGPU.csdata,"",@progbits
; Kernel info:
; codeLenInByte = 5336
; NumSgprs: 18
; NumVgprs: 92
; ScratchSize: 0
; MemoryBound: 0
; FloatMode: 240
; IeeeMode: 1
; LDSByteSize: 0 bytes/workgroup (compile time only)
; SGPRBlocks: 2
; VGPRBlocks: 11
; NumSGPRsForWavesPerEU: 18
; NumVGPRsForWavesPerEU: 92
; Occupancy: 16
; WaveLimiterHint : 0
; COMPUTE_PGM_RSRC2:SCRATCH_EN: 0
; COMPUTE_PGM_RSRC2:USER_SGPR: 15
; COMPUTE_PGM_RSRC2:TRAP_HANDLER: 0
; COMPUTE_PGM_RSRC2:TGID_X_EN: 1
; COMPUTE_PGM_RSRC2:TGID_Y_EN: 0
; COMPUTE_PGM_RSRC2:TGID_Z_EN: 0
; COMPUTE_PGM_RSRC2:TIDIG_COMP_CNT: 0
	.section	.text._Z12ratt6_kernelIfEvPKT_S2_PS0_S2_S0_,"axG",@progbits,_Z12ratt6_kernelIfEvPKT_S2_PS0_S2_S0_,comdat
	.protected	_Z12ratt6_kernelIfEvPKT_S2_PS0_S2_S0_ ; -- Begin function _Z12ratt6_kernelIfEvPKT_S2_PS0_S2_S0_
	.globl	_Z12ratt6_kernelIfEvPKT_S2_PS0_S2_S0_
	.p2align	8
	.type	_Z12ratt6_kernelIfEvPKT_S2_PS0_S2_S0_,@function
_Z12ratt6_kernelIfEvPKT_S2_PS0_S2_S0_:  ; @_Z12ratt6_kernelIfEvPKT_S2_PS0_S2_S0_
; %bb.0:
	s_clause 0x3
	s_load_b32 s2, s[0:1], 0x34
	s_load_b32 s12, s[0:1], 0x28
	s_load_b256 s[4:11], s[0:1], 0x0
	s_load_b32 s0, s[0:1], 0x20
	s_waitcnt lgkmcnt(0)
	s_and_b32 s2, s2, 0xffff
	s_delay_alu instid0(SALU_CYCLE_1)
	v_mad_u64_u32 v[1:2], null, s15, s2, v[0:1]
	s_mul_i32 s12, s12, s2
	v_mov_b32_e32 v2, 0
	s_mul_i32 s3, s12, 11
	s_mul_i32 s2, s12, -11
	s_mul_i32 s1, s12, 0x5e
	s_delay_alu instid0(VALU_DEP_2) | instskip(SKIP_4) | instid1(VALU_DEP_3)
	v_add_nc_u32_e32 v7, s12, v1
	v_mad_u64_u32 v[3:4], null, s12, 3, v[1:2]
	v_mov_b32_e32 v4, v2
	v_lshlrev_b64 v[5:6], 2, v[1:2]
	v_add_nc_u32_e32 v1, s3, v1
	v_mad_u64_u32 v[9:10], null, s12, 14, v[3:4]
	s_delay_alu instid0(VALU_DEP_3) | instskip(NEXT) | instid1(VALU_DEP_4)
	v_add_co_u32 v10, vcc_lo, s4, v5
	v_add_co_ci_u32_e32 v11, vcc_lo, s5, v6, vcc_lo
	s_delay_alu instid0(VALU_DEP_4)
	v_lshlrev_b64 v[13:14], 2, v[1:2]
	v_add_co_u32 v0, vcc_lo, s10, v5
	global_load_b32 v23, v[10:11], off
	v_mad_u64_u32 v[15:16], null, 0x5a, s12, v[1:2]
	v_add_co_ci_u32_e32 v1, vcc_lo, s11, v6, vcc_lo
	v_add_co_u32 v5, vcc_lo, s10, v13
	v_add_co_ci_u32_e32 v6, vcc_lo, s11, v14, vcc_lo
	s_clause 0x1
	global_load_b32 v33, v[0:1], off
	global_load_b32 v0, v[5:6], off
	v_dual_mov_b32 v12, v2 :: v_dual_add_nc_u32 v11, s2, v9
	s_mul_i32 s4, s12, 0x62
	v_mov_b32_e32 v16, v2
	v_lshlrev_b64 v[3:4], 2, v[3:4]
	s_mul_i32 s5, s12, 0xffffffa5
	v_mad_u64_u32 v[19:20], null, s12, 10, v[11:12]
	s_delay_alu instid0(VALU_DEP_3) | instskip(SKIP_2) | instid1(VALU_DEP_2)
	v_mad_u64_u32 v[17:18], null, 0xffffff9d, s12, v[15:16]
	v_mov_b32_e32 v20, v2
	v_lshlrev_b64 v[10:11], 2, v[11:12]
	v_lshlrev_b64 v[5:6], 2, v[19:20]
	s_delay_alu instid0(VALU_DEP_4) | instskip(NEXT) | instid1(VALU_DEP_3)
	v_lshl_add_u32 v1, s12, 1, v17
	v_add_co_u32 v10, vcc_lo, s10, v10
	s_delay_alu instid0(VALU_DEP_4) | instskip(NEXT) | instid1(VALU_DEP_4)
	v_add_co_ci_u32_e32 v11, vcc_lo, s11, v11, vcc_lo
	v_add_co_u32 v5, vcc_lo, s10, v5
	s_delay_alu instid0(VALU_DEP_4)
	v_lshlrev_b64 v[12:13], 2, v[1:2]
	v_add_co_ci_u32_e32 v6, vcc_lo, s11, v6, vcc_lo
	s_clause 0x1
	global_load_b32 v34, v[10:11], off
	global_load_b32 v39, v[5:6], off
	v_add_co_u32 v5, vcc_lo, s10, v12
	v_add_co_ci_u32_e32 v6, vcc_lo, s11, v13, vcc_lo
	v_add_nc_u32_e32 v1, s4, v1
	v_dual_mov_b32 v13, v2 :: v_dual_add_nc_u32 v12, s3, v7
	global_load_b32 v41, v[5:6], off
	s_mul_i32 s3, s12, 0xffffffa1
	v_mad_u64_u32 v[10:11], null, 0xffffff9f, s12, v[1:2]
	v_lshlrev_b64 v[5:6], 2, v[1:2]
	v_lshlrev_b64 v[12:13], 2, v[12:13]
	s_delay_alu instid0(VALU_DEP_3) | instskip(SKIP_1) | instid1(VALU_DEP_1)
	v_dual_mov_b32 v8, v2 :: v_dual_add_nc_u32 v1, s4, v10
	s_mul_i32 s4, s12, 0x60
	v_lshlrev_b64 v[20:21], 2, v[1:2]
	v_add_nc_u32_e32 v1, s3, v1
	s_delay_alu instid0(VALU_DEP_3) | instskip(NEXT) | instid1(VALU_DEP_2)
	v_lshlrev_b64 v[7:8], 2, v[7:8]
	v_mad_u64_u32 v[24:25], null, s12, 13, v[1:2]
	v_mov_b32_e32 v25, v2
	v_mad_u64_u32 v[27:28], null, 0x54, s12, v[19:20]
	s_waitcnt vmcnt(5)
	v_dual_mov_b32 v28, v2 :: v_dual_mul_f32 v71, s0, v23
	s_delay_alu instid0(VALU_DEP_1) | instskip(NEXT) | instid1(VALU_DEP_1)
	v_dual_mov_b32 v11, v2 :: v_dual_mul_f32 v78, 0x4c9e9632, v71
	v_lshlrev_b64 v[10:11], 2, v[10:11]
	s_delay_alu instid0(VALU_DEP_2) | instskip(NEXT) | instid1(VALU_DEP_2)
	v_div_scale_f32 v79, null, v78, v78, 1.0
	v_add_co_u32 v10, vcc_lo, s10, v10
	s_delay_alu instid0(VALU_DEP_3)
	v_add_co_ci_u32_e32 v11, vcc_lo, s11, v11, vcc_lo
	v_add_co_u32 v7, vcc_lo, s10, v7
	v_add_co_ci_u32_e32 v8, vcc_lo, s11, v8, vcc_lo
	global_load_b32 v40, v[10:11], off
	v_add_co_u32 v10, vcc_lo, s10, v12
	v_add_co_ci_u32_e32 v11, vcc_lo, s11, v13, vcc_lo
	s_clause 0x1
	global_load_b32 v42, v[7:8], off
	global_load_b32 v49, v[10:11], off
	s_waitcnt vmcnt(6)
	v_mul_f32_e32 v80, v0, v0
	v_lshlrev_b64 v[7:8], 2, v[24:25]
	v_mad_u64_u32 v[11:12], null, 0x53, s12, v[24:25]
	v_mov_b32_e32 v10, v2
	v_lshlrev_b64 v[12:13], 2, v[1:2]
	v_div_scale_f32 v81, null, v80, v80, 1.0
	v_add_co_u32 v7, vcc_lo, s10, v7
	v_add_nc_u32_e32 v1, s3, v11
	v_add_co_ci_u32_e32 v8, vcc_lo, s11, v8, vcc_lo
	v_mov_b32_e32 v18, v2
	v_lshlrev_b64 v[9:10], 2, v[9:10]
	v_add_co_u32 v3, vcc_lo, s10, v3
	global_load_b32 v68, v[7:8], off
	v_lshlrev_b64 v[7:8], 2, v[17:18]
	v_lshlrev_b64 v[17:18], 2, v[1:2]
	v_add_nc_u32_e32 v1, s4, v1
	v_add_co_ci_u32_e32 v4, vcc_lo, s11, v4, vcc_lo
	v_add_co_u32 v9, vcc_lo, s10, v9
	s_delay_alu instid0(VALU_DEP_3) | instskip(SKIP_3) | instid1(VALU_DEP_3)
	v_lshlrev_b64 v[25:26], 2, v[1:2]
	v_add_nc_u32_e32 v1, s3, v1
	v_add_co_ci_u32_e32 v10, vcc_lo, s11, v10, vcc_lo
	v_add_co_u32 v7, vcc_lo, s10, v7
	v_lshlrev_b64 v[29:30], 2, v[1:2]
	v_add_nc_u32_e32 v1, s4, v1
	v_add_co_ci_u32_e32 v8, vcc_lo, s11, v8, vcc_lo
	v_add_co_u32 v12, vcc_lo, s10, v12
	s_delay_alu instid0(VALU_DEP_3)
	v_mad_u64_u32 v[31:32], null, 0xffffffae, s12, v[1:2]
	s_clause 0x2
	global_load_b32 v43, v[3:4], off
	global_load_b32 v64, v[9:10], off
	;; [unrolled: 1-line block ×3, first 2 shown]
	v_lshlrev_b64 v[7:8], 2, v[27:28]
	v_add_co_ci_u32_e32 v13, vcc_lo, s11, v13, vcc_lo
	v_lshlrev_b64 v[3:4], 2, v[1:2]
	v_lshlrev_b64 v[9:10], 2, v[15:16]
	v_dual_mov_b32 v32, v2 :: v_dual_add_nc_u32 v1, s2, v31
	global_load_b32 v47, v[12:13], off
	v_add_co_u32 v12, vcc_lo, s6, v7
	v_lshlrev_b64 v[14:15], 2, v[1:2]
	v_add_co_ci_u32_e32 v13, vcc_lo, s7, v8, vcc_lo
	v_add_co_u32 v27, vcc_lo, s10, v29
	v_add_co_ci_u32_e32 v28, vcc_lo, s11, v30, vcc_lo
	s_delay_alu instid0(VALU_DEP_4)
	v_add_co_u32 v14, vcc_lo, s10, v14
	v_add_co_ci_u32_e32 v15, vcc_lo, s11, v15, vcc_lo
	v_add_co_u32 v29, vcc_lo, s6, v9
	v_add_co_ci_u32_e32 v30, vcc_lo, s7, v10, vcc_lo
	s_clause 0x1
	global_load_b32 v52, v[27:28], off
	global_load_b32 v46, v[14:15], off
	s_clause 0x1
	global_load_b32 v62, v[12:13], off
	global_load_b32 v61, v[29:30], off
	v_add_co_u32 v13, vcc_lo, s10, v17
	v_add_co_ci_u32_e32 v14, vcc_lo, s11, v18, vcc_lo
	v_mov_b32_e32 v12, v2
	v_add_co_u32 v15, vcc_lo, s6, v5
	v_add_co_ci_u32_e32 v16, vcc_lo, s7, v6, vcc_lo
	s_delay_alu instid0(VALU_DEP_3)
	v_lshlrev_b64 v[11:12], 2, v[11:12]
	global_load_b32 v45, v[13:14], off
	global_load_b32 v59, v[15:16], off
	v_add_co_u32 v13, vcc_lo, s6, v20
	v_add_co_ci_u32_e32 v14, vcc_lo, s7, v21, vcc_lo
	v_add_co_u32 v15, vcc_lo, s6, v11
	v_add_co_ci_u32_e32 v16, vcc_lo, s7, v12, vcc_lo
	s_clause 0x1
	global_load_b32 v57, v[13:14], off
	global_load_b32 v56, v[15:16], off
	v_add_co_u32 v13, vcc_lo, s6, v25
	v_lshlrev_b64 v[15:16], 2, v[31:32]
	v_add_co_ci_u32_e32 v14, vcc_lo, s7, v26, vcc_lo
	v_add_nc_u32_e32 v1, s1, v1
	s_mul_i32 s4, s12, 0x5c
	v_rcp_f32_e32 v84, v81
	global_load_b32 v58, v[13:14], off
	v_add_co_u32 v13, vcc_lo, s10, v15
	v_add_co_ci_u32_e32 v14, vcc_lo, s11, v16, vcc_lo
	v_add_co_u32 v31, vcc_lo, s8, v9
	v_add_co_ci_u32_e32 v32, vcc_lo, s9, v10, vcc_lo
	global_load_b32 v48, v[13:14], off
	v_add_co_u32 v35, vcc_lo, s8, v5
	v_add_co_ci_u32_e32 v36, vcc_lo, s9, v6, vcc_lo
	v_add_co_u32 v37, vcc_lo, s8, v7
	v_add_co_ci_u32_e32 v38, vcc_lo, s9, v8, vcc_lo
	;; [unrolled: 2-line block ×5, first 2 shown]
	v_lshlrev_b64 v[19:20], 2, v[1:2]
	v_add_nc_u32_e32 v1, s12, v1
	v_add_co_u32 v25, vcc_lo, s8, v25
	global_load_b32 v63, v[5:6], off
	v_add_co_ci_u32_e32 v26, vcc_lo, s9, v26, vcc_lo
	v_lshlrev_b64 v[9:10], 2, v[1:2]
	v_add_nc_u32_e32 v1, s12, v1
	v_add_co_u32 v11, vcc_lo, s6, v19
	v_add_co_ci_u32_e32 v12, vcc_lo, s7, v20, vcc_lo
	s_delay_alu instid0(VALU_DEP_3) | instskip(SKIP_3) | instid1(VALU_DEP_4)
	v_lshlrev_b64 v[7:8], 2, v[1:2]
	v_add_co_u32 v13, vcc_lo, s6, v9
	v_add_co_ci_u32_e32 v14, vcc_lo, s7, v10, vcc_lo
	v_add_nc_u32_e32 v1, s5, v1
	v_add_co_u32 v17, vcc_lo, s6, v7
	v_add_co_ci_u32_e32 v18, vcc_lo, s7, v8, vcc_lo
	s_clause 0x2
	global_load_b32 v66, v[11:12], off
	global_load_b32 v55, v[13:14], off
	;; [unrolled: 1-line block ×3, first 2 shown]
	v_lshlrev_b64 v[15:16], 2, v[1:2]
	v_add_nc_u32_e32 v1, s4, v1
	s_waitcnt vmcnt(22)
	v_mul_f32_e32 v86, v0, v41
	v_fma_f32 v90, -v81, v84, 1.0
	v_div_scale_f32 v85, s0, 1.0, v80, 1.0
	v_add_co_u32 v15, vcc_lo, s10, v15
	v_add_co_ci_u32_e32 v16, vcc_lo, s11, v16, vcc_lo
	v_mad_u64_u32 v[21:22], null, 0xffffffa6, s12, v[1:2]
	v_mov_b32_e32 v22, v2
	global_load_b32 v50, v[15:16], off
	v_lshlrev_b64 v[5:6], 2, v[1:2]
	v_fmac_f32_e32 v84, v90, v84
	v_div_scale_f32 v91, null, v86, v86, 1.0
	v_lshlrev_b64 v[13:14], 2, v[21:22]
	v_mad_u64_u32 v[11:12], null, 0x5b, s12, v[21:22]
	v_add_co_u32 v15, vcc_lo, s6, v5
	v_add_co_ci_u32_e32 v16, vcc_lo, s7, v6, vcc_lo
	s_delay_alu instid0(VALU_DEP_4)
	v_add_co_u32 v17, vcc_lo, s10, v13
	v_add_co_ci_u32_e32 v18, vcc_lo, s11, v14, vcc_lo
	v_dual_mov_b32 v12, v2 :: v_dual_add_nc_u32 v1, s12, v11
	global_load_b32 v60, v[15:16], off
	global_load_b32 v53, v[17:18], off
	v_rcp_f32_e32 v90, v91
	v_mad_u64_u32 v[15:16], null, 0xffffffa3, s12, v[1:2]
	v_lshlrev_b64 v[13:14], 2, v[11:12]
	v_mov_b32_e32 v16, v2
	v_lshlrev_b64 v[11:12], 2, v[1:2]
	s_delay_alu instid0(VALU_DEP_4) | instskip(NEXT) | instid1(VALU_DEP_4)
	v_add_nc_u32_e32 v1, s1, v15
	v_add_co_u32 v17, vcc_lo, s6, v13
	s_delay_alu instid0(VALU_DEP_4)
	v_lshlrev_b64 v[21:22], 2, v[15:16]
	v_add_co_ci_u32_e32 v18, vcc_lo, s7, v14, vcc_lo
	v_add_co_u32 v69, vcc_lo, s6, v11
	v_lshlrev_b64 v[15:16], 2, v[1:2]
	v_add_nc_u32_e32 v1, s12, v1
	v_add_co_ci_u32_e32 v70, vcc_lo, s7, v12, vcc_lo
	v_add_co_u32 v21, vcc_lo, s10, v21
	v_add_co_ci_u32_e32 v22, vcc_lo, s11, v22, vcc_lo
	s_clause 0x1
	global_load_b32 v67, v[17:18], off
	global_load_b32 v65, v[69:70], off
	v_lshlrev_b64 v[17:18], 2, v[1:2]
	v_add_nc_u32_e32 v1, s12, v1
	global_load_b32 v51, v[21:22], off
	v_add_co_u32 v69, vcc_lo, s6, v15
	v_add_co_ci_u32_e32 v70, vcc_lo, s7, v16, vcc_lo
	v_lshlrev_b64 v[21:22], 2, v[1:2]
	v_add_nc_u32_e32 v1, s12, v1
	v_add_co_u32 v72, vcc_lo, s6, v17
	v_add_co_ci_u32_e32 v73, vcc_lo, s7, v18, vcc_lo
	s_delay_alu instid0(VALU_DEP_3) | instskip(SKIP_3) | instid1(VALU_DEP_3)
	v_lshlrev_b64 v[23:24], 2, v[1:2]
	v_add_nc_u32_e32 v1, s5, v1
	v_add_co_u32 v74, vcc_lo, s6, v21
	v_add_co_ci_u32_e32 v75, vcc_lo, s7, v22, vcc_lo
	v_lshlrev_b64 v[76:77], 2, v[1:2]
	s_clause 0x2
	global_load_b32 v71, v[69:70], off
	global_load_b32 v70, v[72:73], off
	;; [unrolled: 1-line block ×3, first 2 shown]
	v_rcp_f32_e32 v74, v79
	v_add_co_u32 v72, vcc_lo, s10, v76
	v_add_co_ci_u32_e32 v73, vcc_lo, s11, v77, vcc_lo
	s_waitcnt_depctr 0xfff
	v_fma_f32 v76, -v79, v74, 1.0
	global_load_b32 v72, v[72:73], off
	v_fmac_f32_e32 v74, v76, v74
	s_waitcnt vmcnt(31)
	v_mul_f32_e32 v92, v0, v40
	v_fma_f32 v40, -v91, v90, 1.0
	v_mul_f32_e32 v77, v33, v0
	v_div_scale_f32 v33, vcc_lo, 1.0, v78, 1.0
	s_delay_alu instid0(VALU_DEP_4) | instskip(NEXT) | instid1(VALU_DEP_4)
	v_div_scale_f32 v93, null, v92, v92, 1.0
	v_fmac_f32_e32 v90, v40, v90
	s_delay_alu instid0(VALU_DEP_4) | instskip(SKIP_2) | instid1(VALU_DEP_3)
	v_div_scale_f32 v75, null, v77, v77, 1.0
	v_div_scale_f32 v40, s3, 1.0, v86, 1.0
	v_mul_f32_e32 v83, v34, v39
	v_rcp_f32_e32 v34, v75
	v_mul_f32_e32 v76, v33, v74
	v_div_scale_f32 v82, s1, 1.0, v77, 1.0
	s_delay_alu instid0(VALU_DEP_3) | instskip(NEXT) | instid1(VALU_DEP_3)
	v_div_scale_f32 v39, null, v83, v83, 1.0
	v_fma_f32 v88, -v79, v76, v33
	v_rcp_f32_e32 v94, v93
	s_delay_alu instid0(VALU_DEP_2) | instskip(NEXT) | instid1(TRANS32_DEP_3)
	v_rcp_f32_e32 v87, v39
	v_fma_f32 v89, -v75, v34, 1.0
	s_delay_alu instid0(VALU_DEP_2)
	v_fmac_f32_e32 v76, v88, v74
	v_div_scale_f32 v88, s2, 1.0, v83, 1.0
	s_waitcnt vmcnt(28)
	v_mul_f32_e32 v68, v42, v68
	v_fmac_f32_e32 v34, v89, v34
	v_fma_f32 v33, -v79, v76, v33
	s_delay_alu instid0(TRANS32_DEP_1) | instskip(NEXT) | instid1(VALU_DEP_3)
	v_fma_f32 v89, -v39, v87, 1.0
	v_mul_f32_e32 v79, v82, v34
	s_delay_alu instid0(VALU_DEP_3) | instskip(SKIP_1) | instid1(VALU_DEP_3)
	v_div_fmas_f32 v33, v33, v74, v76
	s_mov_b32 vcc_lo, s2
	v_fmac_f32_e32 v87, v89, v87
	s_delay_alu instid0(VALU_DEP_3) | instskip(SKIP_2) | instid1(VALU_DEP_3)
	v_fma_f32 v74, -v75, v79, v82
	v_mul_f32_e32 v89, v85, v84
	v_div_fixup_f32 v78, v33, v78, 1.0
	v_dual_mul_f32 v76, v88, v87 :: v_dual_fmac_f32 v79, v74, v34
	s_delay_alu instid0(VALU_DEP_3) | instskip(NEXT) | instid1(VALU_DEP_2)
	v_fma_f32 v73, -v81, v89, v85
	v_fma_f32 v74, -v39, v76, v88
	s_delay_alu instid0(VALU_DEP_1) | instskip(NEXT) | instid1(VALU_DEP_3)
	v_fmac_f32_e32 v76, v74, v87
	v_dual_mul_f32 v74, v40, v90 :: v_dual_fmac_f32 v89, v73, v84
	v_fma_f32 v73, -v75, v79, v82
	v_div_scale_f32 v75, s2, 1.0, v92, 1.0
	s_delay_alu instid0(VALU_DEP_4) | instskip(SKIP_1) | instid1(VALU_DEP_2)
	v_fma_f32 v39, -v39, v76, v88
	v_add_nc_u32_e32 v1, s4, v1
	v_div_fmas_f32 v82, v39, v87, v76
	v_fma_f32 v39, -v93, v94, 1.0
	v_fma_f32 v76, -v91, v74, v40
	s_mov_b32 vcc_lo, s1
	v_div_fmas_f32 v79, v73, v34, v79
	s_delay_alu instid0(VALU_DEP_3) | instskip(NEXT) | instid1(VALU_DEP_3)
	v_fmac_f32_e32 v94, v39, v94
	v_fmac_f32_e32 v74, v76, v90
	v_fma_f32 v81, -v81, v89, v85
	v_div_scale_f32 v85, null, v68, v68, 1.0
	s_delay_alu instid0(VALU_DEP_4) | instskip(NEXT) | instid1(VALU_DEP_4)
	v_mul_f32_e32 v76, v75, v94
	v_fma_f32 v39, -v91, v74, v40
	v_lshlrev_b64 v[33:34], 2, v[1:2]
	s_delay_alu instid0(VALU_DEP_4)
	v_rcp_f32_e32 v87, v85
	s_mov_b32 vcc_lo, s3
	v_fma_f32 v40, -v93, v76, v75
	v_add_nc_u32_e32 v1, s12, v1
	v_div_fmas_f32 v88, v39, v90, v74
	s_mov_b32 vcc_lo, s2
	v_div_fixup_f32 v77, v79, v77, 1.0
	v_fmac_f32_e32 v76, v40, v94
	v_mad_u64_u32 v[73:74], null, 0xffffff99, s12, v[1:2]
	s_delay_alu instid0(TRANS32_DEP_1) | instskip(SKIP_1) | instid1(VALU_DEP_4)
	v_fma_f32 v40, -v85, v87, 1.0
	v_mov_b32_e32 v74, v2
	v_fma_f32 v75, -v93, v76, v75
	s_waitcnt vmcnt(24)
	v_mul_f32_e32 v91, v49, v47
	v_fmac_f32_e32 v87, v40, v87
	v_lshlrev_b64 v[39:40], 2, v[1:2]
	v_div_fmas_f32 v90, v75, v94, v76
	v_mad_u64_u32 v[75:76], null, 0x68, s12, v[73:74]
	v_mul_f32_e32 v1, v43, v64
	v_div_fixup_f32 v64, v82, v83, 1.0
	v_div_scale_f32 v76, vcc_lo, 1.0, v68, 1.0
	v_div_fixup_f32 v82, v88, v86, 1.0
	v_div_fixup_f32 v90, v90, v92, 1.0
	s_delay_alu instid0(VALU_DEP_4) | instskip(SKIP_2) | instid1(VALU_DEP_3)
	v_mul_f32_e32 v86, v1, v64
	v_dual_mul_f32 v64, 0x49776020, v78 :: v_dual_mul_f32 v83, v49, v44
	v_mul_f32_e32 v88, v76, v87
	v_dual_min_f32 v78, 0x7cf0bdc2, v86 :: v_dual_mul_f32 v79, v42, v49
	s_delay_alu instid0(VALU_DEP_3) | instskip(NEXT) | instid1(VALU_DEP_3)
	v_mul_f32_e32 v82, v83, v82
	v_fma_f32 v83, -v85, v88, v76
	s_waitcnt vmcnt(22)
	v_mul_f32_e32 v86, v42, v46
	s_waitcnt vmcnt(21)
	v_dual_mul_f32 v78, v62, v78 :: v_dual_mul_f32 v77, v79, v77
	v_dual_mul_f32 v79, v49, v41 :: v_dual_fmac_f32 v88, v83, v87
	v_mul_f32_e32 v83, v52, v46
	v_dual_min_f32 v82, 0x7cf0bdc2, v82 :: v_dual_add_nc_u32 v1, s5, v75
	s_delay_alu instid0(VALU_DEP_4) | instskip(NEXT) | instid1(VALU_DEP_4)
	v_dual_min_f32 v77, 0x7cf0bdc2, v77 :: v_dual_mul_f32 v86, v46, v86
	v_fma_f32 v76, -v85, v88, v76
	global_store_b32 v[37:38], v78, off
	s_waitcnt vmcnt(18)
	v_mul_f32_e32 v59, v59, v82
	v_div_fmas_f32 v76, v76, v87, v88
	v_mul_f32_e32 v88, v49, v45
	v_div_scale_f32 v85, null, v83, v83, 1.0
	s_mov_b32 vcc_lo, s0
	s_delay_alu instid0(VALU_DEP_3) | instskip(SKIP_1) | instid1(VALU_DEP_3)
	v_div_fixup_f32 v68, v76, v68, 1.0
	v_mul_f32_e32 v77, v61, v77
	v_rcp_f32_e32 v87, v85
	v_div_fmas_f32 v81, v81, v84, v89
	v_mul_f32_e32 v49, v49, v52
	v_mul_f32_e32 v68, v91, v68
	;; [unrolled: 1-line block ×3, first 2 shown]
	s_clause 0x1
	global_store_b32 v[31:32], v77, off
	global_store_b32 v[35:36], v59, off
	v_div_fixup_f32 v38, v81, v80, 1.0
	v_lshlrev_b64 v[61:62], 2, v[1:2]
	v_dual_min_f32 v32, 0x7cf0bdc2, v68 :: v_dual_min_f32 v37, 0x7cf0bdc2, v79
	v_fma_f32 v76, -v85, v87, 1.0
	s_delay_alu instid0(VALU_DEP_4)
	v_mul_f32_e32 v31, v38, v88
	v_mul_f32_e32 v38, v38, v49
	s_waitcnt vmcnt(16)
	v_dual_mul_f32 v32, v56, v32 :: v_dual_mul_f32 v35, v57, v37
	v_div_scale_f32 v82, s1, 1.0, v83, 1.0
	v_fmac_f32_e32 v87, v76, v87
	v_dual_mul_f32 v68, v64, v86 :: v_dual_add_nc_u32 v1, s4, v1
	s_clause 0x1
	global_store_b32 v[27:28], v35, off
	global_store_b32 v[29:30], v32, off
	v_add_co_u32 v29, vcc_lo, s10, v61
	v_add_co_ci_u32_e32 v30, vcc_lo, s11, v62, vcc_lo
	s_waitcnt vmcnt(14)
	v_mul_f32_e32 v49, v42, v48
	v_mul_f32_e32 v59, v82, v87
	v_lshlrev_b64 v[27:28], 2, v[1:2]
	global_load_b32 v61, v[29:30], off
	v_dual_mov_b32 v76, v2 :: v_dual_add_nc_u32 v1, s12, v1
	v_fma_f32 v36, -v85, v59, v82
	v_dual_min_f32 v62, 0x7cf0bdc2, v38 :: v_dual_min_f32 v31, 0x7cf0bdc2, v31
	s_delay_alu instid0(VALU_DEP_3) | instskip(SKIP_1) | instid1(VALU_DEP_4)
	v_lshlrev_b64 v[29:30], 2, v[1:2]
	v_add_nc_u32_e32 v1, s12, v1
	v_fmac_f32_e32 v59, v36, v87
	v_div_scale_f32 v77, null, v68, v68, 1.0
	s_waitcnt vmcnt(14)
	v_dual_mul_f32 v37, v58, v31 :: v_dual_mul_f32 v62, v63, v62
	v_add_co_u32 v31, vcc_lo, s6, v23
	v_fma_f32 v52, -v85, v59, v82
	v_add_co_ci_u32_e32 v32, vcc_lo, s7, v24, vcc_lo
	v_lshlrev_b64 v[35:36], 2, v[1:2]
	v_add_nc_u32_e32 v1, s12, v1
	s_mov_b32 vcc_lo, s1
	v_rcp_f32_e32 v58, v77
	v_div_fmas_f32 v52, v52, v87, v59
	global_load_b32 v59, v[31:32], off
	v_mad_u64_u32 v[31:32], null, 0xffffff93, s12, v[1:2]
	v_mov_b32_e32 v32, v2
	global_store_b32 v[25:26], v37, off
	v_div_fixup_f32 v52, v52, v83, 1.0
	v_lshlrev_b64 v[37:38], 2, v[73:74]
	s_waitcnt vmcnt(11)
	v_mul_f32_e32 v83, v46, v50
	v_fma_f32 v56, -v77, v58, 1.0
	v_lshlrev_b64 v[25:26], 2, v[31:32]
	v_mul_f32_e32 v32, v49, v52
	v_mul_f32_e32 v52, v41, v46
	s_delay_alu instid0(VALU_DEP_4) | instskip(NEXT) | instid1(VALU_DEP_4)
	v_fmac_f32_e32 v58, v56, v58
	v_add_co_u32 v25, vcc_lo, s10, v25
	v_add_co_ci_u32_e32 v26, vcc_lo, s11, v26, vcc_lo
	v_add_co_u32 v56, vcc_lo, s6, v33
	v_add_co_ci_u32_e32 v57, vcc_lo, s7, v34, vcc_lo
	global_load_b32 v73, v[25:26], off
	v_add_co_u32 v25, vcc_lo, s10, v37
	global_load_b32 v78, v[56:57], off
	v_mul_f32_e32 v37, v46, v52
	v_add_co_ci_u32_e32 v26, vcc_lo, s11, v38, vcc_lo
	v_div_scale_f32 v74, vcc_lo, 1.0, v68, 1.0
	s_delay_alu instid0(VALU_DEP_3)
	v_mul_f32_e32 v79, v64, v37
	v_lshlrev_b64 v[37:38], 2, v[75:76]
	global_load_b32 v52, v[25:26], off
	v_add_co_u32 v25, s0, s6, v39
	v_div_scale_f32 v75, null, v79, v79, 1.0
	v_add_co_ci_u32_e64 v26, s0, s7, v40, s0
	v_min_f32_e32 v32, 0x7cf0bdc2, v32
	s_delay_alu instid0(VALU_DEP_3) | instskip(SKIP_3) | instid1(VALU_DEP_1)
	v_rcp_f32_e32 v80, v75
	v_mul_f32_e32 v63, v74, v58
	global_load_b32 v76, v[25:26], off
	v_add_co_u32 v25, s0, s6, v37
	v_add_co_ci_u32_e64 v26, s0, s7, v38, s0
	v_fma_f32 v56, -v77, v63, v74
	v_add_co_u32 v3, s0, s8, v3
	v_mul_f32_e32 v66, v66, v32
	v_fma_f32 v32, -v75, v80, 1.0
	v_add_co_ci_u32_e64 v4, s0, s9, v4, s0
	global_load_b32 v81, v[25:26], off
	v_add_co_u32 v25, s0, s6, v27
	s_delay_alu instid0(VALU_DEP_1) | instskip(SKIP_3) | instid1(VALU_DEP_1)
	v_add_co_ci_u32_e64 v26, s0, s7, v28, s0
	v_fmac_f32_e32 v80, v32, v80
	v_fmac_f32_e32 v63, v56, v58
	v_add_co_u32 v19, s0, s8, v19
	v_add_co_ci_u32_e64 v20, s0, s9, v20, s0
	s_delay_alu instid0(VALU_DEP_3) | instskip(SKIP_2) | instid1(VALU_DEP_1)
	v_fma_f32 v74, -v77, v63, v74
	global_load_b32 v77, v[25:26], off
	v_add_co_u32 v25, s0, s6, v29
	v_add_co_ci_u32_e64 v26, s0, s7, v30, s0
	v_mad_u64_u32 v[56:57], null, 0x6e, s12, v[31:32]
	v_mov_b32_e32 v57, v2
	global_load_b32 v84, v[25:26], off
	v_lshlrev_b64 v[25:26], 2, v[1:2]
	v_add_co_u32 v31, s1, s6, v35
	s_delay_alu instid0(VALU_DEP_1) | instskip(SKIP_1) | instid1(VALU_DEP_4)
	v_add_co_ci_u32_e64 v32, s1, s7, v36, s1
	v_lshlrev_b64 v[56:57], 2, v[56:57]
	v_add_co_u32 v1, s1, s6, v25
	s_delay_alu instid0(VALU_DEP_1)
	v_add_co_ci_u32_e64 v2, s1, s7, v26, s1
	v_div_scale_f32 v82, s0, 1.0, v79, 1.0
	global_store_b32 v[3:4], v62, off
	v_mul_f32_e32 v62, v43, v48
	v_div_scale_f32 v85, null, v83, v83, 1.0
	s_clause 0x1
	global_load_b32 v31, v[31:32], off
	global_load_b32 v86, v[1:2], off
	v_add_co_u32 v1, s1, s6, v56
	v_mul_f32_e32 v32, v82, v80
	v_add_co_ci_u32_e64 v2, s1, s7, v57, s1
	v_rcp_f32_e32 v87, v85
	v_div_fmas_f32 v58, v74, v58, v63
	s_mov_b32 vcc_lo, s0
	global_load_b32 v63, v[1:2], off
	v_fma_f32 v1, -v75, v32, v82
	v_mul_f32_e32 v2, v44, v48
	v_div_fixup_f32 v3, v58, v68, 1.0
	global_store_b32 v[19:20], v66, off
	s_waitcnt vmcnt(19)
	v_dual_mul_f32 v19, v46, v53 :: v_dual_fmac_f32 v32, v1, v80
	v_fma_f32 v1, -v85, v87, 1.0
	v_mul_f32_e32 v2, v2, v3
	s_delay_alu instid0(VALU_DEP_3) | instskip(NEXT) | instid1(VALU_DEP_4)
	v_div_scale_f32 v20, null, v19, v19, 1.0
	v_fma_f32 v3, -v75, v32, v82
	s_delay_alu instid0(VALU_DEP_4) | instskip(SKIP_2) | instid1(VALU_DEP_4)
	v_fmac_f32_e32 v87, v1, v87
	v_div_scale_f32 v1, s1, 1.0, v83, 1.0
	v_min_f32_e32 v2, 0x7cf0bdc2, v2
	v_div_fmas_f32 v3, v3, v80, v32
	v_mul_f32_e32 v32, v46, v46
	s_delay_alu instid0(VALU_DEP_4)
	v_mul_f32_e32 v4, v1, v87
	v_rcp_f32_e32 v58, v20
	s_mov_b32 vcc_lo, s1
	v_div_fixup_f32 v3, v3, v79, 1.0
	v_mul_f32_e32 v55, v55, v2
	v_fma_f32 v66, -v85, v4, v1
	v_mul_f32_e32 v32, v32, v50
	s_delay_alu instid0(VALU_DEP_4) | instskip(NEXT) | instid1(VALU_DEP_3)
	v_mul_f32_e32 v2, v62, v3
	v_fmac_f32_e32 v4, v66, v87
	s_delay_alu instid0(TRANS32_DEP_1) | instskip(NEXT) | instid1(VALU_DEP_3)
	v_fma_f32 v68, -v20, v58, 1.0
	v_dual_min_f32 v3, 0x7cf0bdc2, v2 :: v_dual_mul_f32 v32, v64, v32
	s_delay_alu instid0(VALU_DEP_3) | instskip(NEXT) | instid1(VALU_DEP_3)
	v_fma_f32 v1, -v85, v4, v1
	v_fmac_f32_e32 v58, v68, v58
	v_div_scale_f32 v62, s0, 1.0, v19, 1.0
	s_delay_alu instid0(VALU_DEP_3)
	v_div_fmas_f32 v4, v1, v87, v4
	v_add_co_u32 v1, vcc_lo, s8, v9
	v_mul_f32_e32 v9, v54, v3
	v_add_co_ci_u32_e32 v2, vcc_lo, s9, v10, vcc_lo
	v_mul_f32_e32 v10, v47, v48
	v_div_fixup_f32 v47, v4, v83, 1.0
	v_add_co_u32 v3, vcc_lo, s8, v7
	v_div_scale_f32 v66, null, v32, v32, 1.0
	s_delay_alu instid0(VALU_DEP_3) | instskip(SKIP_2) | instid1(VALU_DEP_4)
	v_mul_f32_e32 v7, v10, v47
	v_mul_f32_e32 v68, v62, v58
	v_add_co_ci_u32_e32 v4, vcc_lo, s9, v8, vcc_lo
	v_rcp_f32_e32 v74, v66
	s_delay_alu instid0(VALU_DEP_3) | instskip(NEXT) | instid1(VALU_DEP_3)
	v_min_f32_e32 v7, 0x7cf0bdc2, v7
	v_fma_f32 v75, -v20, v68, v62
	s_mov_b32 vcc_lo, s0
	v_div_scale_f32 v10, s1, 1.0, v32, 1.0
	s_clause 0x1
	global_store_b32 v[1:2], v55, off
	global_store_b32 v[3:4], v9, off
	v_fmac_f32_e32 v68, v75, v58
	v_mul_f32_e32 v9, v42, v50
	v_mul_f32_e32 v7, v60, v7
	v_fma_f32 v54, -v66, v74, 1.0
	s_delay_alu instid0(VALU_DEP_4) | instskip(SKIP_2) | instid1(VALU_DEP_2)
	v_fma_f32 v8, -v20, v68, v62
	s_waitcnt vmcnt(16)
	v_div_scale_f32 v20, null, v51, v51, 1.0
	v_div_fmas_f32 v8, v8, v58, v68
	v_mul_f32_e32 v58, v45, v48
	v_add_co_u32 v1, vcc_lo, s8, v5
	v_add_co_ci_u32_e32 v2, vcc_lo, s9, v6, vcc_lo
	s_delay_alu instid0(VALU_DEP_4) | instskip(SKIP_3) | instid1(VALU_DEP_4)
	v_div_fixup_f32 v8, v8, v19, 1.0
	v_mul_f32_e32 v6, v64, v9
	v_mul_f32_e32 v48, v48, v48
	v_div_scale_f32 v9, s0, 1.0, v51, 1.0
	v_mul_f32_e32 v3, v58, v8
	v_fmac_f32_e32 v74, v54, v74
	v_rcp_f32_e32 v54, v20
	s_mov_b32 vcc_lo, s1
	global_store_b32 v[1:2], v7, off
	v_min_f32_e32 v3, 0x7cf0bdc2, v3
	v_mul_f32_e32 v47, v10, v74
	s_delay_alu instid0(VALU_DEP_1) | instskip(SKIP_1) | instid1(VALU_DEP_2)
	v_fma_f32 v19, -v66, v47, v10
	v_fma_f32 v4, -v20, v54, 1.0
	v_fmac_f32_e32 v47, v19, v74
	s_delay_alu instid0(VALU_DEP_2) | instskip(NEXT) | instid1(VALU_DEP_2)
	v_fmac_f32_e32 v54, v4, v54
	v_fma_f32 v5, -v66, v47, v10
	v_div_scale_f32 v10, null, v6, v6, 1.0
	s_delay_alu instid0(VALU_DEP_2) | instskip(SKIP_1) | instid1(VALU_DEP_3)
	v_div_fmas_f32 v4, v5, v74, v47
	v_mul_f32_e32 v47, v67, v3
	v_rcp_f32_e32 v19, v10
	v_mul_f32_e32 v5, v9, v54
	v_add_co_u32 v3, vcc_lo, s8, v13
	v_div_fixup_f32 v32, v4, v32, 1.0
	v_add_co_ci_u32_e32 v4, vcc_lo, s9, v14, vcc_lo
	s_delay_alu instid0(VALU_DEP_4) | instskip(SKIP_1) | instid1(VALU_DEP_3)
	v_fma_f32 v55, -v20, v5, v9
	s_mov_b32 vcc_lo, s0
	v_mul_f32_e32 v14, v48, v32
	s_delay_alu instid0(TRANS32_DEP_1)
	v_fma_f32 v13, -v10, v19, 1.0
	v_div_scale_f32 v32, null, v49, v49, 1.0
	v_fmac_f32_e32 v5, v55, v54
	global_store_b32 v[3:4], v47, off
	v_fmac_f32_e32 v19, v13, v19
	v_div_scale_f32 v13, s1, 1.0, v6, 1.0
	v_fma_f32 v9, -v20, v5, v9
	v_rcp_f32_e32 v20, v32
	s_delay_alu instid0(VALU_DEP_2) | instskip(NEXT) | instid1(VALU_DEP_2)
	v_mul_f32_e32 v7, v13, v19
	v_div_fmas_f32 v5, v9, v54, v5
	s_delay_alu instid0(VALU_DEP_2) | instskip(NEXT) | instid1(VALU_DEP_2)
	v_fma_f32 v2, -v10, v7, v13
	v_div_fixup_f32 v1, v5, v51, 1.0
	s_waitcnt_depctr 0xfff
	v_fma_f32 v5, -v32, v20, 1.0
	v_min_f32_e32 v9, 0x7cf0bdc2, v14
	v_dual_fmac_f32 v7, v2, v19 :: v_dual_mul_f32 v4, v45, v46
	s_delay_alu instid0(VALU_DEP_3) | instskip(NEXT) | instid1(VALU_DEP_3)
	v_fmac_f32_e32 v20, v5, v20
	v_mul_f32_e32 v3, v9, v65
	v_mul_f32_e32 v9, v50, v1
	v_add_co_u32 v1, vcc_lo, s8, v11
	v_fma_f32 v10, -v10, v7, v13
	v_add_co_ci_u32_e32 v2, vcc_lo, s9, v12, vcc_lo
	s_mov_b32 vcc_lo, s1
	v_div_scale_f32 v14, null, v4, v4, 1.0
	s_delay_alu instid0(VALU_DEP_3) | instskip(SKIP_1) | instid1(VALU_DEP_3)
	v_div_fmas_f32 v7, v10, v19, v7
	v_div_scale_f32 v5, s0, 1.0, v49, 1.0
	v_rcp_f32_e32 v47, v14
	s_delay_alu instid0(VALU_DEP_2) | instskip(SKIP_1) | instid1(VALU_DEP_2)
	v_div_fixup_f32 v6, v7, v6, 1.0
	v_div_scale_f32 v7, s1, 1.0, v4, 1.0
	v_mul_f32_e32 v6, v6, v53
	s_waitcnt_depctr 0xfff
	v_fma_f32 v12, -v14, v47, 1.0
	v_dual_min_f32 v6, 0x7cf0bdc2, v6 :: v_dual_mul_f32 v11, v5, v20
	s_waitcnt vmcnt(14)
	s_delay_alu instid0(VALU_DEP_1) | instskip(NEXT) | instid1(VALU_DEP_2)
	v_dual_fmac_f32 v47, v12, v47 :: v_dual_mul_f32 v6, v6, v70
	v_fma_f32 v10, -v32, v11, v5
	s_delay_alu instid0(VALU_DEP_2)
	v_mul_f32_e32 v12, v7, v47
	global_store_b32 v[1:2], v3, off
	v_add_co_u32 v1, vcc_lo, s8, v15
	v_fmac_f32_e32 v11, v10, v20
	v_add_co_ci_u32_e32 v2, vcc_lo, s9, v16, vcc_lo
	s_mov_b32 vcc_lo, s0
	v_mul_f32_e32 v16, v0, v46
	s_delay_alu instid0(VALU_DEP_3) | instskip(SKIP_3) | instid1(VALU_DEP_3)
	v_fma_f32 v5, -v32, v11, v5
	s_waitcnt vmcnt(12)
	v_mul_f32_e32 v10, v42, v72
	v_mul_f32_e32 v0, v0, v50
	v_div_fmas_f32 v5, v5, v20, v11
	v_fma_f32 v11, -v14, v12, v7
	v_min_f32_e32 v9, 0x7cf0bdc2, v9
	v_div_scale_f32 v13, null, v10, v10, 1.0
	s_mov_b32 vcc_lo, s1
	s_delay_alu instid0(VALU_DEP_3) | instskip(SKIP_1) | instid1(VALU_DEP_3)
	v_fmac_f32_e32 v12, v11, v47
	v_div_scale_f32 v11, null, v16, v16, 1.0
	v_rcp_f32_e32 v15, v13
	v_div_fixup_f32 v5, v5, v49, 1.0
	s_delay_alu instid0(VALU_DEP_3) | instskip(NEXT) | instid1(VALU_DEP_3)
	v_fma_f32 v7, -v14, v12, v7
	v_rcp_f32_e32 v20, v11
	s_waitcnt vmcnt(11)
	v_div_scale_f32 v32, null, v61, v61, 1.0
	v_mul_f32_e32 v0, v64, v0
	v_div_fmas_f32 v7, v7, v47, v12
	v_div_scale_f32 v12, vcc_lo, 1.0, v10, 1.0
	s_delay_alu instid0(TRANS32_DEP_2) | instskip(NEXT) | instid1(VALU_DEP_3)
	v_fma_f32 v14, -v13, v15, 1.0
	v_div_fixup_f32 v7, v7, v4, 1.0
	s_delay_alu instid0(TRANS32_DEP_1) | instskip(SKIP_1) | instid1(VALU_DEP_2)
	v_fma_f32 v4, -v11, v20, 1.0
	v_mul_f32_e32 v3, v71, v9
	v_dual_fmac_f32 v15, v14, v15 :: v_dual_fmac_f32 v20, v4, v20
	v_mul_f32_e32 v19, v44, v50
	global_store_b32 v[1:2], v3, off
	v_add_co_u32 v1, s0, s8, v17
	s_delay_alu instid0(VALU_DEP_1) | instskip(SKIP_3) | instid1(VALU_DEP_3)
	v_add_co_ci_u32_e64 v2, s0, s9, v18, s0
	v_mul_f32_e32 v5, v5, v19
	v_mul_f32_e32 v17, v7, v19
	v_div_scale_f32 v19, s0, 1.0, v16, 1.0
	v_min_f32_e32 v3, 0x7cf0bdc2, v5
	v_mul_f32_e32 v5, v12, v15
	s_delay_alu instid0(VALU_DEP_4) | instskip(NEXT) | instid1(VALU_DEP_3)
	v_min_f32_e32 v17, 0x7cf0bdc2, v17
	v_mul_f32_e32 v14, v3, v69
	s_delay_alu instid0(VALU_DEP_3) | instskip(SKIP_3) | instid1(VALU_DEP_3)
	v_fma_f32 v18, -v13, v5, v12
	v_add_co_u32 v3, s1, s8, v21
	v_rcp_f32_e32 v21, v32
	v_add_co_ci_u32_e64 v4, s1, s9, v22, s1
	v_dual_fmac_f32 v5, v18, v15 :: v_dual_mul_f32 v18, v19, v20
	s_clause 0x1
	global_store_b32 v[1:2], v6, off
	global_store_b32 v[3:4], v14, off
	s_waitcnt vmcnt(10)
	v_mul_f32_e32 v3, v17, v59
	v_mul_f32_e32 v6, v41, v50
	v_fma_f32 v1, -v13, v5, v12
	v_fma_f32 v2, -v11, v18, v19
	s_delay_alu instid0(VALU_DEP_2) | instskip(NEXT) | instid1(VALU_DEP_2)
	v_div_fmas_f32 v4, v1, v15, v5
	v_fmac_f32_e32 v18, v2, v20
	v_fma_f32 v5, -v32, v21, 1.0
	v_add_co_u32 v1, vcc_lo, s8, v23
	s_delay_alu instid0(VALU_DEP_4) | instskip(NEXT) | instid1(VALU_DEP_4)
	v_div_fixup_f32 v10, v4, v10, 1.0
	v_fma_f32 v4, -v11, v18, v19
	s_delay_alu instid0(VALU_DEP_4) | instskip(SKIP_3) | instid1(VALU_DEP_2)
	v_fmac_f32_e32 v21, v5, v21
	v_div_scale_f32 v5, s1, 1.0, v61, 1.0
	v_add_co_ci_u32_e32 v2, vcc_lo, s9, v24, vcc_lo
	s_mov_b32 vcc_lo, s0
	v_mul_f32_e32 v12, v5, v21
	v_div_fmas_f32 v4, v4, v20, v18
	v_mul_f32_e32 v11, v6, v10
	global_store_b32 v[1:2], v3, off
	v_fma_f32 v3, -v32, v12, v5
	v_div_fixup_f32 v2, v4, v16, 1.0
	s_delay_alu instid0(VALU_DEP_2) | instskip(NEXT) | instid1(VALU_DEP_2)
	v_dual_min_f32 v1, 0x7cf0bdc2, v11 :: v_dual_fmac_f32 v12, v3, v21
	v_mul_f32_e32 v4, v2, v6
	s_waitcnt vmcnt(8)
	s_delay_alu instid0(VALU_DEP_2)
	v_mul_f32_e32 v14, v78, v1
	v_add_co_u32 v1, vcc_lo, s8, v33
	v_add_co_ci_u32_e32 v2, vcc_lo, s9, v34, vcc_lo
	v_min_f32_e32 v3, 0x7cf0bdc2, v4
	v_fma_f32 v4, -v32, v12, v5
	s_mov_b32 vcc_lo, s1
	s_waitcnt vmcnt(7)
	v_mul_f32_e32 v6, v50, v52
	global_store_b32 v[1:2], v14, off
	v_mul_f32_e32 v2, v44, v51
	v_div_fmas_f32 v4, v4, v21, v12
	s_waitcnt vmcnt(6)
	v_dual_mul_f32 v5, v8, v6 :: v_dual_mul_f32 v8, v3, v76
	v_add_co_u32 v3, s0, s8, v39
	s_delay_alu instid0(VALU_DEP_3) | instskip(SKIP_2) | instid1(VALU_DEP_3)
	v_div_fixup_f32 v12, v4, v61, 1.0
	v_add_co_ci_u32_e64 v4, s0, s9, v40, s0
	v_mul_f32_e32 v2, v7, v2
	v_dual_mul_f32 v0, v0, v12 :: v_dual_mul_f32 v13, v45, v73
	s_delay_alu instid0(VALU_DEP_1) | instskip(NEXT) | instid1(VALU_DEP_2)
	v_min_f32_e32 v0, 0x7cf0bdc2, v0
	v_div_scale_f32 v11, null, v13, v13, 1.0
	v_div_scale_f32 v16, vcc_lo, 1.0, v13, 1.0
	s_waitcnt vmcnt(4)
	s_delay_alu instid0(VALU_DEP_3) | instskip(NEXT) | instid1(VALU_DEP_3)
	v_mul_f32_e32 v14, v77, v0
	v_rcp_f32_e32 v15, v11
	s_waitcnt_depctr 0xfff
	v_fma_f32 v6, -v11, v15, 1.0
	s_delay_alu instid0(VALU_DEP_1) | instskip(NEXT) | instid1(VALU_DEP_1)
	v_fmac_f32_e32 v15, v6, v15
	v_mul_f32_e32 v12, v16, v15
	s_delay_alu instid0(VALU_DEP_1) | instskip(NEXT) | instid1(VALU_DEP_1)
	v_fma_f32 v1, -v11, v12, v16
	v_dual_fmac_f32 v12, v1, v15 :: v_dual_min_f32 v5, 0x7cf0bdc2, v5
	s_delay_alu instid0(VALU_DEP_1) | instskip(SKIP_1) | instid1(VALU_DEP_1)
	v_mul_f32_e32 v17, v81, v5
	v_add_co_u32 v5, s0, s8, v37
	v_add_co_ci_u32_e64 v6, s0, s9, v38, s0
	s_clause 0x1
	global_store_b32 v[3:4], v8, off
	global_store_b32 v[5:6], v17, off
	v_mul_f32_e32 v6, v43, v51
	v_fma_f32 v3, -v11, v12, v16
	v_dual_mul_f32 v4, v41, v51 :: v_dual_min_f32 v5, 0x7cf0bdc2, v2
	v_add_co_u32 v0, s0, s8, v27
	s_delay_alu instid0(VALU_DEP_1) | instskip(NEXT) | instid1(VALU_DEP_3)
	v_add_co_ci_u32_e64 v1, s0, s9, v28, s0
	v_mul_f32_e32 v4, v4, v10
	v_div_fmas_f32 v3, v3, v15, v12
	v_add_co_u32 v2, vcc_lo, s8, v29
	s_delay_alu instid0(VALU_DEP_3) | instskip(NEXT) | instid1(VALU_DEP_3)
	v_min_f32_e32 v8, 0x7cf0bdc2, v4
	v_div_fixup_f32 v7, v3, v13, 1.0
	s_waitcnt vmcnt(3)
	v_mul_f32_e32 v11, v9, v84
	v_add_co_ci_u32_e32 v3, vcc_lo, s9, v30, vcc_lo
	v_add_co_u32 v4, vcc_lo, s8, v35
	v_mul_f32_e32 v6, v6, v7
	s_waitcnt vmcnt(1)
	v_mul_f32_e32 v12, v8, v86
	s_delay_alu instid0(VALU_DEP_2)
	v_min_f32_e32 v8, 0x7cf0bdc2, v6
	v_mul_f32_e32 v10, v5, v31
	v_add_co_ci_u32_e32 v5, vcc_lo, s9, v36, vcc_lo
	v_add_co_u32 v6, vcc_lo, s8, v25
	s_waitcnt vmcnt(0)
	v_mul_f32_e32 v13, v63, v8
	v_add_co_ci_u32_e32 v7, vcc_lo, s9, v26, vcc_lo
	v_add_co_u32 v8, vcc_lo, s8, v56
	v_add_co_ci_u32_e32 v9, vcc_lo, s9, v57, vcc_lo
	s_clause 0x4
	global_store_b32 v[0:1], v14, off
	global_store_b32 v[2:3], v11, off
	;; [unrolled: 1-line block ×5, first 2 shown]
	s_nop 0
	s_sendmsg sendmsg(MSG_DEALLOC_VGPRS)
	s_endpgm
	.section	.rodata,"a",@progbits
	.p2align	6, 0x0
	.amdhsa_kernel _Z12ratt6_kernelIfEvPKT_S2_PS0_S2_S0_
		.amdhsa_group_segment_fixed_size 0
		.amdhsa_private_segment_fixed_size 0
		.amdhsa_kernarg_size 296
		.amdhsa_user_sgpr_count 15
		.amdhsa_user_sgpr_dispatch_ptr 0
		.amdhsa_user_sgpr_queue_ptr 0
		.amdhsa_user_sgpr_kernarg_segment_ptr 1
		.amdhsa_user_sgpr_dispatch_id 0
		.amdhsa_user_sgpr_private_segment_size 0
		.amdhsa_wavefront_size32 1
		.amdhsa_uses_dynamic_stack 0
		.amdhsa_enable_private_segment 0
		.amdhsa_system_sgpr_workgroup_id_x 1
		.amdhsa_system_sgpr_workgroup_id_y 0
		.amdhsa_system_sgpr_workgroup_id_z 0
		.amdhsa_system_sgpr_workgroup_info 0
		.amdhsa_system_vgpr_workitem_id 0
		.amdhsa_next_free_vgpr 95
		.amdhsa_next_free_sgpr 16
		.amdhsa_reserve_vcc 1
		.amdhsa_float_round_mode_32 0
		.amdhsa_float_round_mode_16_64 0
		.amdhsa_float_denorm_mode_32 3
		.amdhsa_float_denorm_mode_16_64 3
		.amdhsa_dx10_clamp 1
		.amdhsa_ieee_mode 1
		.amdhsa_fp16_overflow 0
		.amdhsa_workgroup_processor_mode 1
		.amdhsa_memory_ordered 1
		.amdhsa_forward_progress 0
		.amdhsa_shared_vgpr_count 0
		.amdhsa_exception_fp_ieee_invalid_op 0
		.amdhsa_exception_fp_denorm_src 0
		.amdhsa_exception_fp_ieee_div_zero 0
		.amdhsa_exception_fp_ieee_overflow 0
		.amdhsa_exception_fp_ieee_underflow 0
		.amdhsa_exception_fp_ieee_inexact 0
		.amdhsa_exception_int_div_zero 0
	.end_amdhsa_kernel
	.section	.text._Z12ratt6_kernelIfEvPKT_S2_PS0_S2_S0_,"axG",@progbits,_Z12ratt6_kernelIfEvPKT_S2_PS0_S2_S0_,comdat
.Lfunc_end7:
	.size	_Z12ratt6_kernelIfEvPKT_S2_PS0_S2_S0_, .Lfunc_end7-_Z12ratt6_kernelIfEvPKT_S2_PS0_S2_S0_
                                        ; -- End function
	.section	.AMDGPU.csdata,"",@progbits
; Kernel info:
; codeLenInByte = 5200
; NumSgprs: 18
; NumVgprs: 95
; ScratchSize: 0
; MemoryBound: 0
; FloatMode: 240
; IeeeMode: 1
; LDSByteSize: 0 bytes/workgroup (compile time only)
; SGPRBlocks: 2
; VGPRBlocks: 11
; NumSGPRsForWavesPerEU: 18
; NumVGPRsForWavesPerEU: 95
; Occupancy: 16
; WaveLimiterHint : 0
; COMPUTE_PGM_RSRC2:SCRATCH_EN: 0
; COMPUTE_PGM_RSRC2:USER_SGPR: 15
; COMPUTE_PGM_RSRC2:TRAP_HANDLER: 0
; COMPUTE_PGM_RSRC2:TGID_X_EN: 1
; COMPUTE_PGM_RSRC2:TGID_Y_EN: 0
; COMPUTE_PGM_RSRC2:TGID_Z_EN: 0
; COMPUTE_PGM_RSRC2:TIDIG_COMP_CNT: 0
	.section	.text._Z12ratt7_kernelIfEvPKT_S2_PS0_S2_S0_,"axG",@progbits,_Z12ratt7_kernelIfEvPKT_S2_PS0_S2_S0_,comdat
	.protected	_Z12ratt7_kernelIfEvPKT_S2_PS0_S2_S0_ ; -- Begin function _Z12ratt7_kernelIfEvPKT_S2_PS0_S2_S0_
	.globl	_Z12ratt7_kernelIfEvPKT_S2_PS0_S2_S0_
	.p2align	8
	.type	_Z12ratt7_kernelIfEvPKT_S2_PS0_S2_S0_,@function
_Z12ratt7_kernelIfEvPKT_S2_PS0_S2_S0_:  ; @_Z12ratt7_kernelIfEvPKT_S2_PS0_S2_S0_
; %bb.0:
	s_clause 0x3
	s_load_b32 s2, s[0:1], 0x34
	s_load_b32 s3, s[0:1], 0x28
	s_load_b256 s[4:11], s[0:1], 0x0
	s_load_b32 s0, s[0:1], 0x20
	s_waitcnt lgkmcnt(0)
	s_and_b32 s2, s2, 0xffff
	s_delay_alu instid0(SALU_CYCLE_1)
	v_mad_u64_u32 v[1:2], null, s15, s2, v[0:1]
	s_mul_i32 s3, s3, s2
	v_mov_b32_e32 v2, 0
	s_lshl_b32 s2, s3, 1
	s_mul_i32 s13, s3, 0xffffff8f
	s_mul_i32 s12, s3, 0xffffff7b
	;; [unrolled: 1-line block ×3, first 2 shown]
	s_delay_alu instid0(VALU_DEP_2) | instskip(SKIP_1) | instid1(VALU_DEP_1)
	v_lshlrev_b64 v[3:4], 2, v[1:2]
	v_add_nc_u32_e32 v1, s3, v1
	v_mad_u64_u32 v[7:8], null, s3, 24, v[1:2]
	s_delay_alu instid0(VALU_DEP_3) | instskip(NEXT) | instid1(VALU_DEP_4)
	v_add_co_u32 v5, vcc_lo, s4, v3
	v_add_co_ci_u32_e32 v6, vcc_lo, s5, v4, vcc_lo
	s_mul_i32 s5, s3, 0x72
	s_mul_i32 s4, s3, 0xffffff89
	global_load_b32 v19, v[5:6], off
	v_lshlrev_b64 v[5:6], 2, v[1:2]
	v_add_nc_u32_e32 v1, s3, v7
	s_delay_alu instid0(VALU_DEP_1) | instskip(NEXT) | instid1(VALU_DEP_1)
	v_lshlrev_b64 v[8:9], 2, v[1:2]
	v_add_co_u32 v8, vcc_lo, s10, v8
	s_delay_alu instid0(VALU_DEP_2)
	v_add_co_ci_u32_e32 v9, vcc_lo, s11, v9, vcc_lo
	v_add_co_u32 v5, vcc_lo, s10, v5
	v_add_co_ci_u32_e32 v6, vcc_lo, s11, v6, vcc_lo
	global_load_b32 v0, v[8:9], off
	v_mov_b32_e32 v8, v2
	v_mad_u64_u32 v[9:10], null, 0x63, s3, v[1:2]
	v_mov_b32_e32 v10, v2
	s_delay_alu instid0(VALU_DEP_3) | instskip(NEXT) | instid1(VALU_DEP_2)
	v_lshlrev_b64 v[7:8], 2, v[7:8]
	v_mad_u64_u32 v[11:12], null, 0xffffff9b, s3, v[9:10]
	s_delay_alu instid0(VALU_DEP_2) | instskip(SKIP_1) | instid1(VALU_DEP_4)
	v_add_co_u32 v7, vcc_lo, s10, v7
	v_mov_b32_e32 v12, v2
	v_add_co_ci_u32_e32 v8, vcc_lo, s11, v8, vcc_lo
	s_clause 0x1
	global_load_b32 v39, v[5:6], off
	global_load_b32 v40, v[7:8], off
	v_lshlrev_b64 v[5:6], 2, v[11:12]
	v_add_co_u32 v7, vcc_lo, s10, v3
	v_add_co_ci_u32_e32 v8, vcc_lo, s11, v4, vcc_lo
	v_mad_u64_u32 v[3:4], null, 0x66, s3, v[11:12]
	s_delay_alu instid0(VALU_DEP_4)
	v_add_co_u32 v11, vcc_lo, s10, v5
	v_add_co_ci_u32_e32 v12, vcc_lo, s11, v6, vcc_lo
	s_clause 0x1
	global_load_b32 v41, v[7:8], off
	global_load_b32 v44, v[11:12], off
	v_mov_b32_e32 v4, v2
	s_delay_alu instid0(VALU_DEP_1) | instskip(NEXT) | instid1(VALU_DEP_1)
	v_mad_u64_u32 v[7:8], null, 0xffffff8d, s3, v[3:4]
	v_dual_mov_b32 v8, v2 :: v_dual_add_nc_u32 v1, s2, v7
	v_lshlrev_b64 v[5:6], 2, v[9:10]
	s_delay_alu instid0(VALU_DEP_2) | instskip(NEXT) | instid1(VALU_DEP_2)
	v_lshlrev_b64 v[7:8], 2, v[7:8]
	v_add_co_u32 v9, vcc_lo, s6, v5
	s_delay_alu instid0(VALU_DEP_3) | instskip(NEXT) | instid1(VALU_DEP_3)
	v_add_co_ci_u32_e32 v10, vcc_lo, s7, v6, vcc_lo
	v_add_co_u32 v7, vcc_lo, s10, v7
	s_delay_alu instid0(VALU_DEP_4) | instskip(SKIP_3) | instid1(VALU_DEP_1)
	v_add_co_ci_u32_e32 v8, vcc_lo, s11, v8, vcc_lo
	global_load_b32 v37, v[9:10], off
	v_lshlrev_b64 v[9:10], 2, v[1:2]
	v_add_nc_u32_e32 v1, s5, v1
	v_mad_u64_u32 v[11:12], null, 0xffffff83, s3, v[1:2]
	s_delay_alu instid0(VALU_DEP_3) | instskip(NEXT) | instid1(VALU_DEP_4)
	v_add_co_u32 v9, vcc_lo, s10, v9
	v_add_co_ci_u32_e32 v10, vcc_lo, s11, v10, vcc_lo
	s_clause 0x1
	global_load_b32 v42, v[7:8], off
	global_load_b32 v43, v[9:10], off
	v_lshlrev_b64 v[7:8], 2, v[1:2]
	v_add_nc_u32_e32 v1, s2, v11
	s_mul_i32 s2, s3, 0x73
	v_lshlrev_b64 v[3:4], 2, v[3:4]
	s_delay_alu instid0(VALU_DEP_2) | instskip(SKIP_1) | instid1(VALU_DEP_2)
	v_mad_u64_u32 v[9:10], null, 0x7c, s3, v[1:2]
	v_lshlrev_b64 v[13:14], 2, v[1:2]
	v_add_nc_u32_e32 v1, s4, v9
	s_delay_alu instid0(VALU_DEP_1) | instskip(SKIP_2) | instid1(VALU_DEP_3)
	v_mad_u64_u32 v[15:16], null, s3, 5, v[1:2]
	v_mov_b32_e32 v12, v2
	v_lshlrev_b64 v[17:18], 2, v[1:2]
	v_dual_mov_b32 v16, v2 :: v_dual_add_nc_u32 v1, s2, v15
	s_delay_alu instid0(VALU_DEP_3) | instskip(NEXT) | instid1(VALU_DEP_2)
	v_lshlrev_b64 v[10:11], 2, v[11:12]
	v_lshlrev_b64 v[20:21], 2, v[15:16]
	s_delay_alu instid0(VALU_DEP_2) | instskip(NEXT) | instid1(VALU_DEP_3)
	v_add_co_u32 v10, vcc_lo, s10, v10
	v_add_co_ci_u32_e32 v11, vcc_lo, s11, v11, vcc_lo
	v_add_co_u32 v12, vcc_lo, s10, v13
	v_add_co_ci_u32_e32 v13, vcc_lo, s11, v14, vcc_lo
	;; [unrolled: 2-line block ×7, first 2 shown]
	s_clause 0x3
	global_load_b32 v47, v[10:11], off
	global_load_b32 v46, v[12:13], off
	;; [unrolled: 1-line block ×5, first 2 shown]
	v_mad_u64_u32 v[3:4], null, 0xffffff84, s3, v[1:2]
	v_add_co_u32 v5, vcc_lo, s6, v7
	v_mov_b32_e32 v10, v2
	v_add_co_ci_u32_e32 v6, vcc_lo, s7, v8, vcc_lo
	v_mov_b32_e32 v4, v2
	v_add_co_u32 v29, vcc_lo, s8, v7
	v_add_co_ci_u32_e32 v30, vcc_lo, s9, v8, vcc_lo
	v_lshlrev_b64 v[7:8], 2, v[9:10]
	s_delay_alu instid0(VALU_DEP_4)
	v_mad_u64_u32 v[11:12], null, 0x7d, s3, v[3:4]
	v_lshlrev_b64 v[3:4], 2, v[3:4]
	global_load_b32 v61, v[5:6], off
	v_mov_b32_e32 v12, v2
	v_add_co_u32 v5, vcc_lo, s6, v7
	v_add_co_ci_u32_e32 v6, vcc_lo, s7, v8, vcc_lo
	v_add_co_u32 v3, vcc_lo, s10, v3
	v_add_co_ci_u32_e32 v4, vcc_lo, s11, v4, vcc_lo
	global_load_b32 v62, v[5:6], off
	global_load_b32 v50, v[3:4], off
	v_mad_u64_u32 v[9:10], null, 0xffffff92, s3, v[11:12]
	v_lshlrev_b64 v[13:14], 2, v[1:2]
	v_mov_b32_e32 v10, v2
	v_add_co_u32 v31, vcc_lo, s8, v7
	v_add_co_ci_u32_e32 v32, vcc_lo, s9, v8, vcc_lo
	v_add_nc_u32_e32 v1, s3, v9
	s_delay_alu instid0(VALU_DEP_4) | instskip(SKIP_2) | instid1(VALU_DEP_4)
	v_lshlrev_b64 v[3:4], 2, v[9:10]
	v_add_co_u32 v7, vcc_lo, s6, v13
	v_add_co_ci_u32_e32 v8, vcc_lo, s7, v14, vcc_lo
	v_mad_u64_u32 v[20:21], null, 0x6e, s3, v[1:2]
	v_lshlrev_b64 v[5:6], 2, v[1:2]
	v_add_co_u32 v3, vcc_lo, s10, v3
	v_add_co_ci_u32_e32 v4, vcc_lo, s11, v4, vcc_lo
	s_delay_alu instid0(VALU_DEP_4) | instskip(NEXT) | instid1(VALU_DEP_4)
	v_add_nc_u32_e32 v1, s13, v20
	v_add_co_u32 v5, vcc_lo, s10, v5
	v_add_co_ci_u32_e32 v6, vcc_lo, s11, v6, vcc_lo
	s_delay_alu instid0(VALU_DEP_3) | instskip(SKIP_3) | instid1(VALU_DEP_3)
	v_lshlrev_b64 v[9:10], 2, v[1:2]
	v_add_nc_u32_e32 v1, s5, v1
	v_add_co_u32 v27, vcc_lo, s8, v13
	v_add_co_ci_u32_e32 v28, vcc_lo, s9, v14, vcc_lo
	v_lshlrev_b64 v[15:16], 2, v[1:2]
	v_add_nc_u32_e32 v1, s13, v1
	s_clause 0x1
	global_load_b32 v45, v[3:4], off
	global_load_b32 v49, v[5:6], off
	v_add_co_u32 v3, vcc_lo, s10, v9
	v_add_co_ci_u32_e32 v4, vcc_lo, s11, v10, vcc_lo
	v_lshlrev_b64 v[22:23], 2, v[1:2]
	v_add_nc_u32_e32 v1, s5, v1
	global_load_b32 v60, v[7:8], off
	global_load_b32 v48, v[3:4], off
	v_lshlrev_b64 v[9:10], 2, v[11:12]
	v_add_co_u32 v3, vcc_lo, s10, v22
	v_add_co_ci_u32_e32 v4, vcc_lo, s11, v23, vcc_lo
	v_lshlrev_b64 v[17:18], 2, v[1:2]
	v_add_nc_u32_e32 v1, s3, v1
	v_add_co_u32 v11, vcc_lo, s6, v9
	global_load_b32 v64, v[3:4], off
	v_add_co_ci_u32_e32 v12, vcc_lo, s7, v10, vcc_lo
	v_lshlrev_b64 v[13:14], 2, v[1:2]
	s_waitcnt vmcnt(21)
	v_dual_mul_f32 v38, s0, v19 :: v_dual_add_nc_u32 v1, s3, v1
	s_delay_alu instid0(VALU_DEP_1) | instskip(SKIP_1) | instid1(VALU_DEP_3)
	v_lshlrev_b64 v[7:8], 2, v[1:2]
	v_add_nc_u32_e32 v1, s3, v1
	v_dual_mov_b32 v21, v2 :: v_dual_mul_f32 v38, 0x4c9e9632, v38
	s_delay_alu instid0(VALU_DEP_2) | instskip(SKIP_1) | instid1(VALU_DEP_3)
	v_lshlrev_b64 v[5:6], 2, v[1:2]
	v_add_nc_u32_e32 v1, s12, v1
	v_lshlrev_b64 v[23:24], 2, v[20:21]
	v_add_co_u32 v21, vcc_lo, s8, v9
	v_add_co_ci_u32_e32 v22, vcc_lo, s9, v10, vcc_lo
	s_delay_alu instid0(VALU_DEP_4) | instskip(NEXT) | instid1(VALU_DEP_4)
	v_mad_u64_u32 v[25:26], null, s3, 3, v[1:2]
	v_add_co_u32 v9, vcc_lo, s6, v23
	v_add_co_ci_u32_e32 v10, vcc_lo, s7, v24, vcc_lo
	v_add_co_u32 v53, vcc_lo, s6, v15
	v_add_co_ci_u32_e32 v54, vcc_lo, s7, v16, vcc_lo
	v_lshlrev_b64 v[51:52], 2, v[1:2]
	v_add_nc_u32_e32 v1, s1, v25
	s_clause 0x2
	global_load_b32 v67, v[11:12], off
	global_load_b32 v57, v[9:10], off
	;; [unrolled: 1-line block ×3, first 2 shown]
	v_add_co_u32 v53, vcc_lo, s6, v17
	v_add_co_ci_u32_e32 v54, vcc_lo, s7, v18, vcc_lo
	v_lshlrev_b64 v[3:4], 2, v[1:2]
	v_add_nc_u32_e32 v1, s3, v1
	v_add_co_u32 v68, vcc_lo, s6, v13
	v_mov_b32_e32 v26, v2
	v_add_co_ci_u32_e32 v69, vcc_lo, s7, v14, vcc_lo
	s_delay_alu instid0(VALU_DEP_4)
	v_mad_u64_u32 v[58:59], null, 0xffffff85, s3, v[1:2]
	v_lshlrev_b64 v[9:10], 2, v[1:2]
	v_add_co_u32 v72, vcc_lo, s6, v7
	v_add_co_ci_u32_e32 v73, vcc_lo, s7, v8, vcc_lo
	v_add_co_u32 v74, vcc_lo, s6, v5
	v_add_nc_u32_e32 v1, s3, v58
	v_lshlrev_b64 v[25:26], 2, v[25:26]
	v_add_co_ci_u32_e32 v75, vcc_lo, s7, v6, vcc_lo
	v_add_co_u32 v51, vcc_lo, s10, v51
	v_div_scale_f32 v70, null, v38, v38, 1.0
	s_waitcnt vmcnt(19)
	v_mul_f32_e32 v92, v41, v44
	v_mad_u64_u32 v[76:77], null, 0x7b, s3, v[1:2]
	v_lshlrev_b64 v[77:78], 2, v[1:2]
	v_add_co_ci_u32_e32 v52, vcc_lo, s11, v52, vcc_lo
	v_add_co_u32 v19, vcc_lo, s10, v25
	v_mul_f32_e32 v91, v39, v40
	v_add_nc_u32_e32 v1, s3, v76
	v_mov_b32_e32 v59, v2
	v_add_co_ci_u32_e32 v20, vcc_lo, s11, v26, vcc_lo
	s_clause 0x3
	global_load_b32 v71, v[53:54], off
	global_load_b32 v69, v[68:69], off
	;; [unrolled: 1-line block ×4, first 2 shown]
	s_clause 0x1
	global_load_b32 v53, v[51:52], off
	global_load_b32 v51, v[19:20], off
	v_lshlrev_b64 v[11:12], 2, v[1:2]
	v_add_nc_u32_e32 v1, s12, v1
	v_rcp_f32_e32 v52, v70
	v_lshlrev_b64 v[19:20], 2, v[58:59]
	v_div_scale_f32 v68, null, v0, v0, 1.0
	s_delay_alu instid0(VALU_DEP_3) | instskip(SKIP_1) | instid1(VALU_DEP_4)
	v_mad_u64_u32 v[79:80], null, 0x86, s3, v[1:2]
	v_lshlrev_b64 v[25:26], 2, v[1:2]
	v_add_co_u32 v80, vcc_lo, s10, v19
	s_delay_alu instid0(VALU_DEP_4) | instskip(NEXT) | instid1(TRANS32_DEP_2)
	v_rcp_f32_e32 v74, v68
	v_fma_f32 v19, -v70, v52, 1.0
	v_add_co_ci_u32_e32 v81, vcc_lo, s11, v20, vcc_lo
	v_add_nc_u32_e32 v1, s3, v79
	v_div_scale_f32 v75, vcc_lo, 1.0, v38, 1.0
	s_delay_alu instid0(VALU_DEP_4) | instskip(SKIP_1) | instid1(VALU_DEP_4)
	v_fmac_f32_e32 v52, v19, v52
	v_add_co_u32 v77, s0, s10, v77
	v_mad_u64_u32 v[58:59], null, 0xffffff7e, s3, v[1:2]
	s_delay_alu instid0(TRANS32_DEP_1) | instskip(NEXT) | instid1(VALU_DEP_4)
	v_fma_f32 v59, -v68, v74, 1.0
	v_mul_f32_e32 v84, v75, v52
	v_add_co_ci_u32_e64 v78, s0, s11, v78, s0
	v_lshlrev_b64 v[19:20], 2, v[1:2]
	v_div_scale_f32 v88, s0, 1.0, v0, 1.0
	v_add_nc_u32_e32 v1, s1, v58
	v_fmac_f32_e32 v74, v59, v74
	v_fma_f32 v82, -v70, v84, v75
	v_mov_b32_e32 v59, v2
	s_delay_alu instid0(VALU_DEP_4) | instskip(NEXT) | instid1(VALU_DEP_3)
	v_mad_u64_u32 v[72:73], null, 0xffffff8e, s3, v[1:2]
	v_dual_mul_f32 v73, v88, v74 :: v_dual_fmac_f32 v84, v82, v52
	s_delay_alu instid0(VALU_DEP_3) | instskip(SKIP_1) | instid1(VALU_DEP_3)
	v_lshlrev_b64 v[58:59], 2, v[58:59]
	v_add_co_u32 v82, s1, s10, v25
	v_fma_f32 v85, -v68, v73, v88
	s_delay_alu instid0(VALU_DEP_4) | instskip(SKIP_2) | instid1(VALU_DEP_4)
	v_fma_f32 v70, -v70, v84, v75
	v_add_co_ci_u32_e64 v83, s1, s11, v26, s1
	v_lshlrev_b64 v[25:26], 2, v[1:2]
	v_fmac_f32_e32 v73, v85, v74
	s_delay_alu instid0(VALU_DEP_4) | instskip(SKIP_2) | instid1(VALU_DEP_4)
	v_div_fmas_f32 v52, v70, v52, v84
	v_add_co_u32 v84, vcc_lo, s10, v58
	v_add_co_ci_u32_e32 v85, vcc_lo, s11, v59, vcc_lo
	v_fma_f32 v58, -v68, v73, v88
	s_delay_alu instid0(VALU_DEP_4)
	v_div_fixup_f32 v38, v52, v38, 1.0
	s_mov_b32 vcc_lo, s0
	v_add_nc_u32_e32 v1, s2, v72
	v_div_scale_f32 v70, null, v92, v92, 1.0
	v_div_fmas_f32 v58, v58, v74, v73
	v_mul_f32_e32 v52, 0x49776020, v38
	s_delay_alu instid0(VALU_DEP_4) | instskip(SKIP_1) | instid1(VALU_DEP_4)
	v_mad_u64_u32 v[86:87], null, 0xffffff8c, s3, v[1:2]
	v_mov_b32_e32 v73, v2
	v_div_fixup_f32 v38, v58, v0, 1.0
	s_delay_alu instid0(VALU_DEP_4)
	v_dual_mul_f32 v68, v91, v52 :: v_dual_mov_b32 v87, v2
	global_load_b32 v75, v[77:78], off
	v_lshlrev_b64 v[58:59], 2, v[72:73]
	v_mov_b32_e32 v77, v2
	v_mul_f32_e32 v38, v38, v68
	v_lshlrev_b64 v[72:73], 2, v[86:87]
	v_rcp_f32_e32 v68, v70
	s_delay_alu instid0(VALU_DEP_4) | instskip(NEXT) | instid1(VALU_DEP_3)
	v_add_co_u32 v87, vcc_lo, s10, v58
	v_min_f32_e32 v38, 0x7cf0bdc2, v38
	v_add_co_ci_u32_e32 v88, vcc_lo, s11, v59, vcc_lo
	s_delay_alu instid0(VALU_DEP_4) | instskip(SKIP_1) | instid1(VALU_DEP_3)
	v_add_co_u32 v89, vcc_lo, s10, v72
	s_waitcnt vmcnt(25)
	v_mul_f32_e32 v58, v37, v38
	v_add_co_ci_u32_e32 v90, vcc_lo, s11, v73, vcc_lo
	v_add_co_u32 v37, vcc_lo, s6, v3
	s_delay_alu instid0(TRANS32_DEP_1)
	v_fma_f32 v72, -v70, v68, 1.0
	v_add_co_ci_u32_e32 v38, vcc_lo, s7, v4, vcc_lo
	global_store_b32 v[35:36], v58, off
	v_add_co_u32 v35, vcc_lo, s6, v9
	v_add_co_ci_u32_e32 v36, vcc_lo, s7, v10, vcc_lo
	v_fmac_f32_e32 v68, v72, v68
	v_div_scale_f32 v72, vcc_lo, 1.0, v92, 1.0
	s_waitcnt vmcnt(23)
	v_mul_f32_e32 v59, v42, v43
	s_clause 0x1
	global_load_b32 v74, v[37:38], off
	global_load_b32 v73, v[35:36], off
	v_mul_f32_e32 v94, v72, v68
	global_load_b32 v58, v[80:81], off
	v_div_scale_f32 v93, null, v59, v59, 1.0
	v_mov_b32_e32 v80, v2
	v_fma_f32 v35, -v70, v94, v72
	s_delay_alu instid0(VALU_DEP_3) | instskip(NEXT) | instid1(VALU_DEP_1)
	v_rcp_f32_e32 v81, v93
	v_fmac_f32_e32 v94, v35, v68
	s_delay_alu instid0(VALU_DEP_1)
	v_fma_f32 v70, -v70, v94, v72
	s_waitcnt_depctr 0xfff
	v_fma_f32 v35, -v93, v81, 1.0
	v_div_fmas_f32 v78, v70, v68, v94
	global_load_b32 v70, v[82:83], off
	s_waitcnt vmcnt(25)
	v_mul_f32_e32 v82, v44, v46
	s_waitcnt vmcnt(19)
	v_mul_f32_e32 v44, v44, v50
	v_lshlrev_b64 v[37:38], 2, v[76:77]
	v_add_co_u32 v76, vcc_lo, s6, v11
	v_fmac_f32_e32 v81, v35, v81
	v_add_co_ci_u32_e32 v77, vcc_lo, s7, v12, vcc_lo
	s_delay_alu instid0(VALU_DEP_4) | instskip(NEXT) | instid1(VALU_DEP_1)
	v_add_co_u32 v35, s0, s6, v37
	v_add_co_ci_u32_e64 v36, s0, s7, v38, s0
	v_div_scale_f32 v94, vcc_lo, 1.0, v59, 1.0
	v_div_scale_f32 v83, null, v82, v82, 1.0
	s_clause 0x1
	global_load_b32 v72, v[35:36], off
	global_load_b32 v68, v[76:77], off
	v_mul_f32_e32 v76, v94, v81
	v_div_fixup_f32 v35, v78, v92, 1.0
	v_rcp_f32_e32 v92, v83
	v_mul_f32_e32 v78, v65, v66
	s_delay_alu instid0(VALU_DEP_3) | instskip(NEXT) | instid1(VALU_DEP_1)
	v_fma_f32 v36, -v93, v76, v94
	v_dual_mul_f32 v65, v91, v35 :: v_dual_fmac_f32 v76, v36, v81
	s_delay_alu instid0(VALU_DEP_1) | instskip(SKIP_3) | instid1(VALU_DEP_2)
	v_min_f32_e32 v77, 0x7cf0bdc2, v65
	s_waitcnt_depctr 0xfff
	v_fma_f32 v36, -v83, v92, 1.0
	v_fma_f32 v66, -v93, v76, v94
	v_fmac_f32_e32 v92, v36, v92
	v_lshlrev_b64 v[35:36], 2, v[79:80]
	v_div_scale_f32 v79, s0, 1.0, v82, 1.0
	s_delay_alu instid0(VALU_DEP_4) | instskip(NEXT) | instid1(VALU_DEP_2)
	v_div_fmas_f32 v80, v66, v81, v76
	v_mul_f32_e32 v81, v79, v92
	v_mul_f32_e32 v76, v63, v77
	global_load_b32 v63, v[84:85], off
	v_add_co_u32 v65, vcc_lo, s6, v35
	v_add_co_ci_u32_e32 v66, vcc_lo, s7, v36, vcc_lo
	global_store_b32 v[33:34], v76, off
	global_load_b32 v33, v[87:88], off
	v_fma_f32 v34, -v83, v81, v79
	v_add_co_u32 v76, vcc_lo, s6, v19
	v_add_co_ci_u32_e32 v77, vcc_lo, s7, v20, vcc_lo
	s_delay_alu instid0(VALU_DEP_3)
	v_fmac_f32_e32 v81, v34, v92
	global_load_b32 v34, v[89:90], off
	v_div_scale_f32 v84, null, v78, v78, 1.0
	s_mov_b32 vcc_lo, s0
	v_fma_f32 v79, -v83, v81, v79
	v_div_fixup_f32 v80, v80, v59, 1.0
	s_delay_alu instid0(VALU_DEP_3) | instskip(SKIP_1) | instid1(VALU_DEP_3)
	v_rcp_f32_e32 v85, v84
	v_div_scale_f32 v83, null, v44, v44, 1.0
	v_div_fmas_f32 v79, v79, v92, v81
	s_delay_alu instid0(VALU_DEP_3)
	v_mul_f32_e32 v87, v91, v80
	s_waitcnt vmcnt(19)
	v_mul_f32_e32 v64, v41, v64
	v_rcp_f32_e32 v89, v83
	v_dual_mul_f32 v81, v40, v47 :: v_dual_mul_f32 v90, v39, v45
	v_div_fixup_f32 v79, v79, v82, 1.0
	s_delay_alu instid0(TRANS32_DEP_2) | instskip(SKIP_1) | instid1(VALU_DEP_3)
	v_fma_f32 v88, -v84, v85, 1.0
	v_div_scale_f32 v82, vcc_lo, 1.0, v78, 1.0
	v_dual_mul_f32 v50, v50, v48 :: v_dual_mul_f32 v79, v81, v79
	s_delay_alu instid0(VALU_DEP_3) | instskip(NEXT) | instid1(VALU_DEP_1)
	v_fmac_f32_e32 v85, v88, v85
	v_dual_mul_f32 v88, v82, v85 :: v_dual_min_f32 v87, 0x7cf0bdc2, v87
	s_delay_alu instid0(VALU_DEP_1)
	v_mul_f32_e32 v61, v61, v87
	v_div_scale_f32 v87, s0, 1.0, v44, 1.0
	global_store_b32 v[29:30], v61, off
	v_fma_f32 v29, -v83, v89, 1.0
	v_min_f32_e32 v30, 0x7cf0bdc2, v79
	v_fma_f32 v79, -v84, v88, v82
	v_div_scale_f32 v61, null, v49, v49, 1.0
	s_delay_alu instid0(VALU_DEP_4) | instskip(NEXT) | instid1(VALU_DEP_3)
	v_fmac_f32_e32 v89, v29, v89
	v_dual_mul_f32 v29, v62, v30 :: v_dual_fmac_f32 v88, v79, v85
	s_delay_alu instid0(VALU_DEP_3) | instskip(NEXT) | instid1(VALU_DEP_2)
	v_rcp_f32_e32 v30, v61
	v_mul_f32_e32 v62, v87, v89
	global_store_b32 v[31:32], v29, off
	v_fma_f32 v31, -v84, v88, v82
	v_mul_f32_e32 v29, v40, v46
	v_mul_f32_e32 v32, v52, v90
	v_fma_f32 v82, -v83, v62, v87
	s_delay_alu instid0(VALU_DEP_4) | instskip(SKIP_2) | instid1(VALU_DEP_3)
	v_div_fmas_f32 v31, v31, v85, v88
	s_mov_b32 vcc_lo, s0
	v_fma_f32 v84, -v61, v30, 1.0
	v_fmac_f32_e32 v62, v82, v89
	v_div_scale_f32 v82, s1, 1.0, v49, 1.0
	v_div_fixup_f32 v78, v31, v78, 1.0
	s_delay_alu instid0(VALU_DEP_4) | instskip(NEXT) | instid1(VALU_DEP_4)
	v_fmac_f32_e32 v30, v84, v30
	v_fma_f32 v31, -v83, v62, v87
	s_delay_alu instid0(VALU_DEP_1) | instskip(SKIP_4) | instid1(VALU_DEP_1)
	v_div_fmas_f32 v62, v31, v89, v62
	global_load_b32 v31, v[65:66], off
	v_div_scale_f32 v65, null, v64, v64, 1.0
	s_mov_b32 vcc_lo, s1
	v_div_fixup_f32 v44, v62, v44, 1.0
	v_mul_f32_e32 v29, v29, v44
	v_mul_f32_e32 v66, v81, v78
	v_rcp_f32_e32 v78, v65
	v_div_scale_f32 v81, s0, 1.0, v64, 1.0
	s_delay_alu instid0(VALU_DEP_2) | instskip(NEXT) | instid1(VALU_DEP_1)
	v_dual_min_f32 v29, 0x7cf0bdc2, v29 :: v_dual_min_f32 v62, 0x7cf0bdc2, v66
	v_dual_mul_f32 v79, v41, v48 :: v_dual_mul_f32 v60, v60, v62
	s_delay_alu instid0(VALU_DEP_1)
	v_div_scale_f32 v85, null, v79, v79, 1.0
	v_div_scale_f32 v88, s2, 1.0, v79, 1.0
	global_store_b32 v[27:28], v60, off
	v_rcp_f32_e32 v84, v85
	s_waitcnt_depctr 0xfff
	v_fma_f32 v89, -v85, v84, 1.0
	s_delay_alu instid0(VALU_DEP_1) | instskip(NEXT) | instid1(VALU_DEP_1)
	v_dual_fmac_f32 v84, v89, v84 :: v_dual_mul_f32 v83, v82, v30
	v_mul_f32_e32 v66, v88, v84
	s_delay_alu instid0(VALU_DEP_2) | instskip(NEXT) | instid1(VALU_DEP_2)
	v_fma_f32 v87, -v61, v83, v82
	v_fma_f32 v44, -v85, v66, v88
	s_delay_alu instid0(VALU_DEP_1) | instskip(NEXT) | instid1(VALU_DEP_1)
	v_dual_fmac_f32 v83, v87, v30 :: v_dual_fmac_f32 v66, v44, v84
	v_fma_f32 v61, -v61, v83, v82
	v_div_scale_f32 v82, null, v91, v91, 1.0
	s_delay_alu instid0(VALU_DEP_3) | instskip(NEXT) | instid1(VALU_DEP_3)
	v_fma_f32 v27, -v85, v66, v88
	v_div_fmas_f32 v30, v61, v30, v83
	v_fma_f32 v61, -v65, v78, 1.0
	s_delay_alu instid0(VALU_DEP_2) | instskip(NEXT) | instid1(VALU_DEP_2)
	v_div_fixup_f32 v30, v30, v49, 1.0
	v_fmac_f32_e32 v78, v61, v78
	v_mad_u64_u32 v[60:61], null, 0x75, s3, v[86:87]
	v_add_co_u32 v61, vcc_lo, s6, v25
	s_waitcnt vmcnt(19)
	v_dual_mul_f32 v44, v67, v29 :: v_dual_mul_f32 v67, v30, v32
	global_load_b32 v32, v[76:77], off
	v_add_co_ci_u32_e32 v62, vcc_lo, s7, v26, vcc_lo
	v_lshlrev_b64 v[29:30], 2, v[1:2]
	v_add_nc_u32_e32 v1, s3, v60
	s_mov_b32 vcc_lo, s2
	s_waitcnt vmcnt(13)
	v_mul_f32_e32 v53, v45, v53
	v_div_fmas_f32 v66, v27, v84, v66
	global_load_b32 v84, v[61:62], off
	v_rcp_f32_e32 v77, v82
	v_mul_f32_e32 v76, v81, v78
	v_lshlrev_b64 v[27:28], 2, v[1:2]
	v_add_nc_u32_e32 v1, s4, v1
	v_div_fixup_f32 v66, v66, v79, 1.0
	v_min_f32_e32 v67, 0x7cf0bdc2, v67
	v_fma_f32 v83, -v65, v76, v81
	v_div_scale_f32 v79, s1, 1.0, v91, 1.0
	s_delay_alu instid0(VALU_DEP_4) | instskip(SKIP_3) | instid1(VALU_DEP_3)
	v_mul_f32_e32 v66, v90, v66
	v_lshlrev_b64 v[61:62], 2, v[1:2]
	v_fma_f32 v85, -v82, v77, 1.0
	v_dual_fmac_f32 v76, v83, v78 :: v_dual_mul_f32 v57, v57, v67
	v_add_co_u32 v61, vcc_lo, s10, v61
	s_delay_alu instid0(VALU_DEP_3) | instskip(SKIP_1) | instid1(VALU_DEP_4)
	v_fmac_f32_e32 v77, v85, v77
	v_add_co_ci_u32_e32 v62, vcc_lo, s11, v62, vcc_lo
	v_fma_f32 v65, -v65, v76, v81
	s_delay_alu instid0(VALU_DEP_3)
	v_mul_f32_e32 v83, v79, v77
	global_load_b32 v67, v[61:62], off
	v_add_co_u32 v61, vcc_lo, s6, v29
	v_add_co_ci_u32_e32 v62, vcc_lo, s7, v30, vcc_lo
	v_fma_f32 v81, -v82, v83, v79
	s_mov_b32 vcc_lo, s0
	v_add_co_u32 v13, s0, s8, v13
	v_div_fmas_f32 v65, v65, v78, v76
	s_delay_alu instid0(VALU_DEP_3)
	v_fmac_f32_e32 v83, v81, v77
	global_load_b32 v62, v[61:62], off
	v_add_co_u32 v23, vcc_lo, s8, v23
	v_min_f32_e32 v61, 0x7cf0bdc2, v66
	v_fma_f32 v66, -v82, v83, v79
	v_add_co_ci_u32_e32 v24, vcc_lo, s9, v24, vcc_lo
	s_mov_b32 vcc_lo, s1
	v_div_fixup_f32 v64, v65, v64, 1.0
	s_delay_alu instid0(VALU_DEP_3) | instskip(SKIP_2) | instid1(VALU_DEP_4)
	v_div_fmas_f32 v65, v66, v77, v83
	v_div_scale_f32 v66, null, v50, v50, 1.0
	v_mul_f32_e32 v55, v55, v61
	v_dual_mul_f32 v61, v90, v64 :: v_dual_mul_f32 v64, v47, v45
	s_delay_alu instid0(VALU_DEP_3) | instskip(SKIP_2) | instid1(VALU_DEP_3)
	v_rcp_f32_e32 v76, v66
	v_div_fixup_f32 v65, v65, v91, 1.0
	v_add_co_u32 v15, vcc_lo, s8, v15
	v_min_f32_e32 v61, 0x7cf0bdc2, v61
	v_add_co_ci_u32_e32 v16, vcc_lo, s9, v16, vcc_lo
	s_delay_alu instid0(VALU_DEP_4)
	v_mul_f32_e32 v65, v65, v64
	s_clause 0x2
	global_store_b32 v[21:22], v44, off
	global_store_b32 v[23:24], v57, off
	;; [unrolled: 1-line block ×3, first 2 shown]
	v_dual_mul_f32 v44, v71, v61 :: v_dual_mov_b32 v61, v2
	v_fma_f32 v22, -v66, v76, 1.0
	v_add_co_u32 v15, vcc_lo, s8, v17
	v_add_co_ci_u32_e32 v16, vcc_lo, s9, v18, vcc_lo
	s_delay_alu instid0(VALU_DEP_4) | instskip(NEXT) | instid1(VALU_DEP_4)
	v_lshlrev_b64 v[17:18], 2, v[60:61]
	v_dual_min_f32 v21, 0x7cf0bdc2, v65 :: v_dual_fmac_f32 v76, v22, v76
	v_div_scale_f32 v57, vcc_lo, 1.0, v50, 1.0
	v_mad_u64_u32 v[23:24], null, 0x78, s3, v[1:2]
	v_add_co_ci_u32_e64 v14, s0, s9, v14, s0
	s_delay_alu instid0(VALU_DEP_4) | instskip(NEXT) | instid1(VALU_DEP_4)
	v_dual_mov_b32 v24, v2 :: v_dual_mul_f32 v55, v21, v69
	v_mul_f32_e32 v77, v57, v76
	v_add_co_u32 v21, s0, s6, v17
	s_delay_alu instid0(VALU_DEP_1)
	v_add_co_ci_u32_e64 v22, s0, s7, v18, s0
	v_add_nc_u32_e32 v1, s3, v23
	v_lshlrev_b64 v[23:24], 2, v[23:24]
	v_fma_f32 v60, -v66, v77, v57
	v_mul_f32_e32 v71, v80, v64
	global_load_b32 v80, v[21:22], off
	v_add_co_u32 v21, s0, s6, v27
	s_delay_alu instid0(VALU_DEP_1) | instskip(SKIP_2) | instid1(VALU_DEP_1)
	v_add_co_ci_u32_e64 v22, s0, s7, v28, s0
	v_fmac_f32_e32 v77, v60, v76
	v_add_co_u32 v60, s0, s6, v23
	v_add_co_ci_u32_e64 v61, s0, s7, v24, s0
	global_load_b32 v82, v[21:22], off
	s_waitcnt vmcnt(17)
	v_mul_f32_e32 v69, v48, v51
	v_mul_f32_e32 v47, v0, v47
	global_load_b32 v83, v[60:61], off
	v_lshlrev_b64 v[21:22], 2, v[1:2]
	v_add_nc_u32_e32 v1, s3, v1
	v_div_scale_f32 v78, null, v69, v69, 1.0
	v_fma_f32 v57, -v66, v77, v57
	v_div_scale_f32 v66, null, v47, v47, 1.0
	s_delay_alu instid0(VALU_DEP_4) | instskip(SKIP_1) | instid1(VALU_DEP_1)
	v_lshlrev_b64 v[1:2], 2, v[1:2]
	v_add_co_u32 v64, s0, s6, v21
	v_add_co_ci_u32_e64 v65, s0, s7, v22, s0
	v_rcp_f32_e32 v79, v78
	s_delay_alu instid0(VALU_DEP_3)
	v_add_co_u32 v60, s0, s6, v1
	global_load_b32 v64, v[64:65], off
	v_add_co_ci_u32_e64 v61, s0, s7, v2, s0
	v_div_fmas_f32 v57, v57, v76, v77
	v_rcp_f32_e32 v76, v66
	v_mul_f32_e32 v77, v46, v45
	global_load_b32 v60, v[60:61], off
	v_fma_f32 v81, -v78, v79, 1.0
	v_div_fixup_f32 v50, v57, v50, 1.0
	v_div_scale_f32 v65, s0, 1.0, v69, 1.0
	s_clause 0x1
	global_store_b32 v[15:16], v44, off
	global_store_b32 v[13:14], v55, off
	v_fmac_f32_e32 v79, v81, v79
	v_mul_f32_e32 v14, v77, v50
	v_fma_f32 v15, -v66, v76, 1.0
	s_waitcnt vmcnt(16)
	v_mul_f32_e32 v44, v58, v75
	v_min_f32_e32 v71, 0x7cf0bdc2, v71
	v_dual_mul_f32 v61, v65, v79 :: v_dual_min_f32 v14, 0x7cf0bdc2, v14
	v_fmac_f32_e32 v76, v15, v76
	v_div_scale_f32 v15, s1, 1.0, v47, 1.0
	v_div_scale_f32 v50, null, v44, v44, 1.0
	s_delay_alu instid0(VALU_DEP_4) | instskip(NEXT) | instid1(VALU_DEP_3)
	v_fma_f32 v57, -v78, v61, v65
	v_dual_mul_f32 v55, v15, v76 :: v_dual_mul_f32 v14, v14, v54
	s_delay_alu instid0(VALU_DEP_3) | instskip(SKIP_1) | instid1(VALU_DEP_3)
	v_rcp_f32_e32 v54, v50
	v_mul_f32_e32 v13, v71, v56
	v_fmac_f32_e32 v61, v57, v79
	s_delay_alu instid0(VALU_DEP_3) | instskip(SKIP_2) | instid1(VALU_DEP_4)
	v_fma_f32 v56, -v66, v55, v15
	v_mul_f32_e32 v46, v0, v46
	v_add_co_u32 v7, vcc_lo, s8, v7
	v_fma_f32 v16, -v78, v61, v65
	s_delay_alu instid0(VALU_DEP_4) | instskip(NEXT) | instid1(VALU_DEP_4)
	v_fmac_f32_e32 v55, v56, v76
	v_div_scale_f32 v57, null, v46, v46, 1.0
	s_delay_alu instid0(TRANS32_DEP_1)
	v_fma_f32 v56, -v50, v54, 1.0
	v_add_co_ci_u32_e32 v8, vcc_lo, s9, v8, vcc_lo
	s_mov_b32 vcc_lo, s0
	v_fma_f32 v15, -v66, v55, v15
	v_div_fmas_f32 v16, v16, v79, v61
	v_add_co_u32 v5, vcc_lo, s8, v5
	v_fmac_f32_e32 v54, v56, v54
	v_div_scale_f32 v56, s0, 1.0, v44, 1.0
	v_rcp_f32_e32 v61, v57
	v_add_co_ci_u32_e32 v6, vcc_lo, s9, v6, vcc_lo
	s_mov_b32 vcc_lo, s1
	v_div_fixup_f32 v16, v16, v69, 1.0
	v_div_fmas_f32 v15, v15, v76, v55
	global_store_b32 v[7:8], v13, off
	v_dual_mul_f32 v7, v56, v54 :: v_dual_mul_f32 v8, v49, v51
	v_mul_f32_e32 v16, v53, v16
	global_store_b32 v[5:6], v14, off
	v_div_fixup_f32 v5, v15, v47, 1.0
	v_fma_f32 v13, -v50, v7, v56
	v_fma_f32 v14, -v57, v61, 1.0
	v_div_scale_f32 v15, null, v8, v8, 1.0
	s_delay_alu instid0(VALU_DEP_3) | instskip(NEXT) | instid1(VALU_DEP_3)
	v_dual_min_f32 v16, 0x7cf0bdc2, v16 :: v_dual_fmac_f32 v7, v13, v54
	v_fmac_f32_e32 v61, v14, v61
	v_div_scale_f32 v13, s1, 1.0, v46, 1.0
	s_delay_alu instid0(VALU_DEP_4)
	v_rcp_f32_e32 v14, v15
	v_add_co_u32 v3, vcc_lo, s8, v3
	v_mul_f32_e32 v6, v74, v16
	v_add_co_ci_u32_e32 v4, vcc_lo, s9, v4, vcc_lo
	v_fma_f32 v16, -v50, v7, v56
	v_mul_f32_e32 v47, v13, v61
	s_mov_b32 vcc_lo, s0
	global_store_b32 v[3:4], v6, off
	v_fma_f32 v3, -v15, v14, 1.0
	v_div_fmas_f32 v7, v16, v54, v7
	v_fma_f32 v16, -v57, v47, v13
	s_delay_alu instid0(VALU_DEP_3) | instskip(NEXT) | instid1(VALU_DEP_3)
	v_dual_mul_f32 v5, v5, v53 :: v_dual_fmac_f32 v14, v3, v14
	v_div_fixup_f32 v6, v7, v44, 1.0
	s_delay_alu instid0(VALU_DEP_3) | instskip(SKIP_4) | instid1(VALU_DEP_4)
	v_fmac_f32_e32 v47, v16, v61
	v_mul_f32_e32 v7, v43, v49
	v_div_scale_f32 v16, s0, 1.0, v8, 1.0
	v_add_co_u32 v3, vcc_lo, s8, v9
	v_min_f32_e32 v5, 0x7cf0bdc2, v5
	v_div_scale_f32 v43, null, v7, v7, 1.0
	v_add_co_ci_u32_e32 v4, vcc_lo, s9, v10, vcc_lo
	s_delay_alu instid0(VALU_DEP_3) | instskip(SKIP_3) | instid1(VALU_DEP_3)
	v_dual_mul_f32 v10, v16, v14 :: v_dual_mul_f32 v5, v5, v73
	v_mul_f32_e32 v6, v53, v6
	v_fma_f32 v9, -v57, v47, v13
	v_rcp_f32_e32 v13, v43
	v_fma_f32 v44, -v15, v10, v16
	s_mov_b32 vcc_lo, s1
	global_store_b32 v[3:4], v5, off
	v_div_fmas_f32 v9, v9, v61, v47
	v_min_f32_e32 v3, 0x7cf0bdc2, v6
	v_fmac_f32_e32 v10, v44, v14
	s_waitcnt vmcnt(12)
	v_mul_f32_e32 v44, v48, v63
	s_mov_b32 vcc_lo, s0
	v_div_fixup_f32 v5, v9, v46, 1.0
	v_fma_f32 v6, -v43, v13, 1.0
	v_mul_f32_e32 v9, v72, v3
	v_fma_f32 v3, -v15, v10, v16
	v_div_scale_f32 v15, null, v44, v44, 1.0
	s_delay_alu instid0(VALU_DEP_4) | instskip(SKIP_1) | instid1(VALU_DEP_4)
	v_dual_mul_f32 v4, v45, v51 :: v_dual_fmac_f32 v13, v6, v13
	v_div_scale_f32 v6, s1, 1.0, v7, 1.0
	v_div_fmas_f32 v10, v3, v14, v10
	s_delay_alu instid0(VALU_DEP_4) | instskip(NEXT) | instid1(VALU_DEP_2)
	v_rcp_f32_e32 v14, v15
	v_dual_mul_f32 v5, v5, v4 :: v_dual_mul_f32 v16, v6, v13
	v_add_co_u32 v3, vcc_lo, s8, v37
	v_add_co_ci_u32_e32 v4, vcc_lo, s9, v38, vcc_lo
	s_delay_alu instid0(VALU_DEP_3) | instskip(SKIP_3) | instid1(TRANS32_DEP_1)
	v_min_f32_e32 v5, 0x7cf0bdc2, v5
	v_mul_f32_e32 v37, v45, v70
	v_div_fixup_f32 v8, v10, v8, 1.0
	v_fma_f32 v10, -v43, v16, v6
	v_fma_f32 v38, -v15, v14, 1.0
	global_store_b32 v[3:4], v9, off
	v_mul_f32_e32 v9, v5, v68
	v_mul_f32_e32 v5, v8, v37
	v_fmac_f32_e32 v16, v10, v13
	v_fmac_f32_e32 v14, v38, v14
	v_div_scale_f32 v8, s0, 1.0, v44, 1.0
	v_add_co_u32 v3, vcc_lo, s8, v11
	v_min_f32_e32 v5, 0x7cf0bdc2, v5
	v_fma_f32 v6, -v43, v16, v6
	s_delay_alu instid0(VALU_DEP_4)
	v_mul_f32_e32 v10, v8, v14
	s_waitcnt vmcnt(11)
	v_div_scale_f32 v11, null, v33, v33, 1.0
	v_add_co_ci_u32_e32 v4, vcc_lo, s9, v12, vcc_lo
	s_mov_b32 vcc_lo, s1
	v_fma_f32 v12, -v15, v10, v8
	v_div_fmas_f32 v6, v6, v13, v16
	s_waitcnt vmcnt(9)
	v_mul_f32_e32 v13, v31, v5
	v_rcp_f32_e32 v31, v11
	v_mul_f32_e32 v16, v45, v58
	v_fmac_f32_e32 v10, v12, v14
	v_div_fixup_f32 v7, v6, v7, 1.0
	v_add_co_u32 v5, vcc_lo, s8, v35
	v_mul_f32_e32 v12, v39, v34
	s_delay_alu instid0(VALU_DEP_4) | instskip(SKIP_1) | instid1(TRANS32_DEP_1)
	v_fma_f32 v8, -v15, v10, v8
	v_add_co_ci_u32_e32 v6, vcc_lo, s9, v36, vcc_lo
	v_fma_f32 v15, -v11, v31, 1.0
	s_mov_b32 vcc_lo, s0
	v_mul_f32_e32 v7, v7, v16
	v_div_scale_f32 v16, null, v12, v12, 1.0
	v_div_fmas_f32 v8, v8, v14, v10
	v_fmac_f32_e32 v31, v15, v31
	v_div_scale_f32 v10, vcc_lo, 1.0, v33, 1.0
	s_delay_alu instid0(VALU_DEP_4) | instskip(SKIP_2) | instid1(VALU_DEP_3)
	v_rcp_f32_e32 v14, v16
	v_min_f32_e32 v7, 0x7cf0bdc2, v7
	v_mul_f32_e32 v15, v42, v45
	v_mul_f32_e32 v34, v10, v31
	v_div_fixup_f32 v8, v8, v44, 1.0
	s_clause 0x1
	global_store_b32 v[3:4], v9, off
	global_store_b32 v[5:6], v13, off
	v_add_co_u32 v3, s0, s8, v19
	s_delay_alu instid0(VALU_DEP_1) | instskip(SKIP_2) | instid1(VALU_DEP_2)
	v_add_co_ci_u32_e64 v4, s0, s9, v20, s0
	v_mul_f32_e32 v6, v15, v8
	v_fma_f32 v8, -v16, v14, 1.0
	v_dual_mul_f32 v19, v52, v15 :: v_dual_min_f32 v6, 0x7cf0bdc2, v6
	s_delay_alu instid0(VALU_DEP_2)
	v_fmac_f32_e32 v14, v8, v14
	v_div_scale_f32 v8, s0, 1.0, v12, 1.0
	s_waitcnt vmcnt(8)
	v_mul_f32_e32 v5, v7, v32
	v_fma_f32 v7, -v11, v34, v10
	global_store_b32 v[3:4], v5, off
	v_fmac_f32_e32 v34, v7, v31
	v_mul_f32_e32 v7, v52, v59
	s_waitcnt vmcnt(7)
	v_mul_f32_e32 v5, v84, v6
	v_mul_f32_e32 v6, v8, v14
	v_fma_f32 v3, -v11, v34, v10
	v_div_scale_f32 v9, null, v7, v7, 1.0
	s_delay_alu instid0(VALU_DEP_3) | instskip(NEXT) | instid1(VALU_DEP_3)
	v_fma_f32 v13, -v16, v6, v8
	v_div_fmas_f32 v11, v3, v31, v34
	s_delay_alu instid0(VALU_DEP_3) | instskip(SKIP_2) | instid1(VALU_DEP_3)
	v_rcp_f32_e32 v10, v9
	v_add_co_u32 v3, vcc_lo, s8, v25
	v_add_co_ci_u32_e32 v4, vcc_lo, s9, v26, vcc_lo
	v_div_fixup_f32 v11, v11, v33, 1.0
	v_fmac_f32_e32 v6, v13, v14
	s_mov_b32 vcc_lo, s0
	global_store_b32 v[3:4], v5, off
	v_fma_f32 v13, -v9, v10, 1.0
	v_mul_f32_e32 v3, v19, v11
	v_fma_f32 v4, -v16, v6, v8
	v_div_scale_f32 v8, s1, 1.0, v7, 1.0
	s_delay_alu instid0(VALU_DEP_4)
	v_fmac_f32_e32 v10, v13, v10
	s_waitcnt vmcnt(6)
	v_div_scale_f32 v20, null, v67, v67, 1.0
	v_mul_f32_e32 v13, v42, v58
	v_min_f32_e32 v3, 0x7cf0bdc2, v3
	v_div_fmas_f32 v4, v4, v14, v6
	s_delay_alu instid0(VALU_DEP_4)
	v_rcp_f32_e32 v5, v20
	v_mul_f32_e32 v6, v8, v10
	v_div_scale_f32 v16, null, v13, v13, 1.0
	v_mul_f32_e32 v19, v40, v41
	v_div_fixup_f32 v12, v4, v12, 1.0
	s_waitcnt vmcnt(5)
	v_mul_f32_e32 v11, v62, v3
	v_fma_f32 v14, -v9, v6, v8
	v_rcp_f32_e32 v26, v16
	v_div_scale_f32 v31, null, v19, v19, 1.0
	v_fma_f32 v3, -v20, v5, 1.0
	v_div_scale_f32 v25, s0, 1.0, v67, 1.0
	v_fmac_f32_e32 v6, v14, v10
	s_delay_alu instid0(VALU_DEP_4) | instskip(NEXT) | instid1(VALU_DEP_3)
	v_rcp_f32_e32 v14, v31
	v_fmac_f32_e32 v5, v3, v5
	v_add_co_u32 v3, vcc_lo, s8, v29
	v_add_co_ci_u32_e32 v4, vcc_lo, s9, v30, vcc_lo
	s_delay_alu instid0(VALU_DEP_3)
	v_dual_mul_f32 v12, v15, v12 :: v_dual_mul_f32 v15, v25, v5
	v_fma_f32 v29, -v16, v26, 1.0
	global_store_b32 v[3:4], v11, off
	v_fma_f32 v4, -v9, v6, v8
	v_div_scale_f32 v9, s2, 1.0, v13, 1.0
	v_fma_f32 v8, -v20, v15, v25
	v_fmac_f32_e32 v26, v29, v26
	v_fma_f32 v11, -v31, v14, 1.0
	s_mov_b32 vcc_lo, s1
	v_min_f32_e32 v3, 0x7cf0bdc2, v12
	v_div_fmas_f32 v4, v4, v10, v6
	v_dual_mul_f32 v6, v9, v26 :: v_dual_fmac_f32 v15, v8, v5
	v_fmac_f32_e32 v14, v11, v14
	v_div_scale_f32 v8, s1, 1.0, v19, 1.0
	s_delay_alu instid0(VALU_DEP_3) | instskip(NEXT) | instid1(VALU_DEP_4)
	v_fma_f32 v10, -v16, v6, v9
	v_fma_f32 v11, -v20, v15, v25
	s_mov_b32 vcc_lo, s0
	s_delay_alu instid0(VALU_DEP_3) | instskip(SKIP_3) | instid1(VALU_DEP_4)
	v_mul_f32_e32 v12, v8, v14
	v_div_fixup_f32 v4, v4, v7, 1.0
	v_dual_fmac_f32 v6, v10, v26 :: v_dual_mul_f32 v7, v39, v0
	v_div_fmas_f32 v5, v11, v5, v15
	v_fma_f32 v10, -v31, v12, v8
	s_mov_b32 vcc_lo, s2
	s_delay_alu instid0(VALU_DEP_3)
	v_fma_f32 v9, -v16, v6, v9
	v_mul_f32_e32 v0, v0, v4
	v_mul_f32_e32 v4, v7, v52
	v_fmac_f32_e32 v12, v10, v14
	v_div_fixup_f32 v5, v5, v67, 1.0
	v_div_fmas_f32 v6, v9, v26, v6
	s_mov_b32 vcc_lo, s1
	s_waitcnt vmcnt(4)
	v_dual_min_f32 v0, 0x7cf0bdc2, v0 :: v_dual_mul_f32 v11, v80, v3
	v_fma_f32 v3, -v31, v12, v8
	v_mul_f32_e32 v5, v4, v5
	v_div_fixup_f32 v6, v6, v13, 1.0
	s_delay_alu instid0(VALU_DEP_3) | instskip(SKIP_1) | instid1(VALU_DEP_3)
	v_div_fmas_f32 v8, v3, v14, v12
	v_add_co_u32 v3, vcc_lo, s8, v17
	v_mul_f32_e32 v9, v7, v6
	s_waitcnt vmcnt(3)
	v_mul_f32_e32 v12, v0, v82
	v_min_f32_e32 v0, 0x7cf0bdc2, v5
	v_div_fixup_f32 v8, v8, v19, 1.0
	v_add_co_ci_u32_e32 v4, vcc_lo, s9, v18, vcc_lo
	v_add_co_u32 v5, vcc_lo, s8, v27
	s_waitcnt vmcnt(2)
	v_dual_mul_f32 v13, v83, v0 :: v_dual_min_f32 v0, 0x7cf0bdc2, v9
	v_mul_f32_e32 v9, v7, v8
	v_add_co_ci_u32_e32 v6, vcc_lo, s9, v28, vcc_lo
	v_add_co_u32 v7, vcc_lo, s8, v23
	v_add_co_ci_u32_e32 v8, vcc_lo, s9, v24, vcc_lo
	s_waitcnt vmcnt(1)
	v_mul_f32_e32 v14, v0, v64
	v_min_f32_e32 v0, 0x7cf0bdc2, v9
	v_add_co_u32 v9, vcc_lo, s8, v21
	v_add_co_ci_u32_e32 v10, vcc_lo, s9, v22, vcc_lo
	s_waitcnt vmcnt(0)
	s_delay_alu instid0(VALU_DEP_3)
	v_mul_f32_e32 v15, v0, v60
	v_add_co_u32 v0, vcc_lo, s8, v1
	v_add_co_ci_u32_e32 v1, vcc_lo, s9, v2, vcc_lo
	s_clause 0x4
	global_store_b32 v[3:4], v11, off
	global_store_b32 v[5:6], v12, off
	;; [unrolled: 1-line block ×5, first 2 shown]
	s_nop 0
	s_sendmsg sendmsg(MSG_DEALLOC_VGPRS)
	s_endpgm
	.section	.rodata,"a",@progbits
	.p2align	6, 0x0
	.amdhsa_kernel _Z12ratt7_kernelIfEvPKT_S2_PS0_S2_S0_
		.amdhsa_group_segment_fixed_size 0
		.amdhsa_private_segment_fixed_size 0
		.amdhsa_kernarg_size 296
		.amdhsa_user_sgpr_count 15
		.amdhsa_user_sgpr_dispatch_ptr 0
		.amdhsa_user_sgpr_queue_ptr 0
		.amdhsa_user_sgpr_kernarg_segment_ptr 1
		.amdhsa_user_sgpr_dispatch_id 0
		.amdhsa_user_sgpr_private_segment_size 0
		.amdhsa_wavefront_size32 1
		.amdhsa_uses_dynamic_stack 0
		.amdhsa_enable_private_segment 0
		.amdhsa_system_sgpr_workgroup_id_x 1
		.amdhsa_system_sgpr_workgroup_id_y 0
		.amdhsa_system_sgpr_workgroup_id_z 0
		.amdhsa_system_sgpr_workgroup_info 0
		.amdhsa_system_vgpr_workitem_id 0
		.amdhsa_next_free_vgpr 95
		.amdhsa_next_free_sgpr 16
		.amdhsa_reserve_vcc 1
		.amdhsa_float_round_mode_32 0
		.amdhsa_float_round_mode_16_64 0
		.amdhsa_float_denorm_mode_32 3
		.amdhsa_float_denorm_mode_16_64 3
		.amdhsa_dx10_clamp 1
		.amdhsa_ieee_mode 1
		.amdhsa_fp16_overflow 0
		.amdhsa_workgroup_processor_mode 1
		.amdhsa_memory_ordered 1
		.amdhsa_forward_progress 0
		.amdhsa_shared_vgpr_count 0
		.amdhsa_exception_fp_ieee_invalid_op 0
		.amdhsa_exception_fp_denorm_src 0
		.amdhsa_exception_fp_ieee_div_zero 0
		.amdhsa_exception_fp_ieee_overflow 0
		.amdhsa_exception_fp_ieee_underflow 0
		.amdhsa_exception_fp_ieee_inexact 0
		.amdhsa_exception_int_div_zero 0
	.end_amdhsa_kernel
	.section	.text._Z12ratt7_kernelIfEvPKT_S2_PS0_S2_S0_,"axG",@progbits,_Z12ratt7_kernelIfEvPKT_S2_PS0_S2_S0_,comdat
.Lfunc_end8:
	.size	_Z12ratt7_kernelIfEvPKT_S2_PS0_S2_S0_, .Lfunc_end8-_Z12ratt7_kernelIfEvPKT_S2_PS0_S2_S0_
                                        ; -- End function
	.section	.AMDGPU.csdata,"",@progbits
; Kernel info:
; codeLenInByte = 5536
; NumSgprs: 18
; NumVgprs: 95
; ScratchSize: 0
; MemoryBound: 0
; FloatMode: 240
; IeeeMode: 1
; LDSByteSize: 0 bytes/workgroup (compile time only)
; SGPRBlocks: 2
; VGPRBlocks: 11
; NumSGPRsForWavesPerEU: 18
; NumVGPRsForWavesPerEU: 95
; Occupancy: 16
; WaveLimiterHint : 0
; COMPUTE_PGM_RSRC2:SCRATCH_EN: 0
; COMPUTE_PGM_RSRC2:USER_SGPR: 15
; COMPUTE_PGM_RSRC2:TRAP_HANDLER: 0
; COMPUTE_PGM_RSRC2:TGID_X_EN: 1
; COMPUTE_PGM_RSRC2:TGID_Y_EN: 0
; COMPUTE_PGM_RSRC2:TGID_Z_EN: 0
; COMPUTE_PGM_RSRC2:TIDIG_COMP_CNT: 0
	.section	.text._Z12ratt8_kernelIfEvPKT_S2_PS0_S2_S0_,"axG",@progbits,_Z12ratt8_kernelIfEvPKT_S2_PS0_S2_S0_,comdat
	.protected	_Z12ratt8_kernelIfEvPKT_S2_PS0_S2_S0_ ; -- Begin function _Z12ratt8_kernelIfEvPKT_S2_PS0_S2_S0_
	.globl	_Z12ratt8_kernelIfEvPKT_S2_PS0_S2_S0_
	.p2align	8
	.type	_Z12ratt8_kernelIfEvPKT_S2_PS0_S2_S0_,@function
_Z12ratt8_kernelIfEvPKT_S2_PS0_S2_S0_:  ; @_Z12ratt8_kernelIfEvPKT_S2_PS0_S2_S0_
; %bb.0:
	s_clause 0x3
	s_load_b32 s2, s[0:1], 0x34
	s_load_b32 s3, s[0:1], 0x28
	s_load_b256 s[4:11], s[0:1], 0x0
	s_load_b32 s0, s[0:1], 0x20
	s_waitcnt lgkmcnt(0)
	s_and_b32 s2, s2, 0xffff
	s_delay_alu instid0(SALU_CYCLE_1) | instskip(SKIP_2) | instid1(SALU_CYCLE_1)
	v_mad_u64_u32 v[1:2], null, s15, s2, v[0:1]
	v_mov_b32_e32 v2, 0
	s_mul_i32 s3, s3, s2
	s_mul_i32 s12, s3, 21
	;; [unrolled: 1-line block ×4, first 2 shown]
	s_delay_alu instid0(VALU_DEP_2) | instskip(SKIP_1) | instid1(VALU_DEP_1)
	v_lshlrev_b64 v[3:4], 2, v[1:2]
	s_mul_i32 s1, s3, 0xffffff79
	v_add_co_u32 v5, vcc_lo, s4, v3
	s_delay_alu instid0(VALU_DEP_2)
	v_add_co_ci_u32_e32 v6, vcc_lo, s5, v4, vcc_lo
	s_lshl_b32 s5, s3, 1
	s_mul_i32 s4, s3, 0x92
	v_dual_mov_b32 v8, v2 :: v_dual_add_nc_u32 v7, s5, v1
	global_load_b32 v25, v[5:6], off
	v_mov_b32_e32 v12, v2
	v_dual_mov_b32 v18, v2 :: v_dual_add_nc_u32 v1, s3, v1
	v_mad_u64_u32 v[9:10], null, s3, 24, v[7:8]
	v_mov_b32_e32 v10, v2
	s_delay_alu instid0(VALU_DEP_1) | instskip(NEXT) | instid1(VALU_DEP_1)
	v_mad_u64_u32 v[5:6], null, 0xffffffea, s3, v[9:10]
	v_dual_mov_b32 v6, v2 :: v_dual_add_nc_u32 v11, s12, v5
	s_delay_alu instid0(VALU_DEP_1) | instskip(SKIP_1) | instid1(VALU_DEP_3)
	v_lshlrev_b64 v[5:6], 2, v[5:6]
	v_lshlrev_b64 v[7:8], 2, v[7:8]
	;; [unrolled: 1-line block ×3, first 2 shown]
	s_delay_alu instid0(VALU_DEP_3) | instskip(NEXT) | instid1(VALU_DEP_4)
	v_add_co_u32 v5, vcc_lo, s10, v5
	v_add_co_ci_u32_e32 v6, vcc_lo, s11, v6, vcc_lo
	s_delay_alu instid0(VALU_DEP_3) | instskip(NEXT) | instid1(VALU_DEP_4)
	v_add_co_u32 v12, vcc_lo, s10, v12
	v_add_co_ci_u32_e32 v13, vcc_lo, s11, v13, vcc_lo
	s_clause 0x1
	global_load_b32 v35, v[5:6], off
	global_load_b32 v29, v[12:13], off
	v_mad_u64_u32 v[14:15], null, 0x7d, s3, v[11:12]
	v_mov_b32_e32 v12, v2
	v_mov_b32_e32 v15, v2
	s_delay_alu instid0(VALU_DEP_3) | instskip(SKIP_1) | instid1(VALU_DEP_2)
	v_add_nc_u32_e32 v5, s2, v14
	v_lshlrev_b64 v[9:10], 2, v[9:10]
	v_add_nc_u32_e32 v11, s4, v5
	s_delay_alu instid0(VALU_DEP_1) | instskip(NEXT) | instid1(VALU_DEP_1)
	v_mad_u64_u32 v[16:17], null, 0xffffff6c, s3, v[11:12]
	v_dual_mov_b32 v6, v2 :: v_dual_add_nc_u32 v17, s13, v16
	s_delay_alu instid0(VALU_DEP_1) | instskip(NEXT) | instid1(VALU_DEP_2)
	v_lshlrev_b64 v[18:19], 2, v[17:18]
	v_lshlrev_b64 v[5:6], 2, v[5:6]
	s_delay_alu instid0(VALU_DEP_1) | instskip(NEXT) | instid1(VALU_DEP_2)
	v_add_co_u32 v5, vcc_lo, s10, v5
	v_add_co_ci_u32_e32 v6, vcc_lo, s11, v6, vcc_lo
	v_add_co_u32 v7, vcc_lo, s10, v7
	v_add_co_ci_u32_e32 v8, vcc_lo, s11, v8, vcc_lo
	global_load_b32 v45, v[5:6], off
	v_dual_mov_b32 v6, v2 :: v_dual_add_nc_u32 v5, s4, v17
	v_add_co_u32 v9, vcc_lo, s10, v9
	v_add_co_ci_u32_e32 v10, vcc_lo, s11, v10, vcc_lo
	s_delay_alu instid0(VALU_DEP_3)
	v_mad_u64_u32 v[20:21], null, 0xffffff75, s3, v[5:6]
	v_add_co_u32 v17, vcc_lo, s10, v18
	v_add_co_ci_u32_e32 v18, vcc_lo, s11, v19, vcc_lo
	s_clause 0x1
	global_load_b32 v0, v[7:8], off
	global_load_b32 v48, v[9:10], off
	v_dual_mov_b32 v8, v2 :: v_dual_add_nc_u32 v7, s13, v20
	s_mul_i32 s13, s3, 0x87
	v_mov_b32_e32 v21, v2
	global_load_b32 v36, v[17:18], off
	v_lshlrev_b64 v[11:12], 2, v[11:12]
	v_lshlrev_b64 v[17:18], 2, v[20:21]
	v_mad_u64_u32 v[19:20], null, 0x89, s3, v[7:8]
	v_mov_b32_e32 v20, v2
	s_delay_alu instid0(VALU_DEP_3) | instskip(NEXT) | instid1(VALU_DEP_4)
	v_add_co_u32 v17, vcc_lo, s10, v17
	v_add_co_ci_u32_e32 v18, vcc_lo, s11, v18, vcc_lo
	s_delay_alu instid0(VALU_DEP_3) | instskip(SKIP_4) | instid1(VALU_DEP_2)
	v_mad_u64_u32 v[21:22], null, 0xffffff7c, s3, v[19:20]
	v_lshlrev_b64 v[22:23], 2, v[1:2]
	v_add_nc_u32_e32 v1, s12, v1
	s_mul_i32 s12, s3, 0x88
	v_lshlrev_b64 v[50:51], 2, v[5:6]
	v_mad_u64_u32 v[31:32], null, 0x85, s3, v[1:2]
	s_waitcnt vmcnt(6)
	v_dual_mov_b32 v32, v2 :: v_dual_mul_f32 v25, s0, v25
	s_delay_alu instid0(VALU_DEP_1)
	v_dual_mov_b32 v9, v2 :: v_dual_mul_f32 v62, 0x4c9e9632, v25
	s_waitcnt vmcnt(4)
	v_mul_f32_e32 v88, v35, v29
	v_lshlrev_b64 v[27:28], 2, v[14:15]
	v_lshlrev_b64 v[13:14], 2, v[1:2]
	v_add_nc_u32_e32 v1, s1, v31
	v_lshlrev_b64 v[7:8], 2, v[7:8]
	v_div_scale_f32 v90, null, v88, v88, 1.0
	s_delay_alu instid0(VALU_DEP_2) | instskip(NEXT) | instid1(VALU_DEP_3)
	v_add_co_u32 v7, vcc_lo, s10, v7
	v_add_co_ci_u32_e32 v8, vcc_lo, s11, v8, vcc_lo
	s_clause 0x1
	global_load_b32 v44, v[17:18], off
	global_load_b32 v39, v[7:8], off
	v_subrev_nc_u32_e32 v8, s5, v21
	v_add_co_u32 v3, vcc_lo, s10, v3
	v_add_co_ci_u32_e32 v4, vcc_lo, s11, v4, vcc_lo
	s_delay_alu instid0(VALU_DEP_3) | instskip(SKIP_3) | instid1(VALU_DEP_4)
	v_lshlrev_b64 v[9:10], 2, v[8:9]
	v_add_co_u32 v17, vcc_lo, s6, v27
	v_add_co_ci_u32_e32 v18, vcc_lo, s7, v28, vcc_lo
	v_mov_b32_e32 v7, v2
	v_add_co_u32 v9, vcc_lo, s10, v9
	v_add_co_ci_u32_e32 v10, vcc_lo, s11, v10, vcc_lo
	global_load_b32 v30, v[17:18], off
	s_clause 0x1
	global_load_b32 v41, v[3:4], off
	global_load_b32 v43, v[9:10], off
	v_add_co_u32 v3, vcc_lo, s10, v22
	v_add_co_ci_u32_e32 v4, vcc_lo, s11, v23, vcc_lo
	v_add_co_u32 v9, vcc_lo, s6, v11
	v_mov_b32_e32 v17, v2
	v_add_co_ci_u32_e32 v10, vcc_lo, s7, v12, vcc_lo
	v_add_co_u32 v13, vcc_lo, s10, v13
	v_mov_b32_e32 v22, v2
	v_add_co_ci_u32_e32 v14, vcc_lo, s11, v14, vcc_lo
	v_lshlrev_b64 v[15:16], 2, v[16:17]
	global_load_b32 v53, v[9:10], off
	s_clause 0x1
	global_load_b32 v40, v[3:4], off
	global_load_b32 v37, v[13:14], off
	v_lshlrev_b64 v[3:4], 2, v[21:22]
	v_lshlrev_b64 v[17:18], 2, v[31:32]
	v_rcp_f32_e32 v91, v90
	v_add_co_u32 v9, vcc_lo, s10, v15
	v_add_co_ci_u32_e32 v10, vcc_lo, s11, v16, vcc_lo
	s_delay_alu instid0(VALU_DEP_4)
	v_add_co_u32 v3, vcc_lo, s10, v3
	v_add_co_ci_u32_e32 v4, vcc_lo, s11, v4, vcc_lo
	s_clause 0x1
	global_load_b32 v38, v[9:10], off
	global_load_b32 v42, v[3:4], off
	v_lshlrev_b64 v[9:10], 2, v[1:2]
	v_add_nc_u32_e32 v1, s12, v1
	s_delay_alu instid0(VALU_DEP_1) | instskip(SKIP_1) | instid1(VALU_DEP_4)
	v_lshlrev_b64 v[13:14], 2, v[1:2]
	v_add_nc_u32_e32 v1, s3, v1
	v_add_co_u32 v9, vcc_lo, s10, v9
	v_add_co_ci_u32_e32 v10, vcc_lo, s11, v10, vcc_lo
	s_delay_alu instid0(VALU_DEP_3)
	v_mad_u64_u32 v[15:16], null, 0xffffff6e, s3, v[1:2]
	v_add_co_u32 v3, vcc_lo, s6, v17
	v_add_co_ci_u32_e32 v4, vcc_lo, s7, v18, vcc_lo
	global_load_b32 v46, v[9:10], off
	v_lshlrev_b64 v[9:10], 2, v[1:2]
	v_lshl_add_u32 v1, s3, 2, v15
	global_load_b32 v54, v[3:4], off
	v_add_co_u32 v3, vcc_lo, s6, v13
	v_add_co_ci_u32_e32 v4, vcc_lo, s7, v14, vcc_lo
	v_mad_u64_u32 v[23:24], null, 0x8f, s3, v[1:2]
	v_add_co_u32 v21, vcc_lo, s6, v9
	v_mov_b32_e32 v24, v2
	v_add_co_ci_u32_e32 v22, vcc_lo, s7, v10, vcc_lo
	s_clause 0x1
	global_load_b32 v55, v[3:4], off
	global_load_b32 v52, v[21:22], off
	v_mad_u64_u32 v[21:22], null, 0xffffff6b, s3, v[23:24]
	v_mov_b32_e32 v22, v2
	v_lshlrev_b64 v[3:4], 2, v[1:2]
	v_add_co_u32 v27, vcc_lo, s8, v27
	v_add_co_ci_u32_e32 v28, vcc_lo, s9, v28, vcc_lo
	s_delay_alu instid0(VALU_DEP_4) | instskip(SKIP_1) | instid1(VALU_DEP_2)
	v_mad_u64_u32 v[58:59], null, 0x96, s3, v[21:22]
	v_mov_b32_e32 v59, v2
	v_dual_mov_b32 v16, v2 :: v_dual_add_nc_u32 v1, s3, v58
	s_delay_alu instid0(VALU_DEP_1) | instskip(NEXT) | instid1(VALU_DEP_1)
	v_lshlrev_b64 v[15:16], 2, v[15:16]
	v_add_co_u32 v31, vcc_lo, s10, v15
	s_delay_alu instid0(VALU_DEP_2)
	v_add_co_ci_u32_e32 v32, vcc_lo, s11, v16, vcc_lo
	v_add_co_u32 v3, vcc_lo, s10, v3
	v_lshlrev_b64 v[15:16], 2, v[23:24]
	v_lshlrev_b64 v[23:24], 2, v[19:20]
	v_add_co_ci_u32_e32 v4, vcc_lo, s11, v4, vcc_lo
	v_add_co_u32 v5, vcc_lo, s6, v50
	v_add_co_ci_u32_e32 v6, vcc_lo, s7, v51, vcc_lo
	s_delay_alu instid0(VALU_DEP_4)
	v_add_co_u32 v19, vcc_lo, s6, v23
	v_add_co_ci_u32_e32 v20, vcc_lo, s7, v24, vcc_lo
	s_clause 0x1
	global_load_b32 v47, v[31:32], off
	global_load_b32 v49, v[3:4], off
	;; [unrolled: 1-line block ×3, first 2 shown]
	v_lshlrev_b64 v[3:4], 2, v[1:2]
	global_load_b32 v68, v[19:20], off
	v_add_nc_u32_e32 v6, s13, v8
	v_add_co_u32 v5, vcc_lo, s6, v15
	v_add_nc_u32_e32 v1, s3, v1
	v_lshlrev_b64 v[19:20], 2, v[58:59]
	s_delay_alu instid0(VALU_DEP_4) | instskip(SKIP_1) | instid1(VALU_DEP_4)
	v_lshlrev_b64 v[60:61], 2, v[6:7]
	v_add_co_ci_u32_e32 v6, vcc_lo, s7, v16, vcc_lo
	v_mad_u64_u32 v[64:65], null, 0xffffff7a, s3, v[1:2]
	v_mov_b32_e32 v65, v2
	s_delay_alu instid0(VALU_DEP_4)
	v_add_co_u32 v7, vcc_lo, s6, v60
	v_add_co_ci_u32_e32 v8, vcc_lo, s7, v61, vcc_lo
	global_load_b32 v57, v[5:6], off
	v_add_co_u32 v33, vcc_lo, s8, v11
	global_load_b32 v69, v[7:8], off
	v_lshlrev_b64 v[7:8], 2, v[21:22]
	v_add_co_ci_u32_e32 v34, vcc_lo, s9, v12, vcc_lo
	v_lshlrev_b64 v[5:6], 2, v[1:2]
	v_add_nc_u32_e32 v1, s13, v64
	v_lshlrev_b64 v[64:65], 2, v[64:65]
	v_add_co_u32 v11, vcc_lo, s10, v7
	v_add_co_ci_u32_e32 v12, vcc_lo, s11, v8, vcc_lo
	v_add_co_u32 v31, vcc_lo, s8, v50
	v_lshlrev_b64 v[7:8], 2, v[1:2]
	global_load_b32 v50, v[11:12], off
	v_add_nc_u32_e32 v1, s3, v1
	v_add_co_ci_u32_e32 v32, vcc_lo, s9, v51, vcc_lo
	v_add_co_u32 v58, vcc_lo, s6, v19
	s_delay_alu instid0(VALU_DEP_3) | instskip(SKIP_3) | instid1(VALU_DEP_3)
	v_lshlrev_b64 v[11:12], 2, v[1:2]
	v_add_nc_u32_e32 v1, s1, v1
	v_add_co_ci_u32_e32 v59, vcc_lo, s7, v20, vcc_lo
	v_add_co_u32 v70, vcc_lo, s6, v3
	v_lshlrev_b64 v[66:67], 2, v[1:2]
	v_add_nc_u32_e32 v1, s12, v1
	v_add_co_ci_u32_e32 v71, vcc_lo, s7, v4, vcc_lo
	s_delay_alu instid0(VALU_DEP_2)
	v_mad_u64_u32 v[72:73], null, 0xffffff66, s3, v[1:2]
	v_add_co_u32 v73, vcc_lo, s6, v5
	v_add_co_ci_u32_e32 v74, vcc_lo, s7, v6, vcc_lo
	v_add_co_u32 v75, vcc_lo, s8, v23
	v_add_co_ci_u32_e32 v76, vcc_lo, s9, v24, vcc_lo
	v_lshlrev_b64 v[21:22], 2, v[1:2]
	v_add_nc_u32_e32 v1, s5, v72
	v_add_co_u32 v23, vcc_lo, s10, v64
	v_add_co_ci_u32_e32 v24, vcc_lo, s11, v65, vcc_lo
	v_add_co_u32 v64, vcc_lo, s6, v7
	s_delay_alu instid0(VALU_DEP_4)
	v_mad_u64_u32 v[77:78], null, 0x99, s3, v[1:2]
	v_add_co_ci_u32_e32 v65, vcc_lo, s7, v8, vcc_lo
	v_add_co_u32 v78, vcc_lo, s6, v11
	v_add_co_ci_u32_e32 v79, vcc_lo, s7, v12, vcc_lo
	s_clause 0x2
	global_load_b32 v59, v[58:59], off
	global_load_b32 v58, v[70:71], off
	;; [unrolled: 1-line block ×4, first 2 shown]
	v_add_co_u32 v80, vcc_lo, s8, v60
	v_div_scale_f32 v74, null, v62, v62, 1.0
	v_add_co_ci_u32_e32 v81, vcc_lo, s9, v61, vcc_lo
	v_add_co_u32 v25, vcc_lo, s10, v66
	v_add_co_ci_u32_e32 v26, vcc_lo, s11, v67, vcc_lo
	s_delay_alu instid0(VALU_DEP_4)
	v_rcp_f32_e32 v67, v74
	v_mov_b32_e32 v73, v2
	v_lshlrev_b64 v[70:71], 2, v[1:2]
	v_add_nc_u32_e32 v1, s3, v77
	s_clause 0x1
	global_load_b32 v61, v[64:65], off
	global_load_b32 v60, v[78:79], off
	;; [unrolled: 1-line block ×3, first 2 shown]
	v_lshlrev_b64 v[72:73], 2, v[72:73]
	v_lshlrev_b64 v[23:24], 2, v[1:2]
	v_add_nc_u32_e32 v1, s3, v1
	v_fma_f32 v64, -v74, v67, 1.0
	v_add_co_u32 v70, s0, s10, v70
	v_add_co_u32 v72, vcc_lo, s10, v72
	v_add_co_ci_u32_e32 v73, vcc_lo, s11, v73, vcc_lo
	v_div_scale_f32 v87, vcc_lo, 1.0, v62, 1.0
	v_fmac_f32_e32 v67, v64, v67
	v_mad_u64_u32 v[82:83], null, 0xffffff77, s3, v[1:2]
	v_mov_b32_e32 v83, v2
	v_add_co_ci_u32_e64 v71, s0, s11, v71, s0
	s_delay_alu instid0(VALU_DEP_4) | instskip(NEXT) | instid1(VALU_DEP_3)
	v_mul_f32_e32 v89, v87, v67
	v_mad_u64_u32 v[84:85], null, 0x8a, s3, v[82:83]
	s_delay_alu instid0(VALU_DEP_2) | instskip(SKIP_1) | instid1(VALU_DEP_2)
	v_fma_f32 v85, -v74, v89, v87
	v_lshlrev_b64 v[64:65], 2, v[82:83]
	v_fmac_f32_e32 v89, v85, v67
	s_delay_alu instid0(VALU_DEP_2) | instskip(NEXT) | instid1(VALU_DEP_1)
	v_add_co_u32 v82, s0, s10, v64
	v_add_co_ci_u32_e64 v83, s0, s11, v65, s0
	s_delay_alu instid0(VALU_DEP_3) | instskip(NEXT) | instid1(VALU_DEP_1)
	v_fma_f32 v74, -v74, v89, v87
	v_div_fmas_f32 v74, v74, v67, v89
	global_load_b32 v67, v[70:71], off
	v_lshlrev_b64 v[25:26], 2, v[1:2]
	v_add_nc_u32_e32 v1, s2, v84
	v_div_scale_f32 v87, vcc_lo, 1.0, v88, 1.0
	s_waitcnt vmcnt(29)
	v_mul_f32_e32 v71, v29, v36
	v_div_fixup_f32 v62, v74, v62, 1.0
	v_lshlrev_b64 v[78:79], 2, v[1:2]
	s_delay_alu instid0(VALU_DEP_2) | instskip(NEXT) | instid1(VALU_DEP_2)
	v_mul_f32_e32 v62, 0x49776020, v62
	v_add_co_u32 v85, s0, s10, v78
	s_delay_alu instid0(VALU_DEP_1) | instskip(SKIP_3) | instid1(VALU_DEP_1)
	v_add_co_ci_u32_e64 v86, s0, s11, v79, s0
	v_fma_f32 v78, -v90, v91, 1.0
	v_mul_f32_e32 v79, v29, v45
	v_add_co_u32 v64, s0, s6, v21
	v_add_co_ci_u32_e64 v65, s0, s7, v22, s0
	s_delay_alu instid0(VALU_DEP_4) | instskip(NEXT) | instid1(VALU_DEP_4)
	v_fmac_f32_e32 v91, v78, v91
	v_div_scale_f32 v89, null, v79, v79, 1.0
	global_load_b32 v64, v[64:65], off
	global_load_b32 v65, v[72:73], off
	v_mul_f32_e32 v78, v87, v91
	v_rcp_f32_e32 v72, v89
	v_div_scale_f32 v29, s0, 1.0, v79, 1.0
	v_div_scale_f32 v73, null, v71, v71, 1.0
	s_delay_alu instid0(VALU_DEP_3) | instskip(NEXT) | instid1(VALU_DEP_1)
	v_fma_f32 v70, -v90, v78, v87
	v_fmac_f32_e32 v78, v70, v91
	s_waitcnt_depctr 0xfff
	v_fma_f32 v70, -v89, v72, 1.0
	s_delay_alu instid0(VALU_DEP_1) | instskip(SKIP_2) | instid1(VALU_DEP_2)
	v_fmac_f32_e32 v72, v70, v72
	v_fma_f32 v70, -v90, v78, v87
	v_rcp_f32_e32 v90, v73
	v_mul_f32_e32 v87, v29, v72
	s_delay_alu instid0(VALU_DEP_2) | instskip(SKIP_2) | instid1(VALU_DEP_3)
	v_div_fmas_f32 v70, v70, v91, v78
	s_mov_b32 vcc_lo, s0
	v_mov_b32_e32 v78, v2
	v_fma_f32 v74, -v89, v87, v29
	s_delay_alu instid0(VALU_DEP_3) | instskip(SKIP_2) | instid1(VALU_DEP_3)
	v_div_fixup_f32 v70, v70, v88, 1.0
	s_waitcnt vmcnt(30)
	v_mul_f32_e32 v88, v35, v44
	v_fmac_f32_e32 v87, v74, v72
	v_fma_f32 v74, -v73, v90, 1.0
	s_waitcnt vmcnt(29)
	s_delay_alu instid0(VALU_DEP_3) | instskip(NEXT) | instid1(VALU_DEP_3)
	v_mul_f32_e32 v88, v88, v39
	v_fma_f32 v29, -v89, v87, v29
	s_delay_alu instid0(VALU_DEP_3) | instskip(SKIP_1) | instid1(VALU_DEP_4)
	v_fmac_f32_e32 v90, v74, v90
	v_mul_f32_e32 v74, v0, v48
	v_dual_mul_f32 v88, v62, v88 :: v_dual_mul_f32 v89, v48, v35
	s_delay_alu instid0(VALU_DEP_4) | instskip(SKIP_1) | instid1(VALU_DEP_3)
	v_div_fmas_f32 v29, v29, v72, v87
	s_waitcnt vmcnt(26)
	v_dual_mul_f32 v91, v41, v43 :: v_dual_mul_f32 v70, v74, v70
	v_div_scale_f32 v74, s1, 1.0, v71, 1.0
	v_div_scale_f32 v87, null, v88, v88, 1.0
	s_delay_alu instid0(VALU_DEP_3) | instskip(NEXT) | instid1(VALU_DEP_3)
	v_min_f32_e32 v70, 0x7cf0bdc2, v70
	v_dual_mul_f32 v72, v74, v90 :: v_dual_add_nc_u32 v1, s4, v1
	s_delay_alu instid0(VALU_DEP_2) | instskip(NEXT) | instid1(VALU_DEP_2)
	v_mul_f32_e32 v70, v30, v70
	v_fma_f32 v92, -v73, v72, v74
	global_store_b32 v[27:28], v70, off
	v_fmac_f32_e32 v72, v92, v90
	s_delay_alu instid0(VALU_DEP_1)
	v_fma_f32 v73, -v73, v72, v74
	s_waitcnt vmcnt(22)
	v_mul_f32_e32 v48, v48, v38
	v_div_fixup_f32 v79, v29, v79, 1.0
	v_lshlrev_b64 v[29:30], 2, v[77:78]
	v_rcp_f32_e32 v78, v87
	s_delay_alu instid0(VALU_DEP_2) | instskip(SKIP_2) | instid1(VALU_DEP_4)
	v_mul_f32_e32 v77, v89, v79
	v_mul_f32_e32 v79, v62, v91
	v_div_scale_f32 v91, s0, 1.0, v88, 1.0
	v_add_co_u32 v27, vcc_lo, s6, v29
	s_delay_alu instid0(VALU_DEP_4) | instskip(NEXT) | instid1(VALU_DEP_4)
	v_min_f32_e32 v70, 0x7cf0bdc2, v77
	v_div_scale_f32 v77, null, v79, v79, 1.0
	s_delay_alu instid0(TRANS32_DEP_1) | instskip(SKIP_1) | instid1(VALU_DEP_3)
	v_fma_f32 v89, -v87, v78, 1.0
	v_add_co_ci_u32_e32 v28, vcc_lo, s7, v30, vcc_lo
	v_rcp_f32_e32 v74, v77
	v_mul_f32_e32 v53, v53, v70
	s_delay_alu instid0(VALU_DEP_3)
	v_fmac_f32_e32 v78, v89, v78
	s_mov_b32 vcc_lo, s1
	global_load_b32 v70, v[27:28], off
	v_div_fmas_f32 v72, v73, v90, v72
	global_store_b32 v[33:34], v53, off
	v_mul_f32_e32 v93, v91, v78
	v_div_scale_f32 v89, null, v37, v37, 1.0
	v_fma_f32 v33, -v77, v74, 1.0
	s_delay_alu instid0(VALU_DEP_3) | instskip(NEXT) | instid1(VALU_DEP_3)
	v_fma_f32 v53, -v87, v93, v91
	v_rcp_f32_e32 v73, v89
	s_delay_alu instid0(VALU_DEP_2)
	v_fmac_f32_e32 v74, v33, v74
	v_add_co_u32 v33, vcc_lo, s6, v23
	v_add_co_ci_u32_e32 v34, vcc_lo, s7, v24, vcc_lo
	v_fmac_f32_e32 v93, v53, v78
	s_mov_b32 vcc_lo, s0
	v_div_scale_f32 v90, s0, 1.0, v37, 1.0
	global_load_b32 v53, v[33:34], off
	v_fma_f32 v28, -v87, v93, v91
	v_fma_f32 v34, -v89, v73, 1.0
	s_delay_alu instid0(VALU_DEP_2) | instskip(NEXT) | instid1(VALU_DEP_2)
	v_div_fmas_f32 v28, v28, v78, v93
	v_fmac_f32_e32 v73, v34, v73
	global_load_b32 v34, v[82:83], off
	v_div_fixup_f32 v28, v28, v88, 1.0
	s_delay_alu instid0(VALU_DEP_1) | instskip(NEXT) | instid1(VALU_DEP_1)
	v_mul_f32_e32 v28, v48, v28
	v_min_f32_e32 v28, 0x7cf0bdc2, v28
	v_div_scale_f32 v92, s2, 1.0, v79, 1.0
	s_waitcnt vmcnt(23)
	v_mul_f32_e32 v87, v35, v46
	s_mov_b32 vcc_lo, s2
	s_delay_alu instid0(VALU_DEP_2) | instskip(NEXT) | instid1(VALU_DEP_1)
	v_mul_f32_e32 v27, v92, v74
	v_fma_f32 v33, -v77, v27, v92
	s_delay_alu instid0(VALU_DEP_1) | instskip(NEXT) | instid1(VALU_DEP_1)
	v_fmac_f32_e32 v27, v33, v74
	v_fma_f32 v33, -v77, v27, v92
	s_waitcnt vmcnt(18)
	v_mul_f32_e32 v88, v47, v49
	s_waitcnt vmcnt(16)
	v_mul_f32_e32 v28, v68, v28
	v_div_scale_f32 v78, null, v87, v87, 1.0
	v_div_fmas_f32 v27, v33, v74, v27
	v_mul_f32_e32 v74, v90, v73
	global_load_b32 v33, v[85:86], off
	v_rcp_f32_e32 v77, v78
	s_mov_b32 vcc_lo, s0
	v_div_fixup_f32 v27, v27, v79, 1.0
	v_fma_f32 v82, -v89, v74, v90
	v_div_fixup_f32 v71, v72, v71, 1.0
	v_div_scale_f32 v72, s2, 1.0, v87, 1.0
	s_delay_alu instid0(VALU_DEP_4) | instskip(NEXT) | instid1(VALU_DEP_4)
	v_mul_f32_e32 v27, v42, v27
	v_fmac_f32_e32 v74, v82, v73
	s_delay_alu instid0(TRANS32_DEP_1) | instskip(NEXT) | instid1(VALU_DEP_3)
	v_fma_f32 v82, -v78, v77, 1.0
	v_min_f32_e32 v27, 0x7cf0bdc2, v27
	s_delay_alu instid0(VALU_DEP_3) | instskip(NEXT) | instid1(VALU_DEP_3)
	v_fma_f32 v85, -v89, v74, v90
	v_fmac_f32_e32 v77, v82, v77
	v_mul_f32_e32 v91, v41, v46
	s_waitcnt vmcnt(15)
	v_mul_f32_e32 v27, v69, v27
	v_div_fmas_f32 v73, v85, v73, v74
	v_mul_f32_e32 v85, v42, v40
	v_div_scale_f32 v69, s0, 1.0, v88, 1.0
	v_div_scale_f32 v92, null, v91, v91, 1.0
	v_mul_f32_e32 v71, v48, v71
	v_div_fixup_f32 v48, v73, v37, 1.0
	v_div_scale_f32 v73, null, v88, v88, 1.0
	s_delay_alu instid0(VALU_DEP_4) | instskip(SKIP_2) | instid1(VALU_DEP_1)
	v_rcp_f32_e32 v83, v92
	s_waitcnt vmcnt(14)
	v_dual_mul_f32 v68, v39, v50 :: v_dual_min_f32 v71, 0x7cf0bdc2, v71
	v_mul_f32_e32 v63, v63, v71
	s_waitcnt_depctr 0xfff
	v_fma_f32 v82, -v92, v83, 1.0
	global_store_b32 v[31:32], v63, off
	v_fmac_f32_e32 v83, v82, v83
	v_div_scale_f32 v82, s1, 1.0, v91, 1.0
	s_delay_alu instid0(VALU_DEP_1) | instskip(NEXT) | instid1(VALU_DEP_1)
	s_mov_b32 vcc_lo, s1
	v_mul_f32_e32 v86, v82, v83
	s_delay_alu instid0(VALU_DEP_1) | instskip(NEXT) | instid1(VALU_DEP_1)
	v_fma_f32 v74, -v92, v86, v82
	v_fmac_f32_e32 v86, v74, v83
	v_mul_f32_e32 v74, v62, v85
	s_delay_alu instid0(VALU_DEP_2) | instskip(NEXT) | instid1(VALU_DEP_2)
	v_fma_f32 v71, -v92, v86, v82
	v_mul_f32_e32 v48, v48, v74
	s_delay_alu instid0(VALU_DEP_2) | instskip(NEXT) | instid1(VALU_DEP_2)
	v_div_fmas_f32 v71, v71, v83, v86
	v_min_f32_e32 v48, 0x7cf0bdc2, v48
	v_add_co_u32 v17, vcc_lo, s8, v17
	v_add_co_ci_u32_e32 v18, vcc_lo, s9, v18, vcc_lo
	s_delay_alu instid0(VALU_DEP_3)
	v_mul_f32_e32 v32, v54, v48
	v_mul_f32_e32 v54, v72, v77
	s_clause 0x2
	global_store_b32 v[75:76], v28, off
	global_store_b32 v[80:81], v27, off
	;; [unrolled: 1-line block ×3, first 2 shown]
	v_rcp_f32_e32 v48, v73
	v_add_co_u32 v17, vcc_lo, s6, v25
	v_fma_f32 v28, -v78, v54, v72
	v_add_co_ci_u32_e32 v18, vcc_lo, s7, v26, vcc_lo
	s_delay_alu instid0(VALU_DEP_2)
	v_fmac_f32_e32 v54, v28, v77
	v_div_fixup_f32 v31, v71, v91, 1.0
	v_div_scale_f32 v71, null, v68, v68, 1.0
	global_load_b32 v32, v[17:18], off
	v_mul_f32_e32 v31, v85, v31
	v_mov_b32_e32 v85, v2
	v_rcp_f32_e32 v74, v71
	s_delay_alu instid0(VALU_DEP_2) | instskip(NEXT) | instid1(VALU_DEP_2)
	v_min_f32_e32 v27, 0x7cf0bdc2, v31
	v_lshlrev_b64 v[17:18], 2, v[84:85]
	v_fma_f32 v31, -v73, v48, 1.0
	s_delay_alu instid0(VALU_DEP_3) | instskip(SKIP_2) | instid1(VALU_DEP_4)
	v_mul_f32_e32 v63, v55, v27
	v_add_co_u32 v27, vcc_lo, s8, v13
	v_add_co_ci_u32_e32 v28, vcc_lo, s9, v14, vcc_lo
	v_fmac_f32_e32 v48, v31, v48
	v_add_co_u32 v13, vcc_lo, s6, v17
	v_fma_f32 v31, -v78, v54, v72
	v_add_co_ci_u32_e32 v14, vcc_lo, s7, v18, vcc_lo
	s_delay_alu instid0(VALU_DEP_4)
	v_mul_f32_e32 v72, v69, v48
	s_mov_b32 vcc_lo, s2
	v_div_scale_f32 v78, s1, 1.0, v68, 1.0
	v_div_fmas_f32 v54, v31, v77, v54
	global_load_b32 v31, v[13:14], off
	v_fma_f32 v13, -v71, v74, 1.0
	v_fma_f32 v55, -v73, v72, v69
	v_mul_f32_e32 v77, v45, v46
	v_div_fixup_f32 v76, v54, v87, 1.0
	s_delay_alu instid0(VALU_DEP_4) | instskip(SKIP_4) | instid1(VALU_DEP_4)
	v_fmac_f32_e32 v74, v13, v74
	v_lshlrev_b64 v[13:14], 2, v[1:2]
	v_fmac_f32_e32 v72, v55, v48
	v_div_scale_f32 v79, null, v77, v77, 1.0
	v_add_nc_u32_e32 v1, s3, v1
	v_add_co_u32 v54, vcc_lo, s6, v13
	v_add_co_ci_u32_e32 v55, vcc_lo, s7, v14, vcc_lo
	v_fma_f32 v69, -v73, v72, v69
	v_mul_f32_e32 v73, v78, v74
	v_rcp_f32_e32 v80, v79
	global_load_b32 v45, v[54:55], off
	s_mov_b32 vcc_lo, s0
	v_fma_f32 v54, -v71, v73, v78
	v_div_fmas_f32 v48, v69, v48, v72
	v_div_scale_f32 v69, s0, 1.0, v77, 1.0
	s_delay_alu instid0(VALU_DEP_3) | instskip(SKIP_1) | instid1(VALU_DEP_4)
	v_fmac_f32_e32 v73, v54, v74
	v_fma_f32 v54, -v79, v80, 1.0
	v_div_fixup_f32 v48, v48, v88, 1.0
	s_delay_alu instid0(VALU_DEP_2) | instskip(SKIP_1) | instid1(VALU_DEP_2)
	v_dual_fmac_f32 v80, v54, v80 :: v_dual_mul_f32 v75, v0, v42
	v_mul_f32_e32 v0, v0, v37
	v_mul_f32_e32 v48, v75, v48
	;; [unrolled: 1-line block ×3, first 2 shown]
	s_delay_alu instid0(VALU_DEP_2) | instskip(NEXT) | instid1(VALU_DEP_1)
	v_min_f32_e32 v48, 0x7cf0bdc2, v48
	v_mul_f32_e32 v48, v57, v48
	global_store_b32 v[27:28], v63, off
	v_fma_f32 v63, -v71, v73, v78
	v_mul_f32_e32 v78, v36, v46
	v_lshlrev_b64 v[27:28], 2, v[1:2]
	s_delay_alu instid0(VALU_DEP_2) | instskip(NEXT) | instid1(VALU_DEP_2)
	v_div_scale_f32 v81, null, v78, v78, 1.0
	v_add_co_u32 v54, vcc_lo, s6, v27
	s_delay_alu instid0(VALU_DEP_2) | instskip(SKIP_2) | instid1(VALU_DEP_1)
	v_rcp_f32_e32 v57, v81
	s_waitcnt_depctr 0xfff
	v_fma_f32 v72, -v81, v57, 1.0
	v_fmac_f32_e32 v57, v72, v57
	v_min_f32_e32 v55, 0x7cf0bdc2, v76
	s_delay_alu instid0(VALU_DEP_1)
	v_mul_f32_e32 v52, v52, v55
	v_add_co_ci_u32_e32 v55, vcc_lo, s7, v28, vcc_lo
	s_mov_b32 vcc_lo, s1
	v_div_fmas_f32 v63, v63, v74, v73
	global_load_b32 v76, v[54:55], off
	v_mul_f32_e32 v54, v69, v80
	v_add_co_u32 v9, vcc_lo, s8, v9
	v_div_fixup_f32 v55, v63, v68, 1.0
	v_add_co_ci_u32_e32 v10, vcc_lo, s9, v10, vcc_lo
	s_delay_alu instid0(VALU_DEP_4)
	v_fma_f32 v63, -v79, v54, v69
	global_store_b32 v[9:10], v52, off
	v_add_co_u32 v9, vcc_lo, s8, v15
	v_fmac_f32_e32 v54, v63, v80
	v_mul_f32_e32 v52, v75, v55
	v_add_co_ci_u32_e32 v10, vcc_lo, s9, v16, vcc_lo
	s_mov_b32 vcc_lo, s0
	s_delay_alu instid0(VALU_DEP_3)
	v_fma_f32 v55, -v79, v54, v69
	v_mul_f32_e32 v63, v35, v42
	s_waitcnt vmcnt(14)
	v_dual_mul_f32 v35, v35, v51 :: v_dual_min_f32 v52, 0x7cf0bdc2, v52
	global_store_b32 v[9:10], v48, off
	v_div_fmas_f32 v71, v55, v80, v54
	v_div_scale_f32 v82, null, v35, v35, 1.0
	v_mul_f32_e32 v52, v59, v52
	s_delay_alu instid0(VALU_DEP_3) | instskip(NEXT) | instid1(VALU_DEP_1)
	v_div_fixup_f32 v75, v71, v77, 1.0
	v_mul_f32_e32 v59, v63, v75
	s_delay_alu instid0(VALU_DEP_4) | instskip(NEXT) | instid1(VALU_DEP_1)
	v_rcp_f32_e32 v63, v82
	v_min_f32_e32 v59, 0x7cf0bdc2, v59
	s_delay_alu instid0(VALU_DEP_1) | instskip(SKIP_4) | instid1(VALU_DEP_3)
	v_dual_mul_f32 v10, v59, v58 :: v_dual_add_nc_u32 v1, s3, v1
	s_waitcnt_depctr 0xfff
	v_fma_f32 v9, -v82, v63, 1.0
	v_lshlrev_b64 v[15:16], 2, v[1:2]
	v_mul_f32_e32 v59, v38, v42
	v_fmac_f32_e32 v63, v9, v63
	v_add_nc_u32_e32 v1, s3, v1
	s_delay_alu instid0(VALU_DEP_4) | instskip(SKIP_1) | instid1(VALU_DEP_3)
	v_add_co_u32 v54, vcc_lo, s6, v15
	v_add_co_ci_u32_e32 v55, vcc_lo, s7, v16, vcc_lo
	v_lshlrev_b64 v[68:69], 2, v[1:2]
	v_add_nc_u32_e32 v1, s3, v1
	global_load_b32 v77, v[54:55], off
	v_add_co_u32 v71, vcc_lo, s6, v68
	v_add_co_ci_u32_e32 v72, vcc_lo, s7, v69, vcc_lo
	global_load_b32 v79, v[71:72], off
	v_lshlrev_b64 v[54:55], 2, v[1:2]
	v_add_nc_u32_e32 v1, s3, v1
	s_delay_alu instid0(VALU_DEP_1) | instskip(NEXT) | instid1(VALU_DEP_3)
	v_lshlrev_b64 v[1:2], 2, v[1:2]
	v_add_co_u32 v73, vcc_lo, s6, v54
	s_delay_alu instid0(VALU_DEP_4) | instskip(SKIP_1) | instid1(VALU_DEP_4)
	v_add_co_ci_u32_e32 v74, vcc_lo, s7, v55, vcc_lo
	v_div_scale_f32 v80, vcc_lo, 1.0, v78, 1.0
	v_add_co_u32 v71, s0, s6, v1
	global_load_b32 v73, v[73:74], off
	v_add_co_ci_u32_e64 v72, s0, s7, v2, s0
	v_add_co_u32 v19, s0, s8, v19
	s_delay_alu instid0(VALU_DEP_1)
	v_add_co_ci_u32_e64 v20, s0, s9, v20, s0
	global_load_b32 v71, v[71:72], off
	v_mul_f32_e32 v74, v80, v57
	v_div_scale_f32 v9, s0, 1.0, v35, 1.0
	global_store_b32 v[19:20], v52, off
	v_mul_f32_e32 v20, v44, v37
	v_fma_f32 v72, -v81, v74, v80
	v_mul_f32_e32 v48, v9, v63
	s_delay_alu instid0(VALU_DEP_3) | instskip(NEXT) | instid1(VALU_DEP_3)
	v_div_scale_f32 v44, null, v20, v20, 1.0
	v_fmac_f32_e32 v74, v72, v57
	s_delay_alu instid0(VALU_DEP_3) | instskip(NEXT) | instid1(VALU_DEP_3)
	v_fma_f32 v58, -v82, v48, v9
	v_rcp_f32_e32 v52, v44
	s_delay_alu instid0(VALU_DEP_2) | instskip(NEXT) | instid1(VALU_DEP_2)
	v_fma_f32 v19, -v81, v74, v80
	v_fmac_f32_e32 v48, v58, v63
	s_delay_alu instid0(VALU_DEP_2)
	v_div_fmas_f32 v19, v19, v57, v74
	v_add_co_u32 v3, vcc_lo, s8, v3
	v_add_co_ci_u32_e32 v4, vcc_lo, s9, v4, vcc_lo
	s_waitcnt_depctr 0xfff
	v_fma_f32 v58, -v44, v52, 1.0
	v_div_fixup_f32 v19, v19, v78, 1.0
	s_mov_b32 vcc_lo, s0
	global_store_b32 v[3:4], v10, off
	v_fma_f32 v4, -v82, v48, v9
	v_fmac_f32_e32 v52, v58, v52
	v_div_scale_f32 v9, s1, 1.0, v20, 1.0
	v_mul_f32_e32 v3, v59, v19
	s_delay_alu instid0(VALU_DEP_4) | instskip(NEXT) | instid1(VALU_DEP_3)
	v_div_fmas_f32 v4, v4, v63, v48
	v_dual_mul_f32 v58, v36, v42 :: v_dual_mul_f32 v19, v9, v52
	s_delay_alu instid0(VALU_DEP_3) | instskip(NEXT) | instid1(VALU_DEP_3)
	v_min_f32_e32 v3, 0x7cf0bdc2, v3
	v_div_fixup_f32 v4, v4, v35, 1.0
	s_delay_alu instid0(VALU_DEP_3) | instskip(NEXT) | instid1(VALU_DEP_3)
	v_fma_f32 v35, -v44, v19, v9
	v_mul_f32_e32 v56, v3, v56
	s_delay_alu instid0(VALU_DEP_3) | instskip(SKIP_1) | instid1(VALU_DEP_4)
	v_mul_f32_e32 v63, v58, v4
	v_add_co_u32 v3, vcc_lo, s8, v5
	v_fmac_f32_e32 v19, v35, v52
	v_add_co_ci_u32_e32 v4, vcc_lo, s9, v6, vcc_lo
	s_mov_b32 vcc_lo, s1
	v_min_f32_e32 v5, 0x7cf0bdc2, v63
	s_delay_alu instid0(VALU_DEP_3)
	v_fma_f32 v9, -v44, v19, v9
	s_waitcnt vmcnt(15)
	v_mul_f32_e32 v57, v40, v66
	global_store_b32 v[3:4], v56, off
	v_mul_f32_e32 v6, v42, v49
	v_div_fmas_f32 v9, v9, v52, v19
	s_delay_alu instid0(VALU_DEP_1) | instskip(SKIP_3) | instid1(VALU_DEP_1)
	v_div_fixup_f32 v9, v9, v20, 1.0
	v_mul_f32_e32 v20, v61, v5
	v_div_scale_f32 v66, null, v57, v57, 1.0
	v_div_scale_f32 v59, s0, 1.0, v57, 1.0
	s_mov_b32 vcc_lo, s0
	s_delay_alu instid0(VALU_DEP_2) | instskip(SKIP_1) | instid1(VALU_DEP_1)
	v_rcp_f32_e32 v10, v66
	v_mul_f32_e32 v4, v9, v6
	v_min_f32_e32 v9, 0x7cf0bdc2, v4
	s_waitcnt_depctr 0xfff
	v_fma_f32 v48, -v66, v10, 1.0
	s_delay_alu instid0(VALU_DEP_1) | instskip(NEXT) | instid1(VALU_DEP_1)
	v_fmac_f32_e32 v10, v48, v10
	v_mul_f32_e32 v72, v59, v10
	s_delay_alu instid0(VALU_DEP_1) | instskip(NEXT) | instid1(VALU_DEP_1)
	v_fma_f32 v44, -v66, v72, v59
	v_fmac_f32_e32 v72, v44, v10
	v_mul_f32_e32 v44, v42, v50
	s_delay_alu instid0(VALU_DEP_2) | instskip(NEXT) | instid1(VALU_DEP_1)
	v_fma_f32 v3, -v66, v72, v59
	v_div_fmas_f32 v3, v3, v10, v72
	s_waitcnt vmcnt(14)
	v_mul_f32_e32 v10, v46, v67
	s_delay_alu instid0(VALU_DEP_2) | instskip(SKIP_3) | instid1(VALU_DEP_4)
	v_div_fixup_f32 v46, v3, v57, 1.0
	v_mul_f32_e32 v43, v43, v67
	v_add_co_u32 v3, vcc_lo, s8, v7
	v_add_co_ci_u32_e32 v4, vcc_lo, s9, v8, vcc_lo
	v_mul_f32_e32 v8, v44, v46
	s_delay_alu instid0(VALU_DEP_4) | instskip(SKIP_2) | instid1(VALU_DEP_3)
	v_div_scale_f32 v48, null, v43, v43, 1.0
	v_div_scale_f32 v19, s1, 1.0, v43, 1.0
	v_mul_f32_e32 v7, v9, v60
	v_rcp_f32_e32 v35, v48
	s_mov_b32 vcc_lo, s1
	v_min_f32_e32 v8, 0x7cf0bdc2, v8
	s_waitcnt_depctr 0xfff
	v_fma_f32 v49, -v48, v35, 1.0
	s_delay_alu instid0(VALU_DEP_1) | instskip(SKIP_1) | instid1(VALU_DEP_2)
	v_fmac_f32_e32 v35, v49, v35
	v_div_scale_f32 v49, null, v10, v10, 1.0
	v_mul_f32_e32 v5, v19, v35
	s_delay_alu instid0(VALU_DEP_2) | instskip(NEXT) | instid1(VALU_DEP_1)
	v_rcp_f32_e32 v9, v49
	v_fma_f32 v6, -v48, v5, v19
	s_delay_alu instid0(VALU_DEP_1) | instskip(NEXT) | instid1(VALU_DEP_1)
	v_fmac_f32_e32 v5, v6, v35
	v_fma_f32 v6, -v48, v5, v19
	s_delay_alu instid0(VALU_DEP_1)
	v_div_fmas_f32 v19, v6, v35, v5
	v_add_co_u32 v5, vcc_lo, s8, v11
	v_add_co_ci_u32_e32 v6, vcc_lo, s9, v12, vcc_lo
	s_waitcnt vmcnt(12)
	v_mul_f32_e32 v11, v42, v65
	v_div_fixup_f32 v12, v19, v43, 1.0
	v_fma_f32 v19, -v49, v9, 1.0
	s_clause 0x1
	global_store_b32 v[3:4], v20, off
	global_store_b32 v[5:6], v7, off
	v_mul_f32_e32 v5, v64, v8
	v_div_scale_f32 v7, vcc_lo, 1.0, v10, 1.0
	v_mul_f32_e32 v6, v11, v12
	v_fmac_f32_e32 v9, v19, v9
	s_waitcnt vmcnt(9)
	v_div_scale_f32 v8, null, v34, v34, 1.0
	v_add_co_u32 v3, s0, s8, v21
	v_min_f32_e32 v6, 0x7cf0bdc2, v6
	v_mul_f32_e32 v12, v7, v9
	s_delay_alu instid0(VALU_DEP_4) | instskip(SKIP_1) | instid1(VALU_DEP_3)
	v_rcp_f32_e32 v19, v8
	v_add_co_ci_u32_e64 v4, s0, s9, v22, s0
	v_mul_f32_e32 v20, v70, v6
	s_delay_alu instid0(VALU_DEP_3)
	v_fma_f32 v6, -v49, v12, v7
	v_mul_f32_e32 v11, v46, v11
	s_waitcnt vmcnt(8)
	v_div_scale_f32 v21, null, v33, v33, 1.0
	global_store_b32 v[3:4], v5, off
	v_fmac_f32_e32 v12, v6, v9
	v_fma_f32 v6, -v8, v19, 1.0
	v_add_co_u32 v3, s0, s8, v29
	s_delay_alu instid0(VALU_DEP_1)
	v_add_co_ci_u32_e64 v4, s0, s9, v30, s0
	v_min_f32_e32 v5, 0x7cf0bdc2, v11
	v_fma_f32 v7, -v49, v12, v7
	v_fmac_f32_e32 v19, v6, v19
	v_div_scale_f32 v22, s0, 1.0, v34, 1.0
	v_rcp_f32_e32 v29, v21
	v_mul_f32_e32 v11, v5, v53
	v_add_co_u32 v5, s1, s8, v23
	s_delay_alu instid0(VALU_DEP_3) | instskip(SKIP_3) | instid1(VALU_DEP_4)
	v_mul_f32_e32 v23, v22, v19
	v_div_fmas_f32 v7, v7, v9, v12
	v_mul_f32_e32 v12, v42, v41
	v_add_co_ci_u32_e64 v6, s1, s9, v24, s1
	v_fma_f32 v24, -v8, v23, v22
	s_delay_alu instid0(TRANS32_DEP_1) | instskip(SKIP_2) | instid1(VALU_DEP_4)
	v_fma_f32 v30, -v21, v29, 1.0
	v_div_fixup_f32 v7, v7, v10, 1.0
	v_div_scale_f32 v10, null, v12, v12, 1.0
	v_fmac_f32_e32 v23, v24, v19
	s_delay_alu instid0(VALU_DEP_4) | instskip(SKIP_1) | instid1(VALU_DEP_4)
	v_fmac_f32_e32 v29, v30, v29
	v_div_scale_f32 v24, s1, 1.0, v33, 1.0
	v_rcp_f32_e32 v30, v10
	v_mul_f32_e32 v9, v42, v47
	s_clause 0x1
	global_store_b32 v[3:4], v20, off
	global_store_b32 v[5:6], v11, off
	v_mul_f32_e32 v4, v24, v29
	v_fma_f32 v3, -v8, v23, v22
	s_mov_b32 vcc_lo, s0
	v_mul_f32_e32 v5, v9, v7
	v_mul_f32_e32 v11, v39, v47
	v_fma_f32 v6, -v21, v4, v24
	v_div_fmas_f32 v3, v3, v19, v23
	v_fma_f32 v7, -v10, v30, 1.0
	v_min_f32_e32 v5, 0x7cf0bdc2, v5
	v_mul_f32_e32 v8, v62, v9
	v_fmac_f32_e32 v4, v6, v29
	v_div_scale_f32 v6, s0, 1.0, v12, 1.0
	s_waitcnt vmcnt(7)
	v_dual_fmac_f32 v30, v7, v30 :: v_dual_mul_f32 v7, v5, v32
	s_delay_alu instid0(VALU_DEP_3) | instskip(SKIP_1) | instid1(VALU_DEP_3)
	v_fma_f32 v5, -v21, v4, v24
	v_div_scale_f32 v19, null, v11, v11, 1.0
	v_mul_f32_e32 v9, v6, v30
	s_mov_b32 vcc_lo, s1
	v_div_fixup_f32 v3, v3, v34, 1.0
	v_div_fmas_f32 v4, v5, v29, v4
	v_rcp_f32_e32 v23, v19
	v_fma_f32 v5, -v10, v9, v6
	v_mul_f32_e32 v24, v40, v51
	v_mul_f32_e32 v3, v8, v3
	;; [unrolled: 1-line block ×3, first 2 shown]
	v_div_fixup_f32 v22, v4, v33, 1.0
	s_delay_alu instid0(VALU_DEP_3) | instskip(NEXT) | instid1(VALU_DEP_3)
	v_dual_fmac_f32 v9, v5, v30 :: v_dual_min_f32 v20, 0x7cf0bdc2, v3
	v_mul_f32_e32 v21, v62, v8
	v_add_co_u32 v3, vcc_lo, s8, v25
	s_delay_alu instid0(VALU_DEP_3)
	v_fma_f32 v5, -v10, v9, v6
	v_fma_f32 v6, -v19, v23, 1.0
	v_div_scale_f32 v10, null, v24, v24, 1.0
	v_add_co_ci_u32_e32 v4, vcc_lo, s9, v26, vcc_lo
	s_mov_b32 vcc_lo, s0
	v_mul_f32_e32 v21, v21, v22
	v_div_fmas_f32 v9, v5, v30, v9
	v_fmac_f32_e32 v23, v6, v23
	v_div_scale_f32 v22, vcc_lo, 1.0, v11, 1.0
	v_rcp_f32_e32 v25, v10
	v_add_co_u32 v5, s0, s8, v17
	s_waitcnt vmcnt(6)
	v_mul_f32_e32 v20, v31, v20
	v_add_co_ci_u32_e64 v6, s0, s9, v18, s0
	global_store_b32 v[3:4], v7, off
	v_div_fixup_f32 v3, v9, v12, 1.0
	v_mul_f32_e32 v7, v22, v23
	v_div_scale_f32 v9, null, v58, v58, 1.0
	v_mul_f32_e32 v12, v38, v33
	v_min_f32_e32 v17, 0x7cf0bdc2, v21
	global_store_b32 v[5:6], v20, off
	v_fma_f32 v4, -v10, v25, 1.0
	v_mul_f32_e32 v6, v3, v8
	v_fma_f32 v8, -v19, v7, v22
	v_rcp_f32_e32 v18, v9
	v_div_scale_f32 v20, null, v12, v12, 1.0
	s_waitcnt vmcnt(5)
	v_mul_f32_e32 v5, v45, v17
	v_fmac_f32_e32 v25, v4, v25
	v_div_scale_f32 v17, s0, 1.0, v24, 1.0
	v_fmac_f32_e32 v7, v8, v23
	v_rcp_f32_e32 v8, v20
	v_add_co_u32 v3, s1, s8, v13
	s_delay_alu instid0(VALU_DEP_1)
	v_add_co_ci_u32_e64 v4, s1, s9, v14, s1
	v_dual_min_f32 v6, 0x7cf0bdc2, v6 :: v_dual_mul_f32 v13, v17, v25
	v_fma_f32 v14, -v9, v18, 1.0
	global_store_b32 v[3:4], v5, off
	v_fma_f32 v3, -v19, v7, v22
	s_waitcnt vmcnt(4)
	v_mul_f32_e32 v21, v6, v76
	v_fma_f32 v4, -v10, v13, v17
	v_fmac_f32_e32 v18, v14, v18
	v_div_scale_f32 v5, s1, 1.0, v58, 1.0
	v_fma_f32 v6, -v20, v8, 1.0
	v_div_fmas_f32 v3, v3, v23, v7
	v_fmac_f32_e32 v13, v4, v25
	s_delay_alu instid0(VALU_DEP_4)
	v_mul_f32_e32 v7, v5, v18
	s_mov_b32 vcc_lo, s0
	v_fmac_f32_e32 v8, v6, v8
	v_div_scale_f32 v6, s2, 1.0, v12, 1.0
	v_div_fixup_f32 v11, v3, v11, 1.0
	v_fma_f32 v3, -v10, v13, v17
	v_fma_f32 v4, -v9, v7, v5
	s_delay_alu instid0(VALU_DEP_3) | instskip(NEXT) | instid1(VALU_DEP_3)
	v_dual_mul_f32 v10, v6, v8 :: v_dual_mul_f32 v11, v0, v11
	v_div_fmas_f32 v13, v3, v25, v13
	s_delay_alu instid0(VALU_DEP_3) | instskip(NEXT) | instid1(VALU_DEP_3)
	v_fmac_f32_e32 v7, v4, v18
	v_fma_f32 v14, -v20, v10, v6
	v_add_co_u32 v3, vcc_lo, s8, v27
	v_add_co_ci_u32_e32 v4, vcc_lo, s9, v28, vcc_lo
	s_delay_alu instid0(VALU_DEP_4) | instskip(NEXT) | instid1(VALU_DEP_4)
	v_fma_f32 v5, -v9, v7, v5
	v_fmac_f32_e32 v10, v14, v8
	s_mov_b32 vcc_lo, s1
	v_div_fixup_f32 v9, v13, v24, 1.0
	s_delay_alu instid0(VALU_DEP_3) | instskip(NEXT) | instid1(VALU_DEP_3)
	v_div_fmas_f32 v5, v5, v18, v7
	v_fma_f32 v6, -v20, v10, v6
	s_mov_b32 vcc_lo, s2
	s_delay_alu instid0(VALU_DEP_3)
	v_dual_min_f32 v7, 0x7cf0bdc2, v11 :: v_dual_mul_f32 v0, v0, v9
	v_mul_f32_e32 v9, v38, v37
	v_div_fixup_f32 v5, v5, v58, 1.0
	v_div_fmas_f32 v6, v6, v8, v10
	s_waitcnt vmcnt(3)
	v_dual_mul_f32 v11, v7, v77 :: v_dual_min_f32 v0, 0x7cf0bdc2, v0
	v_mul_f32_e32 v8, v36, v37
	v_mul_f32_e32 v7, v5, v9
	v_div_fixup_f32 v9, v6, v12, 1.0
	v_add_co_u32 v5, vcc_lo, s8, v15
	s_waitcnt vmcnt(2)
	v_mul_f32_e32 v12, v0, v79
	s_delay_alu instid0(VALU_DEP_3) | instskip(SKIP_3) | instid1(VALU_DEP_3)
	v_dual_min_f32 v0, 0x7cf0bdc2, v7 :: v_dual_mul_f32 v9, v8, v9
	v_add_co_ci_u32_e32 v6, vcc_lo, s9, v16, vcc_lo
	v_add_co_u32 v7, vcc_lo, s8, v68
	s_waitcnt vmcnt(1)
	v_mul_f32_e32 v13, v0, v73
	v_min_f32_e32 v0, 0x7cf0bdc2, v9
	v_add_co_ci_u32_e32 v8, vcc_lo, s9, v69, vcc_lo
	v_add_co_u32 v9, vcc_lo, s8, v54
	s_waitcnt vmcnt(0)
	s_delay_alu instid0(VALU_DEP_3)
	v_mul_f32_e32 v14, v0, v71
	v_add_co_ci_u32_e32 v10, vcc_lo, s9, v55, vcc_lo
	v_add_co_u32 v0, vcc_lo, s8, v1
	v_add_co_ci_u32_e32 v1, vcc_lo, s9, v2, vcc_lo
	s_clause 0x4
	global_store_b32 v[3:4], v21, off
	global_store_b32 v[5:6], v11, off
	global_store_b32 v[7:8], v12, off
	global_store_b32 v[9:10], v13, off
	global_store_b32 v[0:1], v14, off
	s_nop 0
	s_sendmsg sendmsg(MSG_DEALLOC_VGPRS)
	s_endpgm
	.section	.rodata,"a",@progbits
	.p2align	6, 0x0
	.amdhsa_kernel _Z12ratt8_kernelIfEvPKT_S2_PS0_S2_S0_
		.amdhsa_group_segment_fixed_size 0
		.amdhsa_private_segment_fixed_size 0
		.amdhsa_kernarg_size 296
		.amdhsa_user_sgpr_count 15
		.amdhsa_user_sgpr_dispatch_ptr 0
		.amdhsa_user_sgpr_queue_ptr 0
		.amdhsa_user_sgpr_kernarg_segment_ptr 1
		.amdhsa_user_sgpr_dispatch_id 0
		.amdhsa_user_sgpr_private_segment_size 0
		.amdhsa_wavefront_size32 1
		.amdhsa_uses_dynamic_stack 0
		.amdhsa_enable_private_segment 0
		.amdhsa_system_sgpr_workgroup_id_x 1
		.amdhsa_system_sgpr_workgroup_id_y 0
		.amdhsa_system_sgpr_workgroup_id_z 0
		.amdhsa_system_sgpr_workgroup_info 0
		.amdhsa_system_vgpr_workitem_id 0
		.amdhsa_next_free_vgpr 94
		.amdhsa_next_free_sgpr 16
		.amdhsa_reserve_vcc 1
		.amdhsa_float_round_mode_32 0
		.amdhsa_float_round_mode_16_64 0
		.amdhsa_float_denorm_mode_32 3
		.amdhsa_float_denorm_mode_16_64 3
		.amdhsa_dx10_clamp 1
		.amdhsa_ieee_mode 1
		.amdhsa_fp16_overflow 0
		.amdhsa_workgroup_processor_mode 1
		.amdhsa_memory_ordered 1
		.amdhsa_forward_progress 0
		.amdhsa_shared_vgpr_count 0
		.amdhsa_exception_fp_ieee_invalid_op 0
		.amdhsa_exception_fp_denorm_src 0
		.amdhsa_exception_fp_ieee_div_zero 0
		.amdhsa_exception_fp_ieee_overflow 0
		.amdhsa_exception_fp_ieee_underflow 0
		.amdhsa_exception_fp_ieee_inexact 0
		.amdhsa_exception_int_div_zero 0
	.end_amdhsa_kernel
	.section	.text._Z12ratt8_kernelIfEvPKT_S2_PS0_S2_S0_,"axG",@progbits,_Z12ratt8_kernelIfEvPKT_S2_PS0_S2_S0_,comdat
.Lfunc_end9:
	.size	_Z12ratt8_kernelIfEvPKT_S2_PS0_S2_S0_, .Lfunc_end9-_Z12ratt8_kernelIfEvPKT_S2_PS0_S2_S0_
                                        ; -- End function
	.section	.AMDGPU.csdata,"",@progbits
; Kernel info:
; codeLenInByte = 5648
; NumSgprs: 18
; NumVgprs: 94
; ScratchSize: 0
; MemoryBound: 0
; FloatMode: 240
; IeeeMode: 1
; LDSByteSize: 0 bytes/workgroup (compile time only)
; SGPRBlocks: 2
; VGPRBlocks: 11
; NumSGPRsForWavesPerEU: 18
; NumVGPRsForWavesPerEU: 94
; Occupancy: 16
; WaveLimiterHint : 0
; COMPUTE_PGM_RSRC2:SCRATCH_EN: 0
; COMPUTE_PGM_RSRC2:USER_SGPR: 15
; COMPUTE_PGM_RSRC2:TRAP_HANDLER: 0
; COMPUTE_PGM_RSRC2:TGID_X_EN: 1
; COMPUTE_PGM_RSRC2:TGID_Y_EN: 0
; COMPUTE_PGM_RSRC2:TGID_Z_EN: 0
; COMPUTE_PGM_RSRC2:TIDIG_COMP_CNT: 0
	.section	.text._Z12ratt9_kernelIfEvPKT_S2_PS0_S2_S0_,"axG",@progbits,_Z12ratt9_kernelIfEvPKT_S2_PS0_S2_S0_,comdat
	.protected	_Z12ratt9_kernelIfEvPKT_S2_PS0_S2_S0_ ; -- Begin function _Z12ratt9_kernelIfEvPKT_S2_PS0_S2_S0_
	.globl	_Z12ratt9_kernelIfEvPKT_S2_PS0_S2_S0_
	.p2align	8
	.type	_Z12ratt9_kernelIfEvPKT_S2_PS0_S2_S0_,@function
_Z12ratt9_kernelIfEvPKT_S2_PS0_S2_S0_:  ; @_Z12ratt9_kernelIfEvPKT_S2_PS0_S2_S0_
; %bb.0:
	s_clause 0x3
	s_load_b32 s2, s[0:1], 0x34
	s_load_b32 s3, s[0:1], 0x28
	s_load_b256 s[4:11], s[0:1], 0x0
	s_load_b32 s0, s[0:1], 0x20
	s_waitcnt lgkmcnt(0)
	s_and_b32 s2, s2, 0xffff
	s_delay_alu instid0(SALU_CYCLE_1) | instskip(SKIP_1) | instid1(SALU_CYCLE_1)
	v_mad_u64_u32 v[1:2], null, s15, s2, v[0:1]
	s_mul_i32 s3, s3, s2
	s_mul_i32 s2, s3, 0xffffff55
	v_mov_b32_e32 v2, 0
	s_mul_i32 s1, s3, 0xffffff5a
	s_delay_alu instid0(VALU_DEP_1) | instskip(SKIP_2) | instid1(VALU_DEP_3)
	v_lshlrev_b64 v[5:6], 2, v[1:2]
	v_mad_u64_u32 v[7:8], null, s3, 6, v[1:2]
	v_add_nc_u32_e32 v1, s3, v1
	v_add_co_u32 v3, vcc_lo, s4, v5
	s_delay_alu instid0(VALU_DEP_4) | instskip(NEXT) | instid1(VALU_DEP_4)
	v_add_co_ci_u32_e32 v4, vcc_lo, s5, v6, vcc_lo
	v_lshl_add_u32 v8, s3, 4, v7
	s_mul_i32 s4, s3, 0x9a
	v_mov_b32_e32 v9, v2
	global_load_b32 v13, v[3:4], off
	v_mad_u64_u32 v[3:4], null, s3, -15, v[8:9]
	v_mov_b32_e32 v4, v2
	s_delay_alu instid0(VALU_DEP_1) | instskip(SKIP_2) | instid1(VALU_DEP_3)
	v_mad_u64_u32 v[10:11], null, s3, 14, v[3:4]
	v_mov_b32_e32 v11, v2
	v_lshlrev_b64 v[3:4], 2, v[3:4]
	v_add_nc_u32_e32 v18, s4, v10
	v_lshlrev_b64 v[8:9], 2, v[8:9]
	s_delay_alu instid0(VALU_DEP_4) | instskip(NEXT) | instid1(VALU_DEP_3)
	v_lshlrev_b64 v[14:15], 2, v[10:11]
	v_dual_mov_b32 v12, v2 :: v_dual_add_nc_u32 v11, s2, v18
	s_delay_alu instid0(VALU_DEP_3) | instskip(NEXT) | instid1(VALU_DEP_4)
	v_add_co_u32 v8, vcc_lo, s10, v8
	v_add_co_ci_u32_e32 v9, vcc_lo, s11, v9, vcc_lo
	v_add_co_u32 v16, vcc_lo, s10, v3
	v_add_co_ci_u32_e32 v17, vcc_lo, s11, v4, vcc_lo
	;; [unrolled: 2-line block ×3, first 2 shown]
	s_clause 0x2
	global_load_b32 v0, v[8:9], off
	global_load_b32 v34, v[16:17], off
	;; [unrolled: 1-line block ×3, first 2 shown]
	v_mad_u64_u32 v[9:10], null, s3, 7, v[11:12]
	v_mov_b32_e32 v10, v2
	v_lshlrev_b64 v[11:12], 2, v[11:12]
	v_add_co_u32 v5, vcc_lo, s10, v5
	v_add_co_ci_u32_e32 v6, vcc_lo, s11, v6, vcc_lo
	s_delay_alu instid0(VALU_DEP_4) | instskip(SKIP_4) | instid1(VALU_DEP_3)
	v_mad_u64_u32 v[14:15], null, s3, 5, v[9:10]
	v_lshlrev_b64 v[16:17], 2, v[9:10]
	v_mov_b32_e32 v15, v2
	v_add_co_u32 v11, vcc_lo, s10, v11
	v_add_co_ci_u32_e32 v12, vcc_lo, s11, v12, vcc_lo
	v_mad_u64_u32 v[9:10], null, 0xa0, s3, v[14:15]
	v_add_co_u32 v16, vcc_lo, s10, v16
	v_lshlrev_b64 v[14:15], 2, v[14:15]
	v_add_co_ci_u32_e32 v17, vcc_lo, s11, v17, vcc_lo
	s_clause 0x1
	global_load_b32 v33, v[11:12], off
	global_load_b32 v31, v[16:17], off
	v_add_co_u32 v11, vcc_lo, s10, v14
	v_add_co_ci_u32_e32 v12, vcc_lo, s11, v15, vcc_lo
	s_clause 0x1
	global_load_b32 v36, v[5:6], off
	global_load_b32 v35, v[11:12], off
	v_mov_b32_e32 v10, v2
	v_mov_b32_e32 v8, v2
	;; [unrolled: 1-line block ×3, first 2 shown]
	s_delay_alu instid0(VALU_DEP_3) | instskip(SKIP_1) | instid1(VALU_DEP_4)
	v_mad_u64_u32 v[19:20], null, 0xffffff67, s3, v[9:10]
	v_mov_b32_e32 v20, v2
	v_lshlrev_b64 v[7:8], 2, v[7:8]
	s_delay_alu instid0(VALU_DEP_2) | instskip(NEXT) | instid1(VALU_DEP_2)
	v_lshlrev_b64 v[14:15], 2, v[19:20]
	v_add_co_u32 v7, vcc_lo, s10, v7
	s_delay_alu instid0(VALU_DEP_3) | instskip(SKIP_1) | instid1(VALU_DEP_4)
	v_add_co_ci_u32_e32 v8, vcc_lo, s11, v8, vcc_lo
	v_add_nc_u32_e32 v3, s4, v19
	v_add_co_u32 v5, vcc_lo, s10, v14
	v_add_co_ci_u32_e32 v6, vcc_lo, s11, v15, vcc_lo
	global_load_b32 v32, v[7:8], off
	s_lshl_b32 s4, s3, 1
	global_load_b32 v50, v[5:6], off
	v_mad_u64_u32 v[7:8], null, 0xffffff5e, s3, v[3:4]
	v_mov_b32_e32 v6, v2
	v_mov_b32_e32 v8, v2
	s_delay_alu instid0(VALU_DEP_3) | instskip(SKIP_1) | instid1(VALU_DEP_1)
	v_subrev_nc_u32_e32 v5, s4, v7
	s_mul_i32 s4, s3, 0xb2
	v_lshlrev_b64 v[14:15], 2, v[5:6]
	s_delay_alu instid0(VALU_DEP_1) | instskip(NEXT) | instid1(VALU_DEP_2)
	v_add_co_u32 v14, vcc_lo, s10, v14
	v_add_co_ci_u32_e32 v15, vcc_lo, s11, v15, vcc_lo
	s_waitcnt vmcnt(9)
	v_mul_f32_e32 v13, s0, v13
	v_lshlrev_b64 v[6:7], 2, v[7:8]
	s_delay_alu instid0(VALU_DEP_2) | instskip(NEXT) | instid1(VALU_DEP_1)
	v_mul_f32_e32 v49, 0x4c9e9632, v13
	v_div_scale_f32 v52, null, v49, v49, 1.0
	s_delay_alu instid0(VALU_DEP_1) | instskip(SKIP_2) | instid1(VALU_DEP_1)
	v_rcp_f32_e32 v63, v52
	s_waitcnt vmcnt(6)
	v_mul_f32_e32 v81, v34, v38
	v_div_scale_f32 v82, null, v81, v81, 1.0
	s_delay_alu instid0(VALU_DEP_1) | instskip(SKIP_3) | instid1(VALU_DEP_1)
	v_rcp_f32_e32 v83, v82
	s_waitcnt vmcnt(3)
	v_dual_mul_f32 v85, v33, v31 :: v_dual_mul_f32 v86, v0, v36
	s_waitcnt vmcnt(2)
	v_mul_f32_e32 v85, v85, v35
	v_mov_b32_e32 v19, v2
	s_delay_alu instid0(VALU_DEP_3) | instskip(NEXT) | instid1(VALU_DEP_2)
	v_div_scale_f32 v87, null, v86, v86, 1.0
	v_lshlrev_b64 v[11:12], 2, v[18:19]
	s_delay_alu instid0(VALU_DEP_1) | instskip(NEXT) | instid1(VALU_DEP_2)
	v_add_co_u32 v16, vcc_lo, s6, v11
	v_add_co_ci_u32_e32 v17, vcc_lo, s7, v12, vcc_lo
	global_load_b32 v48, v[14:15], off
	global_load_b32 v51, v[16:17], off
	v_lshlrev_b64 v[14:15], 2, v[1:2]
	v_add_nc_u32_e32 v1, s4, v1
	v_lshlrev_b64 v[3:4], 2, v[3:4]
	s_delay_alu instid0(VALU_DEP_3) | instskip(NEXT) | instid1(VALU_DEP_3)
	v_add_co_u32 v14, vcc_lo, s10, v14
	v_mad_u64_u32 v[16:17], null, 0xffffff4f, s3, v[1:2]
	v_add_co_ci_u32_e32 v15, vcc_lo, s11, v15, vcc_lo
	v_add_co_u32 v17, vcc_lo, s10, v6
	v_add_co_ci_u32_e32 v18, vcc_lo, s11, v7, vcc_lo
	v_lshlrev_b64 v[7:8], 2, v[1:2]
	global_load_b32 v37, v[14:15], off
	v_add_nc_u32_e32 v1, s4, v16
	global_load_b32 v45, v[17:18], off
	s_waitcnt vmcnt(4)
	v_dual_mov_b32 v17, v2 :: v_dual_mul_f32 v88, v32, v50
	v_add_co_u32 v14, vcc_lo, s6, v7
	v_add_co_ci_u32_e32 v15, vcc_lo, s7, v8, vcc_lo
	s_delay_alu instid0(VALU_DEP_3)
	v_lshlrev_b64 v[16:17], 2, v[16:17]
	v_mad_u64_u32 v[18:19], null, 0xffffff51, s3, v[1:2]
	v_lshlrev_b64 v[25:26], 2, v[1:2]
	v_mov_b32_e32 v19, v2
	global_load_b32 v58, v[14:15], off
	v_add_co_u32 v14, vcc_lo, s10, v16
	v_add_co_ci_u32_e32 v15, vcc_lo, s11, v17, vcc_lo
	v_lshlrev_b64 v[16:17], 2, v[18:19]
	v_add_co_u32 v19, vcc_lo, s6, v25
	v_add_co_ci_u32_e32 v20, vcc_lo, s7, v26, vcc_lo
	global_load_b32 v39, v[14:15], off
	global_load_b32 v64, v[19:20], off
	v_mad_u64_u32 v[21:22], null, 0xb0, s3, v[18:19]
	v_mov_b32_e32 v22, v2
	v_add_co_u32 v16, vcc_lo, s10, v16
	v_add_co_ci_u32_e32 v17, vcc_lo, s11, v17, vcc_lo
	v_add_co_u32 v67, vcc_lo, s8, v11
	v_add_nc_u32_e32 v1, s2, v21
	v_lshlrev_b64 v[23:24], 2, v[21:22]
	v_add_co_ci_u32_e32 v68, vcc_lo, s9, v12, vcc_lo
	global_load_b32 v42, v[16:17], off
	v_mad_u64_u32 v[14:15], null, 0xac, s3, v[1:2]
	v_lshlrev_b64 v[11:12], 2, v[1:2]
	v_mov_b32_e32 v15, v2
	v_add_co_u32 v16, vcc_lo, s6, v23
	v_add_co_ci_u32_e32 v17, vcc_lo, s7, v24, vcc_lo
	s_delay_alu instid0(VALU_DEP_4) | instskip(NEXT) | instid1(VALU_DEP_4)
	v_add_co_u32 v11, vcc_lo, s10, v11
	v_lshlrev_b64 v[27:28], 2, v[14:15]
	v_add_co_ci_u32_e32 v12, vcc_lo, s11, v12, vcc_lo
	v_mad_u64_u32 v[18:19], null, 0xffffff56, s3, v[14:15]
	v_mov_b32_e32 v19, v2
	global_load_b32 v65, v[11:12], off
	v_add_co_u32 v11, vcc_lo, s6, v27
	v_add_co_ci_u32_e32 v12, vcc_lo, s7, v28, vcc_lo
	global_load_b32 v59, v[16:17], off
	v_lshlrev_b64 v[14:15], 2, v[18:19]
	s_mul_i32 s4, s3, 0xa7
	global_load_b32 v57, v[11:12], off
	v_mad_u64_u32 v[16:17], null, 0xab, s3, v[18:19]
	v_mov_b32_e32 v17, v2
	v_add_co_u32 v11, vcc_lo, s10, v14
	v_add_co_ci_u32_e32 v12, vcc_lo, s11, v15, vcc_lo
	s_delay_alu instid0(VALU_DEP_3)
	v_mad_u64_u32 v[14:15], null, 0xffffff65, s3, v[16:17]
	v_lshlrev_b64 v[19:20], 2, v[16:17]
	v_mov_b32_e32 v15, v2
	global_load_b32 v40, v[11:12], off
	v_add_nc_u32_e32 v1, s3, v14
	v_lshlrev_b64 v[9:10], 2, v[9:10]
	v_lshlrev_b64 v[11:12], 2, v[14:15]
	s_delay_alu instid0(VALU_DEP_3) | instskip(NEXT) | instid1(VALU_DEP_3)
	v_mad_u64_u32 v[14:15], null, 0x9b, s3, v[1:2]
	v_add_co_u32 v16, vcc_lo, s6, v9
	s_delay_alu instid0(VALU_DEP_4)
	v_add_co_ci_u32_e32 v17, vcc_lo, s7, v10, vcc_lo
	v_add_co_u32 v29, vcc_lo, s8, v9
	v_add_co_ci_u32_e32 v30, vcc_lo, s9, v10, vcc_lo
	global_load_b32 v77, v[16:17], off
	v_add_co_u32 v9, vcc_lo, s6, v19
	v_add_co_ci_u32_e32 v10, vcc_lo, s7, v20, vcc_lo
	v_add_co_u32 v16, vcc_lo, s6, v3
	v_add_co_ci_u32_e32 v17, vcc_lo, s7, v4, vcc_lo
	global_load_b32 v66, v[9:10], off
	v_lshlrev_b64 v[9:10], 2, v[1:2]
	v_add_co_u32 v69, vcc_lo, s8, v3
	global_load_b32 v78, v[16:17], off
	v_mov_b32_e32 v15, v2
	v_add_co_ci_u32_e32 v70, vcc_lo, s9, v4, vcc_lo
	v_add_co_u32 v3, vcc_lo, s10, v11
	v_add_co_ci_u32_e32 v4, vcc_lo, s11, v12, vcc_lo
	v_mad_u64_u32 v[11:12], null, 0xa5, s3, v[5:6]
	v_add_co_u32 v9, vcc_lo, s10, v9
	v_lshlrev_b64 v[21:22], 2, v[14:15]
	v_add_co_ci_u32_e32 v10, vcc_lo, s11, v10, vcc_lo
	v_mov_b32_e32 v12, v2
	s_clause 0x1
	global_load_b32 v41, v[3:4], off
	global_load_b32 v43, v[9:10], off
	v_add_co_u32 v3, vcc_lo, s6, v21
	v_lshlrev_b64 v[9:10], 2, v[11:12]
	v_add_co_ci_u32_e32 v4, vcc_lo, s7, v22, vcc_lo
	v_mad_u64_u32 v[5:6], null, 0xffffff5b, s3, v[14:15]
	v_mov_b32_e32 v6, v2
	global_load_b32 v62, v[3:4], off
	v_add_co_u32 v3, vcc_lo, s6, v9
	v_add_co_ci_u32_e32 v4, vcc_lo, s7, v10, vcc_lo
	v_mad_u64_u32 v[14:15], null, 0xa6, s3, v[5:6]
	v_mov_b32_e32 v15, v2
	global_load_b32 v79, v[3:4], off
	v_lshlrev_b64 v[11:12], 2, v[5:6]
	v_lshlrev_b64 v[17:18], 2, v[14:15]
	s_delay_alu instid0(VALU_DEP_2) | instskip(NEXT) | instid1(VALU_DEP_3)
	v_add_co_u32 v5, vcc_lo, s10, v11
	v_add_co_ci_u32_e32 v6, vcc_lo, s11, v12, vcc_lo
	s_delay_alu instid0(VALU_DEP_3) | instskip(NEXT) | instid1(VALU_DEP_4)
	v_add_co_u32 v3, vcc_lo, s6, v17
	v_add_co_ci_u32_e32 v4, vcc_lo, s7, v18, vcc_lo
	global_load_b32 v80, v[5:6], off
	global_load_b32 v61, v[3:4], off
	v_mad_u64_u32 v[11:12], null, 0xffffff4a, s3, v[14:15]
	v_mov_b32_e32 v12, v2
	v_add_co_u32 v71, vcc_lo, s8, v9
	v_add_co_ci_u32_e32 v72, vcc_lo, s9, v10, vcc_lo
	s_delay_alu instid0(VALU_DEP_3) | instskip(SKIP_2) | instid1(VALU_DEP_3)
	v_mad_u64_u32 v[14:15], null, 0xb7, s3, v[11:12]
	v_lshlrev_b64 v[9:10], 2, v[11:12]
	v_mov_b32_e32 v15, v2
	v_add_nc_u32_e32 v1, s1, v14
	s_delay_alu instid0(VALU_DEP_3) | instskip(NEXT) | instid1(VALU_DEP_3)
	v_add_co_u32 v3, vcc_lo, s10, v9
	v_lshlrev_b64 v[15:16], 2, v[14:15]
	v_add_co_ci_u32_e32 v4, vcc_lo, s11, v10, vcc_lo
	s_delay_alu instid0(VALU_DEP_4) | instskip(SKIP_1) | instid1(VALU_DEP_4)
	v_lshlrev_b64 v[5:6], 2, v[1:2]
	v_add_nc_u32_e32 v1, s4, v1
	v_add_co_u32 v9, vcc_lo, s6, v15
	global_load_b32 v44, v[3:4], off
	v_add_co_ci_u32_e32 v10, vcc_lo, s7, v16, vcc_lo
	v_add_co_u32 v3, vcc_lo, s10, v5
	v_add_co_ci_u32_e32 v4, vcc_lo, s11, v6, vcc_lo
	v_lshlrev_b64 v[11:12], 2, v[1:2]
	v_add_nc_u32_e32 v1, s3, v1
	global_load_b32 v56, v[9:10], off
	global_load_b32 v46, v[3:4], off
	v_mad_u64_u32 v[5:6], null, 0xffffff62, s3, v[1:2]
	v_lshlrev_b64 v[9:10], 2, v[1:2]
	v_mov_b32_e32 v6, v2
	v_add_co_u32 v3, vcc_lo, s6, v11
	v_fma_f32 v1, -v52, v63, 1.0
	v_add_co_ci_u32_e32 v4, vcc_lo, s7, v12, vcc_lo
	v_add_co_u32 v13, vcc_lo, s6, v9
	v_mad_u64_u32 v[73:74], null, 0x9f, s3, v[5:6]
	v_add_co_ci_u32_e32 v14, vcc_lo, s7, v10, vcc_lo
	v_div_scale_f32 v75, vcc_lo, 1.0, v49, 1.0
	v_fmac_f32_e32 v63, v1, v63
	v_lshlrev_b64 v[54:55], 2, v[5:6]
	v_add_nc_u32_e32 v1, s3, v73
	s_clause 0x1
	global_load_b32 v60, v[3:4], off
	global_load_b32 v53, v[13:14], off
	v_mul_f32_e32 v76, v75, v63
	v_add_co_u32 v3, s0, s10, v54
	s_delay_alu instid0(VALU_DEP_1) | instskip(NEXT) | instid1(VALU_DEP_3)
	v_add_co_ci_u32_e64 v4, s0, s11, v55, s0
	v_fma_f32 v54, -v52, v76, v75
	v_lshlrev_b64 v[5:6], 2, v[1:2]
	v_dual_mov_b32 v74, v2 :: v_dual_add_nc_u32 v1, s3, v1
	global_load_b32 v47, v[3:4], off
	v_fmac_f32_e32 v76, v54, v63
	v_lshlrev_b64 v[3:4], 2, v[1:2]
	v_add_nc_u32_e32 v1, s1, v1
	v_lshlrev_b64 v[13:14], 2, v[73:74]
	v_fma_f32 v73, -v82, v83, 1.0
	v_fma_f32 v52, -v52, v76, v75
	s_delay_alu instid0(VALU_DEP_3) | instskip(NEXT) | instid1(VALU_DEP_1)
	v_add_co_u32 v54, s0, s6, v13
	v_add_co_ci_u32_e64 v55, s0, s7, v14, s0
	v_div_scale_f32 v84, s0, 1.0, v81, 1.0
	v_fmac_f32_e32 v83, v73, v83
	v_div_fmas_f32 v52, v52, v63, v76
	v_add_co_u32 v73, vcc_lo, s6, v5
	v_add_co_ci_u32_e32 v74, vcc_lo, s7, v6, vcc_lo
	s_delay_alu instid0(VALU_DEP_4) | instskip(NEXT) | instid1(VALU_DEP_4)
	v_mul_f32_e32 v63, v84, v83
	v_div_fixup_f32 v49, v52, v49, 1.0
	s_clause 0x1
	global_load_b32 v55, v[54:55], off
	global_load_b32 v54, v[73:74], off
	s_mov_b32 vcc_lo, s0
	v_lshlrev_b64 v[75:76], 2, v[1:2]
	v_fma_f32 v52, -v82, v63, v84
	v_mul_f32_e32 v49, 0x49776020, v49
	v_add_nc_u32_e32 v1, s4, v1
	s_delay_alu instid0(VALU_DEP_2) | instskip(SKIP_1) | instid1(VALU_DEP_1)
	v_dual_fmac_f32 v63, v52, v83 :: v_dual_mul_f32 v52, v49, v85
	v_rcp_f32_e32 v85, v87
	v_fma_f32 v73, -v82, v63, v84
	s_delay_alu instid0(VALU_DEP_2) | instskip(SKIP_1) | instid1(VALU_DEP_2)
	v_div_scale_f32 v82, null, v52, v52, 1.0
	v_div_scale_f32 v84, null, v88, v88, 1.0
	v_rcp_f32_e32 v89, v82
	s_waitcnt_depctr 0xfff
	v_fma_f32 v90, -v87, v85, 1.0
	v_rcp_f32_e32 v91, v84
	s_delay_alu instid0(VALU_DEP_1)
	v_fmac_f32_e32 v85, v90, v85
	s_waitcnt vmcnt(28)
	v_mul_f32_e32 v90, v50, v48
	v_div_fmas_f32 v63, v73, v83, v63
	v_mul_f32_e32 v83, v32, v0
	v_add_co_u32 v73, vcc_lo, s10, v75
	v_fma_f32 v75, -v82, v89, 1.0
	s_delay_alu instid0(VALU_DEP_4) | instskip(SKIP_2) | instid1(VALU_DEP_3)
	v_div_fixup_f32 v63, v63, v81, 1.0
	v_add_co_ci_u32_e32 v74, vcc_lo, s11, v76, vcc_lo
	v_div_scale_f32 v76, vcc_lo, 1.0, v52, 1.0
	v_mul_f32_e32 v63, v83, v63
	v_fma_f32 v81, -v84, v91, 1.0
	v_fmac_f32_e32 v89, v75, v89
	v_div_scale_f32 v75, s0, 1.0, v88, 1.0
	s_delay_alu instid0(VALU_DEP_4) | instskip(NEXT) | instid1(VALU_DEP_4)
	v_min_f32_e32 v63, 0x7cf0bdc2, v63
	v_fmac_f32_e32 v91, v81, v91
	v_div_scale_f32 v81, null, v90, v90, 1.0
	s_waitcnt vmcnt(27)
	s_delay_alu instid0(VALU_DEP_3)
	v_mul_f32_e32 v51, v51, v63
	v_mul_f32_e32 v63, v76, v89
	global_store_b32 v[67:68], v51, off
	v_fma_f32 v51, -v82, v63, v76
	v_mul_f32_e32 v67, v75, v91
	v_rcp_f32_e32 v68, v81
	s_delay_alu instid0(VALU_DEP_2) | instskip(NEXT) | instid1(VALU_DEP_2)
	v_fmac_f32_e32 v63, v51, v89
	v_fma_f32 v51, -v84, v67, v75
	s_delay_alu instid0(VALU_DEP_2) | instskip(NEXT) | instid1(VALU_DEP_2)
	v_fma_f32 v76, -v82, v63, v76
	v_fmac_f32_e32 v67, v51, v91
	s_waitcnt_depctr 0xfff
	v_fma_f32 v51, -v81, v68, 1.0
	v_div_fmas_f32 v76, v76, v89, v63
	v_fma_f32 v75, -v84, v67, v75
	v_mul_f32_e32 v84, v0, v33
	s_delay_alu instid0(VALU_DEP_4) | instskip(SKIP_2) | instid1(VALU_DEP_3)
	v_fmac_f32_e32 v68, v51, v68
	v_div_scale_f32 v51, s1, 1.0, v90, 1.0
	s_mov_b32 vcc_lo, s0
	v_div_scale_f32 v89, null, v84, v84, 1.0
	s_delay_alu instid0(VALU_DEP_2) | instskip(SKIP_2) | instid1(VALU_DEP_4)
	v_mul_f32_e32 v82, v51, v68
	v_div_fmas_f32 v67, v75, v91, v67
	v_div_scale_f32 v75, s0, 1.0, v86, 1.0
	v_rcp_f32_e32 v92, v89
	s_delay_alu instid0(VALU_DEP_3) | instskip(SKIP_1) | instid1(VALU_DEP_2)
	v_fma_f32 v63, -v81, v82, v51
	s_mov_b32 vcc_lo, s1
	v_mul_f32_e32 v91, v75, v85
	v_div_fixup_f32 v52, v76, v52, 1.0
	v_div_fixup_f32 v67, v67, v88, 1.0
	v_fmac_f32_e32 v82, v63, v68
	s_delay_alu instid0(VALU_DEP_3) | instskip(NEXT) | instid1(TRANS32_DEP_1)
	v_mul_f32_e32 v52, v83, v52
	v_fma_f32 v63, -v89, v92, 1.0
	s_delay_alu instid0(VALU_DEP_3) | instskip(SKIP_1) | instid1(VALU_DEP_3)
	v_fma_f32 v51, -v81, v82, v51
	v_div_scale_f32 v81, s2, 1.0, v84, 1.0
	v_dual_mul_f32 v83, v0, v34 :: v_dual_fmac_f32 v92, v63, v92
	s_delay_alu instid0(VALU_DEP_3)
	v_div_fmas_f32 v51, v51, v68, v82
	v_fma_f32 v82, -v87, v91, v75
	global_load_b32 v63, v[73:74], off
	s_waitcnt vmcnt(22)
	v_mul_f32_e32 v74, v0, v42
	v_mul_f32_e32 v68, v81, v92
	s_mov_b32 vcc_lo, s0
	v_fmac_f32_e32 v91, v82, v85
	v_mul_f32_e32 v67, v83, v67
	v_min_f32_e32 v83, 0x7cf0bdc2, v52
	v_fma_f32 v73, -v89, v68, v81
	s_waitcnt vmcnt(21)
	v_mul_f32_e32 v65, v50, v65
	v_fma_f32 v75, -v87, v91, v75
	v_div_scale_f32 v87, s1, 1.0, v74, 1.0
	v_fmac_f32_e32 v68, v73, v92
	v_div_scale_f32 v73, null, v74, v74, 1.0
	s_delay_alu instid0(VALU_DEP_4) | instskip(SKIP_1) | instid1(VALU_DEP_4)
	v_div_fmas_f32 v75, v75, v85, v91
	v_min_f32_e32 v67, 0x7cf0bdc2, v67
	v_fma_f32 v81, -v89, v68, v81
	s_delay_alu instid0(VALU_DEP_4)
	v_rcp_f32_e32 v82, v73
	v_mul_f32_e32 v89, v0, v31
	v_div_fixup_f32 v75, v75, v86, 1.0
	s_mov_b32 vcc_lo, s2
	v_div_fixup_f32 v51, v51, v90, 1.0
	v_div_fmas_f32 v68, v81, v92, v68
	v_mul_f32_e32 v52, v0, v45
	s_mov_b32 vcc_lo, s1
	s_waitcnt_depctr 0xfff
	v_fma_f32 v93, -v73, v82, 1.0
	s_delay_alu instid0(VALU_DEP_1) | instskip(NEXT) | instid1(VALU_DEP_1)
	v_dual_mul_f32 v51, v52, v51 :: v_dual_fmac_f32 v82, v93, v82
	v_min_f32_e32 v51, 0x7cf0bdc2, v51
	s_delay_alu instid0(VALU_DEP_2) | instskip(SKIP_3) | instid1(VALU_DEP_3)
	v_mul_f32_e32 v85, v87, v82
	s_waitcnt vmcnt(17)
	v_mul_f32_e32 v77, v77, v83
	v_mul_f32_e32 v83, v50, v37
	v_fma_f32 v81, -v73, v85, v87
	global_store_b32 v[29:30], v77, off
	v_mul_f32_e32 v75, v83, v75
	v_fmac_f32_e32 v85, v81, v82
	v_div_fixup_f32 v29, v68, v84, 1.0
	s_delay_alu instid0(VALU_DEP_3) | instskip(NEXT) | instid1(VALU_DEP_3)
	v_min_f32_e32 v30, 0x7cf0bdc2, v75
	v_fma_f32 v73, -v73, v85, v87
	s_waitcnt vmcnt(15)
	v_mul_f32_e32 v67, v78, v67
	v_dual_mul_f32 v78, v50, v39 :: v_dual_mul_f32 v87, v0, v40
	v_mul_f32_e32 v30, v58, v30
	v_mul_f32_e32 v58, v33, v50
	;; [unrolled: 1-line block ×3, first 2 shown]
	v_div_scale_f32 v91, null, v89, v89, 1.0
	v_div_scale_f32 v76, null, v87, v87, 1.0
	v_div_scale_f32 v88, s0, 1.0, v89, 1.0
	s_delay_alu instid0(VALU_DEP_3)
	v_rcp_f32_e32 v81, v91
	v_div_fmas_f32 v68, v73, v82, v85
	global_store_b32 v[69:70], v67, off
	v_mul_f32_e32 v29, v29, v78
	v_add_co_u32 v7, vcc_lo, s8, v7
	v_div_fixup_f32 v67, v68, v74, 1.0
	s_waitcnt vmcnt(14)
	v_mul_f32_e32 v45, v45, v41
	v_min_f32_e32 v29, 0x7cf0bdc2, v29
	v_add_co_ci_u32_e32 v8, vcc_lo, s9, v8, vcc_lo
	v_fma_f32 v92, -v91, v81, 1.0
	s_mov_b32 vcc_lo, s0
	s_delay_alu instid0(VALU_DEP_3) | instskip(SKIP_1) | instid1(VALU_DEP_3)
	v_dual_mul_f32 v29, v64, v29 :: v_dual_mul_f32 v58, v58, v67
	v_mul_f32_e32 v75, v38, v31
	v_fmac_f32_e32 v81, v92, v81
	v_rcp_f32_e32 v92, v76
	v_mul_f32_e32 v34, v34, v41
	v_min_f32_e32 v58, 0x7cf0bdc2, v58
	s_waitcnt vmcnt(11)
	v_dual_mul_f32 v86, v88, v81 :: v_dual_mul_f32 v51, v79, v51
	s_delay_alu instid0(VALU_DEP_2) | instskip(NEXT) | instid1(VALU_DEP_2)
	v_mul_f32_e32 v58, v59, v58
	v_fma_f32 v83, -v91, v86, v88
	s_waitcnt_depctr 0xfff
	v_fma_f32 v93, -v76, v92, 1.0
	global_store_b32 v[71:72], v51, off
	v_div_scale_f32 v51, s1, 1.0, v87, 1.0
	v_fmac_f32_e32 v86, v83, v81
	v_fmac_f32_e32 v92, v93, v92
	s_delay_alu instid0(VALU_DEP_2) | instskip(NEXT) | instid1(VALU_DEP_2)
	v_fma_f32 v64, -v91, v86, v88
	v_mul_f32_e32 v68, v51, v92
	s_delay_alu instid0(VALU_DEP_2) | instskip(NEXT) | instid1(VALU_DEP_2)
	v_div_fmas_f32 v64, v64, v81, v86
	v_fma_f32 v69, -v76, v68, v51
	v_add_co_u32 v25, vcc_lo, s8, v25
	v_add_co_ci_u32_e32 v26, vcc_lo, s9, v26, vcc_lo
	s_delay_alu instid0(VALU_DEP_3) | instskip(SKIP_1) | instid1(VALU_DEP_1)
	v_fmac_f32_e32 v68, v69, v92
	s_mov_b32 vcc_lo, s1
	v_fma_f32 v67, -v76, v68, v51
	v_div_fixup_f32 v51, v64, v89, 1.0
	s_delay_alu instid0(VALU_DEP_2) | instskip(SKIP_1) | instid1(VALU_DEP_3)
	v_div_fmas_f32 v64, v67, v92, v68
	v_div_scale_f32 v67, null, v43, v43, 1.0
	v_mul_f32_e32 v59, v51, v65
	v_add_co_u32 v23, vcc_lo, s8, v23
	s_delay_alu instid0(VALU_DEP_4) | instskip(NEXT) | instid1(VALU_DEP_4)
	v_div_fixup_f32 v64, v64, v87, 1.0
	v_rcp_f32_e32 v65, v67
	v_add_co_ci_u32_e32 v24, vcc_lo, s9, v24, vcc_lo
	s_delay_alu instid0(VALU_DEP_2)
	v_dual_min_f32 v59, 0x7cf0bdc2, v59 :: v_dual_mul_f32 v50, v50, v64
	s_clause 0x2
	global_store_b32 v[7:8], v30, off
	global_store_b32 v[25:26], v29, off
	;; [unrolled: 1-line block ×3, first 2 shown]
	s_waitcnt vmcnt(10)
	v_mul_f32_e32 v26, v40, v80
	v_add_co_u32 v7, vcc_lo, s8, v27
	v_min_f32_e32 v23, 0x7cf0bdc2, v50
	v_fma_f32 v24, -v67, v65, 1.0
	v_mul_f32_e32 v25, v57, v59
	v_add_co_ci_u32_e32 v8, vcc_lo, s9, v28, vcc_lo
	s_delay_alu instid0(VALU_DEP_4)
	v_mul_f32_e32 v28, v66, v23
	v_add_co_u32 v23, s0, s6, v3
	v_div_scale_f32 v27, null, v26, v26, 1.0
	v_fmac_f32_e32 v65, v24, v65
	v_add_co_ci_u32_e64 v24, s0, s7, v4, s0
	v_add_co_u32 v19, s0, s8, v19
	global_store_b32 v[7:8], v25, off
	v_lshlrev_b64 v[7:8], 2, v[1:2]
	v_add_co_ci_u32_e64 v20, s0, s9, v20, s0
	v_div_scale_f32 v29, vcc_lo, 1.0, v43, 1.0
	v_rcp_f32_e32 v30, v27
	global_store_b32 v[19:20], v28, off
	v_add_co_u32 v19, s0, s6, v7
	v_mul_f32_e32 v25, v29, v65
	v_add_co_ci_u32_e64 v20, s0, s7, v8, s0
	global_load_b32 v57, v[23:24], off
	v_div_scale_f32 v59, s0, 1.0, v26, 1.0
	global_load_b32 v58, v[19:20], off
	v_fma_f32 v23, -v67, v25, v29
	v_fma_f32 v24, -v27, v30, 1.0
	s_waitcnt vmcnt(10)
	v_dual_mul_f32 v64, v43, v44 :: v_dual_add_nc_u32 v1, s3, v1
	s_delay_alu instid0(VALU_DEP_3) | instskip(NEXT) | instid1(VALU_DEP_3)
	v_dual_mul_f32 v50, v33, v35 :: v_dual_fmac_f32 v25, v23, v65
	v_fmac_f32_e32 v30, v24, v30
	v_mul_f32_e32 v28, v37, v41
	s_waitcnt vmcnt(8)
	s_delay_alu instid0(VALU_DEP_3) | instskip(SKIP_4) | instid1(VALU_DEP_4)
	v_mul_f32_e32 v68, v50, v46
	v_fma_f32 v19, -v67, v25, v29
	v_mul_f32_e32 v29, v59, v30
	v_div_scale_f32 v67, null, v64, v64, 1.0
	v_mul_f32_e32 v66, v49, v28
	v_div_fmas_f32 v23, v19, v65, v25
	s_delay_alu instid0(VALU_DEP_4)
	v_fma_f32 v24, -v27, v29, v59
	v_lshlrev_b64 v[19:20], 2, v[1:2]
	v_rcp_f32_e32 v65, v67
	v_mul_f32_e32 v68, v49, v68
	v_div_fixup_f32 v25, v23, v43, 1.0
	v_fmac_f32_e32 v29, v24, v30
	v_add_nc_u32_e32 v1, s3, v1
	v_add_co_u32 v23, vcc_lo, s6, v19
	v_add_co_ci_u32_e32 v24, vcc_lo, s7, v20, vcc_lo
	s_delay_alu instid0(VALU_DEP_4)
	v_fma_f32 v27, -v27, v29, v59
	s_mov_b32 vcc_lo, s0
	v_mul_f32_e32 v25, v25, v66
	global_load_b32 v59, v[23:24], off
	v_fma_f32 v66, -v67, v65, 1.0
	v_div_fmas_f32 v27, v27, v30, v29
	v_div_scale_f32 v29, null, v68, v68, 1.0
	v_lshlrev_b64 v[23:24], 2, v[1:2]
	s_delay_alu instid0(VALU_DEP_4) | instskip(SKIP_1) | instid1(VALU_DEP_4)
	v_fmac_f32_e32 v65, v66, v65
	v_div_scale_f32 v30, vcc_lo, 1.0, v64, 1.0
	v_rcp_f32_e32 v69, v29
	v_min_f32_e32 v66, 0x7cf0bdc2, v25
	v_div_fixup_f32 v27, v27, v26, 1.0
	s_delay_alu instid0(VALU_DEP_3) | instskip(SKIP_1) | instid1(VALU_DEP_1)
	v_mul_f32_e32 v70, v30, v65
	v_add_co_u32 v25, s0, s6, v23
	v_add_co_ci_u32_e64 v26, s0, s7, v24, s0
	s_delay_alu instid0(VALU_DEP_4) | instskip(NEXT) | instid1(VALU_DEP_4)
	v_mul_f32_e32 v27, v28, v27
	v_fma_f32 v28, -v67, v70, v30
	s_delay_alu instid0(TRANS32_DEP_1) | instskip(SKIP_3) | instid1(VALU_DEP_1)
	v_fma_f32 v71, -v29, v69, 1.0
	v_dual_mul_f32 v66, v62, v66 :: v_dual_add_nc_u32 v1, s3, v1
	global_load_b32 v62, v[25:26], off
	v_add_co_u32 v25, s0, s8, v21
	v_add_co_ci_u32_e64 v26, s0, s9, v22, s0
	v_fmac_f32_e32 v70, v28, v65
	v_fmac_f32_e32 v69, v71, v69
	v_div_scale_f32 v71, s0, 1.0, v68, 1.0
	v_lshlrev_b64 v[21:22], 2, v[1:2]
	global_store_b32 v[25:26], v66, off
	v_fma_f32 v25, -v67, v70, v30
	v_dual_mul_f32 v67, v71, v69 :: v_dual_min_f32 v72, 0x7cf0bdc2, v27
	v_add_nc_u32_e32 v1, s3, v1
	v_add_co_u32 v27, s1, s6, v21
	s_delay_alu instid0(VALU_DEP_1)
	v_add_co_ci_u32_e64 v28, s1, s7, v22, s1
	v_div_fmas_f32 v25, v25, v65, v70
	v_fma_f32 v26, -v29, v67, v71
	v_mul_f32_e32 v70, v48, v43
	v_mul_f32_e32 v66, v61, v72
	global_load_b32 v61, v[27:28], off
	v_div_fixup_f32 v30, v25, v64, 1.0
	v_fmac_f32_e32 v67, v26, v69
	v_lshlrev_b64 v[25:26], 2, v[1:2]
	v_mul_f32_e32 v65, v32, v41
	v_div_scale_f32 v72, null, v70, v70, 1.0
	v_add_co_u32 v27, vcc_lo, s8, v17
	v_add_co_ci_u32_e32 v28, vcc_lo, s9, v18, vcc_lo
	v_fma_f32 v17, -v29, v67, v71
	v_add_co_u32 v29, vcc_lo, s6, v25
	v_dual_mul_f32 v64, v65, v30 :: v_dual_add_nc_u32 v1, s3, v1
	v_rcp_f32_e32 v73, v72
	v_add_co_ci_u32_e32 v30, vcc_lo, s7, v26, vcc_lo
	s_mov_b32 vcc_lo, s0
	s_delay_alu instid0(VALU_DEP_2)
	v_min_f32_e32 v71, 0x7cf0bdc2, v64
	v_div_fmas_f32 v67, v17, v69, v67
	v_lshlrev_b64 v[17:18], 2, v[1:2]
	global_load_b32 v48, v[29:30], off
	v_add_nc_u32_e32 v1, s3, v1
	global_store_b32 v[27:28], v66, off
	v_fma_f32 v69, -v72, v73, 1.0
	v_div_fixup_f32 v64, v67, v68, 1.0
	v_add_co_u32 v29, vcc_lo, s6, v17
	v_add_co_ci_u32_e32 v30, vcc_lo, s7, v18, vcc_lo
	s_delay_alu instid0(VALU_DEP_4)
	v_fmac_f32_e32 v73, v69, v73
	v_div_scale_f32 v67, vcc_lo, 1.0, v70, 1.0
	s_waitcnt vmcnt(9)
	v_div_scale_f32 v69, null, v47, v47, 1.0
	v_mul_f32_e32 v65, v65, v64
	global_load_b32 v64, v[29:30], off
	v_mul_f32_e32 v68, v67, v73
	v_rcp_f32_e32 v74, v69
	v_mul_f32_e32 v71, v56, v71
	v_min_f32_e32 v27, 0x7cf0bdc2, v65
	v_add_co_u32 v65, s0, s8, v15
	v_fma_f32 v28, -v72, v68, v67
	v_add_co_ci_u32_e64 v66, s0, s9, v16, s0
	v_lshlrev_b64 v[15:16], 2, v[1:2]
	v_add_nc_u32_e32 v1, s3, v1
	s_delay_alu instid0(VALU_DEP_4) | instskip(NEXT) | instid1(TRANS32_DEP_1)
	v_fmac_f32_e32 v68, v28, v73
	v_fma_f32 v28, -v69, v74, 1.0
	v_mul_f32_e32 v60, v60, v27
	v_add_co_u32 v29, s0, s6, v15
	s_delay_alu instid0(VALU_DEP_3)
	v_fmac_f32_e32 v74, v28, v74
	v_lshlrev_b64 v[27:28], 2, v[1:2]
	v_add_co_ci_u32_e64 v30, s0, s7, v16, s0
	v_fma_f32 v56, -v72, v68, v67
	v_div_scale_f32 v72, null, v75, v75, 1.0
	global_load_b32 v38, v[29:30], off
	v_add_co_u32 v29, s1, s6, v27
	s_delay_alu instid0(VALU_DEP_1)
	v_add_co_ci_u32_e64 v30, s1, s7, v28, s1
	v_add_nc_u32_e32 v1, s3, v1
	v_div_scale_f32 v76, s0, 1.0, v47, 1.0
	v_rcp_f32_e32 v77, v72
	v_div_fmas_f32 v67, v56, v73, v68
	global_load_b32 v56, v[29:30], off
	v_lshlrev_b64 v[29:30], 2, v[1:2]
	v_mul_f32_e32 v73, v76, v74
	v_add_nc_u32_e32 v1, s3, v1
	v_div_fixup_f32 v70, v67, v70, 1.0
	s_delay_alu instid0(VALU_DEP_4) | instskip(NEXT) | instid1(VALU_DEP_4)
	v_add_co_u32 v67, vcc_lo, s6, v29
	v_fma_f32 v78, -v69, v73, v76
	v_fma_f32 v79, -v72, v77, 1.0
	v_add_co_ci_u32_e32 v68, vcc_lo, s7, v30, vcc_lo
	v_add_co_u32 v11, vcc_lo, s8, v11
	v_mul_f32_e32 v70, v45, v70
	v_fmac_f32_e32 v73, v78, v74
	global_load_b32 v45, v[67:68], off
	v_fmac_f32_e32 v77, v79, v77
	v_div_scale_f32 v67, s1, 1.0, v75, 1.0
	v_add_co_ci_u32_e32 v12, vcc_lo, s9, v12, vcc_lo
	s_clause 0x1
	global_store_b32 v[65:66], v71, off
	global_store_b32 v[11:12], v60, off
	v_fma_f32 v11, -v69, v73, v76
	v_mul_f32_e32 v68, v67, v77
	s_mov_b32 vcc_lo, s0
	v_dual_mul_f32 v69, v37, v43 :: v_dual_min_f32 v60, 0x7cf0bdc2, v70
	s_delay_alu instid0(VALU_DEP_3) | instskip(NEXT) | instid1(VALU_DEP_3)
	v_div_fmas_f32 v11, v11, v74, v73
	v_fma_f32 v12, -v72, v68, v67
	v_mul_f32_e32 v70, v36, v41
	s_delay_alu instid0(VALU_DEP_4)
	v_mul_f32_e32 v65, v49, v69
	v_mul_f32_e32 v53, v60, v53
	v_div_fixup_f32 v66, v11, v47, 1.0
	v_fmac_f32_e32 v68, v12, v77
	v_lshlrev_b64 v[11:12], 2, v[1:2]
	v_div_scale_f32 v71, null, v70, v70, 1.0
	s_delay_alu instid0(VALU_DEP_4) | instskip(NEXT) | instid1(VALU_DEP_4)
	v_mul_f32_e32 v60, v65, v66
	v_fma_f32 v67, -v72, v68, v67
	v_add_nc_u32_e32 v1, s3, v1
	v_add_co_u32 v65, vcc_lo, s6, v11
	v_add_co_ci_u32_e32 v66, vcc_lo, s7, v12, vcc_lo
	v_rcp_f32_e32 v72, v71
	s_mov_b32 vcc_lo, s1
	v_min_f32_e32 v60, 0x7cf0bdc2, v60
	global_load_b32 v74, v[65:66], off
	v_div_fmas_f32 v67, v67, v77, v68
	v_add_co_u32 v9, vcc_lo, s8, v9
	v_add_co_ci_u32_e32 v10, vcc_lo, s9, v10, vcc_lo
	s_delay_alu instid0(VALU_DEP_3)
	v_div_fixup_f32 v66, v67, v75, 1.0
	v_fma_f32 v65, -v71, v72, 1.0
	v_div_scale_f32 v75, vcc_lo, 1.0, v70, 1.0
	global_store_b32 v[9:10], v53, off
	v_add_co_u32 v9, s0, s8, v13
	v_fmac_f32_e32 v72, v65, v72
	s_waitcnt vmcnt(13)
	v_mul_f32_e32 v53, v55, v60
	v_add_co_ci_u32_e64 v10, s0, s9, v14, s0
	v_mul_f32_e32 v60, v66, v69
	v_mul_f32_e32 v76, v75, v72
	;; [unrolled: 1-line block ×3, first 2 shown]
	global_store_b32 v[9:10], v53, off
	v_lshlrev_b64 v[9:10], 2, v[1:2]
	v_min_f32_e32 v13, 0x7cf0bdc2, v60
	v_fma_f32 v14, -v71, v76, v75
	v_add_nc_u32_e32 v1, s3, v1
	s_waitcnt vmcnt(11)
	v_mul_f32_e32 v63, v73, v63
	v_div_scale_f32 v78, null, v52, v52, 1.0
	v_mul_f32_e32 v77, v13, v54
	v_add_co_u32 v13, s0, s6, v9
	v_fmac_f32_e32 v76, v14, v72
	v_add_co_ci_u32_e64 v14, s0, s7, v10, s0
	v_lshlrev_b64 v[53:54], 2, v[1:2]
	v_add_nc_u32_e32 v1, s3, v1
	v_mul_f32_e32 v63, v49, v63
	global_load_b32 v79, v[13:14], off
	v_rcp_f32_e32 v81, v78
	v_lshlrev_b64 v[13:14], 2, v[1:2]
	v_add_nc_u32_e32 v1, s3, v1
	v_add_co_u32 v65, s1, s6, v53
	s_delay_alu instid0(VALU_DEP_1) | instskip(NEXT) | instid1(VALU_DEP_4)
	v_add_co_ci_u32_e64 v66, s1, s7, v54, s1
	v_add_co_u32 v67, s1, s6, v13
	s_delay_alu instid0(VALU_DEP_4)
	v_lshlrev_b64 v[1:2], 2, v[1:2]
	v_add_co_ci_u32_e64 v68, s1, s7, v14, s1
	s_clause 0x1
	global_load_b32 v82, v[65:66], off
	global_load_b32 v67, v[67:68], off
	v_add_co_u32 v65, s1, s6, v1
	s_delay_alu instid0(VALU_DEP_1)
	v_add_co_ci_u32_e64 v66, s1, s7, v2, s1
	v_div_scale_f32 v73, null, v63, v63, 1.0
	v_fma_f32 v68, -v71, v76, v75
	global_load_b32 v65, v[65:66], off
	v_fma_f32 v75, -v78, v81, 1.0
	v_rcp_f32_e32 v55, v73
	v_mul_f32_e32 v66, v33, v41
	v_add_co_u32 v5, s1, s8, v5
	s_delay_alu instid0(VALU_DEP_1) | instskip(SKIP_3) | instid1(TRANS32_DEP_1)
	v_add_co_ci_u32_e64 v6, s1, s9, v6, s1
	v_div_fmas_f32 v68, v68, v72, v76
	v_fmac_f32_e32 v81, v75, v81
	v_div_scale_f32 v72, s1, 1.0, v52, 1.0
	v_fma_f32 v60, -v73, v55, 1.0
	s_delay_alu instid0(VALU_DEP_4) | instskip(SKIP_4) | instid1(VALU_DEP_1)
	v_div_fixup_f32 v68, v68, v70, 1.0
	global_store_b32 v[5:6], v77, off
	v_mul_f32_e32 v6, v72, v81
	v_fmac_f32_e32 v55, v60, v55
	v_div_scale_f32 v60, s0, 1.0, v63, 1.0
	s_mov_b32 vcc_lo, s0
	s_delay_alu instid0(VALU_DEP_1) | instskip(NEXT) | instid1(VALU_DEP_1)
	v_mul_f32_e32 v80, v60, v55
	v_fma_f32 v71, -v73, v80, v60
	s_delay_alu instid0(VALU_DEP_1) | instskip(SKIP_1) | instid1(VALU_DEP_2)
	v_fmac_f32_e32 v80, v71, v55
	v_div_scale_f32 v71, null, v66, v66, 1.0
	v_fma_f32 v5, -v73, v80, v60
	s_delay_alu instid0(VALU_DEP_2) | instskip(SKIP_1) | instid1(VALU_DEP_2)
	v_rcp_f32_e32 v70, v71
	v_dual_mul_f32 v60, v68, v69 :: v_dual_mul_f32 v69, v39, v43
	v_div_fmas_f32 v5, v5, v55, v80
	v_fma_f32 v55, -v78, v6, v72
	s_delay_alu instid0(VALU_DEP_3) | instskip(SKIP_1) | instid1(VALU_DEP_3)
	v_min_f32_e32 v60, 0x7cf0bdc2, v60
	s_mov_b32 vcc_lo, s1
	v_div_fixup_f32 v5, v5, v63, 1.0
	s_waitcnt_depctr 0xfff
	v_fma_f32 v68, -v71, v70, 1.0
	v_fmac_f32_e32 v6, v55, v81
	v_mul_f32_e32 v55, v42, v41
	v_div_scale_f32 v63, s0, 1.0, v66, 1.0
	s_delay_alu instid0(VALU_DEP_4) | instskip(NEXT) | instid1(VALU_DEP_3)
	v_dual_fmac_f32 v70, v68, v70 :: v_dual_mul_f32 v5, v69, v5
	v_div_scale_f32 v68, null, v55, v55, 1.0
	s_waitcnt vmcnt(14)
	v_mul_f32_e32 v57, v60, v57
	v_fma_f32 v60, -v78, v6, v72
	v_mul_f32_e32 v72, v63, v70
	v_rcp_f32_e32 v73, v68
	v_min_f32_e32 v5, 0x7cf0bdc2, v5
	s_delay_alu instid0(VALU_DEP_3) | instskip(NEXT) | instid1(VALU_DEP_3)
	v_div_fmas_f32 v6, v60, v81, v6
	v_fma_f32 v60, -v71, v72, v63
	v_add_co_u32 v3, vcc_lo, s8, v3
	v_add_co_ci_u32_e32 v4, vcc_lo, s9, v4, vcc_lo
	s_delay_alu instid0(VALU_DEP_4) | instskip(NEXT) | instid1(TRANS32_DEP_1)
	v_div_fixup_f32 v52, v6, v52, 1.0
	v_fma_f32 v75, -v68, v73, 1.0
	v_fmac_f32_e32 v72, v60, v70
	v_div_scale_f32 v60, s1, 1.0, v55, 1.0
	s_waitcnt vmcnt(13)
	v_mul_f32_e32 v58, v58, v5
	v_fmac_f32_e32 v73, v75, v73
	v_div_scale_f32 v75, null, v34, v34, 1.0
	v_add_co_u32 v5, vcc_lo, s8, v7
	v_add_co_ci_u32_e32 v6, vcc_lo, s9, v8, vcc_lo
	v_mul_f32_e32 v7, v52, v69
	v_fma_f32 v8, -v71, v72, v63
	v_mul_f32_e32 v52, v60, v73
	v_rcp_f32_e32 v63, v75
	s_mov_b32 vcc_lo, s0
	global_store_b32 v[3:4], v57, off
	v_div_fmas_f32 v8, v8, v70, v72
	v_fma_f32 v70, -v68, v52, v60
	v_min_f32_e32 v3, 0x7cf0bdc2, v7
	v_mul_f32_e32 v7, v40, v41
	global_store_b32 v[5:6], v58, off
	s_mov_b32 vcc_lo, s1
	v_fmac_f32_e32 v52, v70, v73
	v_fma_f32 v5, -v75, v63, 1.0
	v_div_scale_f32 v57, null, v7, v7, 1.0
	s_waitcnt vmcnt(12)
	v_mul_f32_e32 v6, v3, v59
	v_fma_f32 v3, -v68, v52, v60
	v_fmac_f32_e32 v63, v5, v63
	v_div_scale_f32 v5, s0, 1.0, v34, 1.0
	v_rcp_f32_e32 v58, v57
	v_div_fixup_f32 v4, v8, v66, 1.0
	v_div_fmas_f32 v52, v3, v73, v52
	s_delay_alu instid0(VALU_DEP_3) | instskip(SKIP_1) | instid1(VALU_DEP_4)
	v_mul_f32_e32 v59, v5, v63
	v_add_co_u32 v3, vcc_lo, s8, v19
	v_mul_f32_e32 v8, v4, v69
	v_add_co_ci_u32_e32 v4, vcc_lo, s9, v20, vcc_lo
	v_mul_f32_e32 v19, v33, v43
	v_div_fixup_f32 v20, v52, v55, 1.0
	v_fma_f32 v52, -v75, v59, v5
	v_fma_f32 v55, -v57, v58, 1.0
	global_store_b32 v[3:4], v6, off
	v_add_co_u32 v3, vcc_lo, s8, v23
	v_mul_f32_e32 v6, v20, v19
	v_dual_fmac_f32 v59, v52, v63 :: v_dual_fmac_f32 v58, v55, v58
	v_div_scale_f32 v19, s1, 1.0, v7, 1.0
	v_mul_f32_e32 v20, v36, v43
	v_add_co_ci_u32_e32 v4, vcc_lo, s9, v24, vcc_lo
	s_delay_alu instid0(VALU_DEP_4) | instskip(NEXT) | instid1(VALU_DEP_4)
	v_fma_f32 v5, -v75, v59, v5
	v_mul_f32_e32 v23, v19, v58
	s_delay_alu instid0(VALU_DEP_4)
	v_div_scale_f32 v24, null, v20, v20, 1.0
	s_mov_b32 vcc_lo, s0
	v_min_f32_e32 v6, 0x7cf0bdc2, v6
	v_div_fmas_f32 v5, v5, v63, v59
	v_fma_f32 v36, -v57, v23, v19
	v_rcp_f32_e32 v59, v24
	s_waitcnt vmcnt(10)
	v_dual_mul_f32 v55, v32, v43 :: v_dual_mul_f32 v52, v6, v61
	v_div_fixup_f32 v34, v5, v34, 1.0
	v_fmac_f32_e32 v23, v36, v58
	v_add_co_u32 v5, vcc_lo, s8, v21
	v_mul_f32_e32 v21, v0, v35
	v_add_co_ci_u32_e32 v6, vcc_lo, s9, v22, vcc_lo
	v_mul_f32_e32 v22, v34, v55
	v_fma_f32 v19, -v57, v23, v19
	v_fma_f32 v34, -v24, v59, 1.0
	v_div_scale_f32 v35, null, v21, v21, 1.0
	s_mov_b32 vcc_lo, s1
	v_min_f32_e32 v8, 0x7cf0bdc2, v8
	v_div_fmas_f32 v19, v19, v58, v23
	v_fmac_f32_e32 v59, v34, v59
	v_div_scale_f32 v23, vcc_lo, 1.0, v20, 1.0
	v_rcp_f32_e32 v34, v35
	v_mul_f32_e32 v8, v8, v62
	v_mul_f32_e32 v36, v31, v43
	v_div_fixup_f32 v7, v19, v7, 1.0
	v_mul_f32_e32 v19, v23, v59
	s_clause 0x1
	global_store_b32 v[3:4], v8, off
	global_store_b32 v[5:6], v52, off
	v_add_co_u32 v3, s0, s8, v25
	v_mul_f32_e32 v5, v7, v36
	v_fma_f32 v6, -v24, v19, v23
	v_fma_f32 v7, -v35, v34, 1.0
	v_add_co_ci_u32_e64 v4, s0, s9, v26, s0
	s_delay_alu instid0(VALU_DEP_4) | instskip(NEXT) | instid1(VALU_DEP_3)
	v_dual_min_f32 v22, 0x7cf0bdc2, v22 :: v_dual_min_f32 v5, 0x7cf0bdc2, v5
	v_dual_fmac_f32 v19, v6, v59 :: v_dual_fmac_f32 v34, v7, v34
	v_div_scale_f32 v7, s0, 1.0, v21, 1.0
	v_mul_f32_e32 v25, v42, v43
	s_waitcnt vmcnt(9)
	v_mul_f32_e32 v8, v22, v48
	s_waitcnt vmcnt(8)
	v_mul_f32_e32 v22, v5, v64
	v_fma_f32 v5, -v24, v19, v23
	v_mul_f32_e32 v23, v7, v34
	v_div_scale_f32 v24, null, v25, v25, 1.0
	v_mul_f32_e32 v26, v37, v47
	s_delay_alu instid0(VALU_DEP_4) | instskip(NEXT) | instid1(VALU_DEP_4)
	v_div_fmas_f32 v19, v5, v59, v19
	v_fma_f32 v36, -v35, v23, v7
	s_delay_alu instid0(VALU_DEP_4) | instskip(SKIP_2) | instid1(VALU_DEP_3)
	v_rcp_f32_e32 v37, v24
	v_add_co_u32 v5, vcc_lo, s8, v17
	v_add_co_ci_u32_e32 v6, vcc_lo, s9, v18, vcc_lo
	v_fmac_f32_e32 v23, v36, v34
	global_store_b32 v[3:4], v8, off
	v_div_fixup_f32 v3, v19, v20, 1.0
	global_store_b32 v[5:6], v22, off
	v_mul_f32_e32 v22, v31, v41
	v_fma_f32 v5, -v35, v23, v7
	v_fma_f32 v6, -v24, v37, 1.0
	s_mov_b32 vcc_lo, s0
	v_mul_f32_e32 v17, v51, v26
	v_mul_f32_e32 v3, v3, v26
	v_div_fmas_f32 v5, v5, v34, v23
	v_fmac_f32_e32 v37, v6, v37
	v_div_scale_f32 v7, vcc_lo, 1.0, v25, 1.0
	v_dual_min_f32 v4, 0x7cf0bdc2, v17 :: v_dual_mul_f32 v17, v39, v47
	s_delay_alu instid0(VALU_DEP_4) | instskip(NEXT) | instid1(VALU_DEP_3)
	v_div_fixup_f32 v5, v5, v21, 1.0
	v_mul_f32_e32 v18, v7, v37
	v_min_f32_e32 v6, 0x7cf0bdc2, v3
	v_add_co_u32 v3, s0, s8, v15
	s_waitcnt vmcnt(7)
	v_mul_f32_e32 v8, v4, v38
	v_add_co_ci_u32_e64 v4, s0, s9, v16, s0
	v_mul_f32_e32 v16, v5, v17
	v_fma_f32 v17, -v24, v18, v7
	v_add_co_u32 v5, s0, s8, v27
	v_div_scale_f32 v19, null, v55, v55, 1.0
	s_waitcnt vmcnt(6)
	v_dual_mul_f32 v20, v0, v50 :: v_dual_mul_f32 v15, v6, v56
	v_add_co_ci_u32_e64 v6, s0, s9, v28, s0
	v_fmac_f32_e32 v18, v17, v37
	v_rcp_f32_e32 v17, v19
	s_clause 0x1
	global_store_b32 v[3:4], v8, off
	global_store_b32 v[5:6], v15, off
	v_mul_f32_e32 v6, v49, v20
	v_min_f32_e32 v16, 0x7cf0bdc2, v16
	v_fma_f32 v3, -v24, v18, v7
	v_mul_f32_e32 v7, v33, v47
	v_mul_f32_e32 v20, v40, v43
	v_div_scale_f32 v8, null, v6, v6, 1.0
	s_delay_alu instid0(VALU_DEP_4)
	v_div_fmas_f32 v3, v3, v37, v18
	v_fma_f32 v4, -v19, v17, 1.0
	s_waitcnt vmcnt(5)
	v_mul_f32_e32 v5, v16, v45
	v_rcp_f32_e32 v18, v8
	v_div_scale_f32 v16, vcc_lo, 1.0, v55, 1.0
	v_div_fixup_f32 v15, v3, v25, 1.0
	v_add_co_u32 v3, s0, s8, v29
	v_fmac_f32_e32 v17, v4, v17
	v_add_co_ci_u32_e64 v4, s0, s9, v30, s0
	s_delay_alu instid0(VALU_DEP_4) | instskip(SKIP_1) | instid1(VALU_DEP_4)
	v_mul_f32_e32 v7, v15, v7
	v_div_scale_f32 v21, null, v20, v20, 1.0
	v_mul_f32_e32 v15, v16, v17
	global_store_b32 v[3:4], v5, off
	v_fma_f32 v3, -v8, v18, 1.0
	v_div_scale_f32 v24, null, v22, v22, 1.0
	v_min_f32_e32 v4, 0x7cf0bdc2, v7
	v_rcp_f32_e32 v7, v21
	v_fma_f32 v5, -v19, v15, v16
	v_fmac_f32_e32 v18, v3, v18
	v_div_scale_f32 v23, s0, 1.0, v6, 1.0
	v_rcp_f32_e32 v27, v24
	s_delay_alu instid0(VALU_DEP_3) | instskip(SKIP_1) | instid1(VALU_DEP_3)
	v_fmac_f32_e32 v15, v5, v17
	v_add_co_u32 v3, s1, s8, v11
	v_mul_f32_e32 v5, v23, v18
	s_delay_alu instid0(TRANS32_DEP_2)
	v_fma_f32 v26, -v21, v7, 1.0
	s_waitcnt vmcnt(4)
	v_mul_f32_e32 v25, v4, v74
	v_add_co_ci_u32_e64 v4, s1, s9, v12, s1
	v_fma_f32 v11, -v19, v15, v16
	v_fma_f32 v12, -v8, v5, v23
	v_fma_f32 v19, -v24, v27, 1.0
	v_fmac_f32_e32 v7, v26, v7
	v_div_scale_f32 v16, s1, 1.0, v20, 1.0
	s_delay_alu instid0(VALU_DEP_4) | instskip(NEXT) | instid1(VALU_DEP_4)
	v_fmac_f32_e32 v5, v12, v18
	v_fmac_f32_e32 v27, v19, v27
	v_div_scale_f32 v12, s2, 1.0, v22, 1.0
	v_div_fmas_f32 v11, v11, v17, v15
	v_mul_f32_e32 v15, v16, v7
	v_fma_f32 v8, -v8, v5, v23
	s_delay_alu instid0(VALU_DEP_4)
	v_mul_f32_e32 v23, v12, v27
	s_mov_b32 vcc_lo, s0
	v_mul_f32_e32 v19, v44, v47
	v_fma_f32 v17, -v21, v15, v16
	v_div_fmas_f32 v5, v8, v18, v5
	v_fma_f32 v8, -v24, v23, v12
	v_div_fixup_f32 v11, v11, v55, 1.0
	s_mov_b32 vcc_lo, s1
	v_fmac_f32_e32 v15, v17, v7
	v_div_fixup_f32 v5, v5, v6, 1.0
	v_fmac_f32_e32 v23, v8, v27
	v_mul_f32_e32 v11, v11, v19
	v_mul_f32_e32 v17, v32, v47
	v_fma_f32 v16, -v21, v15, v16
	v_mul_f32_e32 v0, v0, v46
	v_fma_f32 v8, -v24, v23, v12
	s_delay_alu instid0(VALU_DEP_4) | instskip(NEXT) | instid1(VALU_DEP_4)
	v_mul_f32_e32 v5, v5, v17
	v_div_fmas_f32 v6, v16, v7, v15
	s_mov_b32 vcc_lo, s2
	v_min_f32_e32 v7, 0x7cf0bdc2, v11
	v_div_fmas_f32 v8, v8, v27, v23
	v_mul_f32_e32 v11, v31, v47
	v_div_fixup_f32 v6, v6, v20, 1.0
	s_waitcnt vmcnt(3)
	v_mul_f32_e32 v12, v7, v79
	v_div_fixup_f32 v8, v8, v22, 1.0
	v_min_f32_e32 v7, 0x7cf0bdc2, v5
	v_mul_f32_e32 v11, v6, v11
	v_add_co_u32 v5, vcc_lo, s8, v9
	s_delay_alu instid0(VALU_DEP_4) | instskip(SKIP_1) | instid1(VALU_DEP_4)
	v_mul_f32_e32 v0, v8, v0
	v_add_co_ci_u32_e32 v6, vcc_lo, s9, v10, vcc_lo
	v_min_f32_e32 v9, 0x7cf0bdc2, v11
	s_waitcnt vmcnt(2)
	v_mul_f32_e32 v15, v7, v82
	v_add_co_u32 v7, vcc_lo, s8, v53
	v_min_f32_e32 v0, 0x7cf0bdc2, v0
	v_add_co_ci_u32_e32 v8, vcc_lo, s9, v54, vcc_lo
	s_waitcnt vmcnt(1)
	v_mul_f32_e32 v11, v9, v67
	v_add_co_u32 v9, vcc_lo, s8, v13
	v_add_co_ci_u32_e32 v10, vcc_lo, s9, v14, vcc_lo
	s_waitcnt vmcnt(0)
	v_mul_f32_e32 v13, v0, v65
	v_add_co_u32 v0, vcc_lo, s8, v1
	v_add_co_ci_u32_e32 v1, vcc_lo, s9, v2, vcc_lo
	s_clause 0x4
	global_store_b32 v[3:4], v25, off
	global_store_b32 v[5:6], v12, off
	;; [unrolled: 1-line block ×5, first 2 shown]
	s_nop 0
	s_sendmsg sendmsg(MSG_DEALLOC_VGPRS)
	s_endpgm
	.section	.rodata,"a",@progbits
	.p2align	6, 0x0
	.amdhsa_kernel _Z12ratt9_kernelIfEvPKT_S2_PS0_S2_S0_
		.amdhsa_group_segment_fixed_size 0
		.amdhsa_private_segment_fixed_size 0
		.amdhsa_kernarg_size 296
		.amdhsa_user_sgpr_count 15
		.amdhsa_user_sgpr_dispatch_ptr 0
		.amdhsa_user_sgpr_queue_ptr 0
		.amdhsa_user_sgpr_kernarg_segment_ptr 1
		.amdhsa_user_sgpr_dispatch_id 0
		.amdhsa_user_sgpr_private_segment_size 0
		.amdhsa_wavefront_size32 1
		.amdhsa_uses_dynamic_stack 0
		.amdhsa_enable_private_segment 0
		.amdhsa_system_sgpr_workgroup_id_x 1
		.amdhsa_system_sgpr_workgroup_id_y 0
		.amdhsa_system_sgpr_workgroup_id_z 0
		.amdhsa_system_sgpr_workgroup_info 0
		.amdhsa_system_vgpr_workitem_id 0
		.amdhsa_next_free_vgpr 94
		.amdhsa_next_free_sgpr 16
		.amdhsa_reserve_vcc 1
		.amdhsa_float_round_mode_32 0
		.amdhsa_float_round_mode_16_64 0
		.amdhsa_float_denorm_mode_32 3
		.amdhsa_float_denorm_mode_16_64 3
		.amdhsa_dx10_clamp 1
		.amdhsa_ieee_mode 1
		.amdhsa_fp16_overflow 0
		.amdhsa_workgroup_processor_mode 1
		.amdhsa_memory_ordered 1
		.amdhsa_forward_progress 0
		.amdhsa_shared_vgpr_count 0
		.amdhsa_exception_fp_ieee_invalid_op 0
		.amdhsa_exception_fp_denorm_src 0
		.amdhsa_exception_fp_ieee_div_zero 0
		.amdhsa_exception_fp_ieee_overflow 0
		.amdhsa_exception_fp_ieee_underflow 0
		.amdhsa_exception_fp_ieee_inexact 0
		.amdhsa_exception_int_div_zero 0
	.end_amdhsa_kernel
	.section	.text._Z12ratt9_kernelIfEvPKT_S2_PS0_S2_S0_,"axG",@progbits,_Z12ratt9_kernelIfEvPKT_S2_PS0_S2_S0_,comdat
.Lfunc_end10:
	.size	_Z12ratt9_kernelIfEvPKT_S2_PS0_S2_S0_, .Lfunc_end10-_Z12ratt9_kernelIfEvPKT_S2_PS0_S2_S0_
                                        ; -- End function
	.section	.AMDGPU.csdata,"",@progbits
; Kernel info:
; codeLenInByte = 6540
; NumSgprs: 18
; NumVgprs: 94
; ScratchSize: 0
; MemoryBound: 0
; FloatMode: 240
; IeeeMode: 1
; LDSByteSize: 0 bytes/workgroup (compile time only)
; SGPRBlocks: 2
; VGPRBlocks: 11
; NumSGPRsForWavesPerEU: 18
; NumVGPRsForWavesPerEU: 94
; Occupancy: 16
; WaveLimiterHint : 0
; COMPUTE_PGM_RSRC2:SCRATCH_EN: 0
; COMPUTE_PGM_RSRC2:USER_SGPR: 15
; COMPUTE_PGM_RSRC2:TRAP_HANDLER: 0
; COMPUTE_PGM_RSRC2:TGID_X_EN: 1
; COMPUTE_PGM_RSRC2:TGID_Y_EN: 0
; COMPUTE_PGM_RSRC2:TGID_Z_EN: 0
; COMPUTE_PGM_RSRC2:TIDIG_COMP_CNT: 0
	.section	.text._Z13ratt10_kernelIfEvPKT_PS0_S0_,"axG",@progbits,_Z13ratt10_kernelIfEvPKT_PS0_S0_,comdat
	.protected	_Z13ratt10_kernelIfEvPKT_PS0_S0_ ; -- Begin function _Z13ratt10_kernelIfEvPKT_PS0_S0_
	.globl	_Z13ratt10_kernelIfEvPKT_PS0_S0_
	.p2align	8
	.type	_Z13ratt10_kernelIfEvPKT_PS0_S0_,@function
_Z13ratt10_kernelIfEvPKT_PS0_S0_:       ; @_Z13ratt10_kernelIfEvPKT_PS0_S0_
; %bb.0:
	s_clause 0x3
	s_load_b128 s[4:7], s[0:1], 0x0
	s_load_b32 s2, s[0:1], 0x10
	s_load_b32 s3, s[0:1], 0x18
	;; [unrolled: 1-line block ×3, first 2 shown]
	s_waitcnt lgkmcnt(0)
	s_and_b32 s1, s0, 0xffff
	s_delay_alu instid0(SALU_CYCLE_1) | instskip(SKIP_1) | instid1(VALU_DEP_1)
	v_mad_u64_u32 v[1:2], null, s15, s1, v[0:1]
	v_mov_b32_e32 v2, 0
	v_lshlrev_b64 v[4:5], 2, v[1:2]
	s_delay_alu instid0(VALU_DEP_1) | instskip(NEXT) | instid1(VALU_DEP_2)
	v_add_co_u32 v6, vcc_lo, s4, v4
	v_add_co_ci_u32_e32 v7, vcc_lo, s5, v5, vcc_lo
	global_load_b32 v0, v[6:7], off
	s_waitcnt vmcnt(0)
	v_mul_f32_e32 v3, s2, v0
	s_delay_alu instid0(VALU_DEP_1) | instskip(SKIP_1) | instid1(VALU_DEP_1)
	v_cmp_gt_f32_e32 vcc_lo, 0x800000, v3
	v_cndmask_b32_e64 v0, 1.0, 0x4f800000, vcc_lo
	v_mul_f32_e32 v0, v3, v0
	s_delay_alu instid0(VALU_DEP_1) | instskip(SKIP_3) | instid1(VALU_DEP_2)
	v_log_f32_e32 v0, v0
	s_waitcnt_depctr 0xfff
	v_mul_f32_e32 v6, 0x3f317217, v0
	v_cmp_gt_f32_e64 s0, 0x7f800000, |v0|
	v_fma_f32 v7, 0x3f317217, v0, -v6
	s_delay_alu instid0(VALU_DEP_1) | instskip(NEXT) | instid1(VALU_DEP_1)
	v_fmamk_f32 v7, v0, 0x3377d1cf, v7
	v_add_f32_e32 v6, v6, v7
	v_div_scale_f32 v7, null, v3, v3, 1.0
	s_delay_alu instid0(VALU_DEP_2) | instskip(NEXT) | instid1(VALU_DEP_2)
	v_cndmask_b32_e64 v0, v0, v6, s0
	v_rcp_f32_e32 v8, v7
	v_cndmask_b32_e64 v6, 0, 0x41b17218, vcc_lo
	s_mov_b32 s0, 0xbf666666
	s_delay_alu instid0(VALU_DEP_1) | instskip(SKIP_4) | instid1(VALU_DEP_2)
	v_sub_f32_e32 v0, v0, v6
	s_waitcnt_depctr 0xfff
	v_fma_f32 v9, -v7, v8, 1.0
	v_fmaak_f32 v6, s0, v0, 0x42291e26
	s_mov_b32 s0, 0xc05ae148
	v_fmac_f32_e32 v8, v9, v8
	v_div_scale_f32 v9, vcc_lo, 1.0, v3, 1.0
	s_delay_alu instid0(VALU_DEP_1) | instskip(NEXT) | instid1(VALU_DEP_1)
	v_mul_f32_e32 v10, v9, v8
	v_fma_f32 v11, -v7, v10, v9
	s_delay_alu instid0(VALU_DEP_1) | instskip(NEXT) | instid1(VALU_DEP_1)
	v_fmac_f32_e32 v10, v11, v8
	v_fma_f32 v7, -v7, v10, v9
	s_delay_alu instid0(VALU_DEP_1) | instskip(NEXT) | instid1(VALU_DEP_1)
	v_div_fmas_f32 v7, v7, v8, v10
	v_div_fixup_f32 v3, v7, v3, 1.0
	s_delay_alu instid0(VALU_DEP_1) | instskip(NEXT) | instid1(VALU_DEP_1)
	v_fmamk_f32 v6, v3, 0x4455ddf9, v6
	v_mul_f32_e32 v7, 0x3fb8aa3b, v6
	v_cmp_ngt_f32_e32 vcc_lo, 0xc2ce8ed0, v6
	s_delay_alu instid0(VALU_DEP_2) | instskip(SKIP_1) | instid1(VALU_DEP_1)
	v_fma_f32 v8, 0x3fb8aa3b, v6, -v7
	v_rndne_f32_e32 v9, v7
	v_dual_fmac_f32 v8, 0x32a5705f, v6 :: v_dual_sub_f32 v7, v7, v9
	s_delay_alu instid0(VALU_DEP_1) | instskip(SKIP_1) | instid1(VALU_DEP_2)
	v_add_f32_e32 v7, v7, v8
	v_cvt_i32_f32_e32 v8, v9
	v_exp_f32_e32 v7, v7
	s_waitcnt_depctr 0xfff
	v_ldexp_f32 v7, v7, v8
	s_delay_alu instid0(VALU_DEP_1) | instskip(SKIP_1) | instid1(VALU_DEP_2)
	v_cndmask_b32_e32 v7, 0, v7, vcc_lo
	v_cmp_nlt_f32_e32 vcc_lo, 0x42b17218, v6
	v_cndmask_b32_e32 v6, 0x7f800000, v7, vcc_lo
	v_add_co_u32 v4, vcc_lo, s6, v4
	v_add_co_ci_u32_e32 v5, vcc_lo, s7, v5, vcc_lo
	global_store_b32 v[4:5], v6, off
	v_fmaak_f32 v4, s0, v0, 0x427f2c2c
	s_mul_i32 s0, s3, s1
	s_mov_b32 s1, 0xc06f5c29
	s_delay_alu instid0(VALU_DEP_1) | instskip(NEXT) | instid1(VALU_DEP_1)
	v_dual_fmamk_f32 v4, v3, 0xc725ce53, v4 :: v_dual_add_nc_u32 v1, s0, v1
	v_mul_f32_e32 v5, 0x3fb8aa3b, v4
	v_cmp_ngt_f32_e32 vcc_lo, 0xc2ce8ed0, v4
	s_delay_alu instid0(VALU_DEP_2) | instskip(SKIP_1) | instid1(VALU_DEP_1)
	v_fma_f32 v6, 0x3fb8aa3b, v4, -v5
	v_rndne_f32_e32 v7, v5
	v_dual_fmac_f32 v6, 0x32a5705f, v4 :: v_dual_sub_f32 v5, v5, v7
	s_delay_alu instid0(VALU_DEP_1) | instskip(SKIP_1) | instid1(VALU_DEP_2)
	v_add_f32_e32 v5, v5, v6
	v_cvt_i32_f32_e32 v6, v7
	v_exp_f32_e32 v5, v5
	s_waitcnt_depctr 0xfff
	v_ldexp_f32 v5, v5, v6
	s_delay_alu instid0(VALU_DEP_1) | instskip(SKIP_1) | instid1(VALU_DEP_2)
	v_cndmask_b32_e32 v5, 0, v5, vcc_lo
	v_cmp_nlt_f32_e32 vcc_lo, 0x42b17218, v4
	v_cndmask_b32_e32 v6, 0x7f800000, v5, vcc_lo
	v_lshlrev_b64 v[4:5], 2, v[1:2]
	v_add_nc_u32_e32 v1, s0, v1
	s_delay_alu instid0(VALU_DEP_2) | instskip(NEXT) | instid1(VALU_DEP_3)
	v_add_co_u32 v4, vcc_lo, s6, v4
	v_add_co_ci_u32_e32 v5, vcc_lo, s7, v5, vcc_lo
	global_store_b32 v[4:5], v6, off
	v_fmaak_f32 v4, s1, v0, 0x4282ec81
	s_mov_b32 s1, 0xc0247ae1
	s_delay_alu instid0(VALU_DEP_1) | instskip(NEXT) | instid1(VALU_DEP_1)
	v_fmamk_f32 v4, v3, 0xc4738e8f, v4
	v_mul_f32_e32 v5, 0x3fb8aa3b, v4
	v_cmp_ngt_f32_e32 vcc_lo, 0xc2ce8ed0, v4
	s_delay_alu instid0(VALU_DEP_2) | instskip(SKIP_1) | instid1(VALU_DEP_1)
	v_fma_f32 v6, 0x3fb8aa3b, v4, -v5
	v_rndne_f32_e32 v7, v5
	v_dual_fmac_f32 v6, 0x32a5705f, v4 :: v_dual_sub_f32 v5, v5, v7
	s_delay_alu instid0(VALU_DEP_1) | instskip(SKIP_1) | instid1(VALU_DEP_2)
	v_add_f32_e32 v5, v5, v6
	v_cvt_i32_f32_e32 v6, v7
	v_exp_f32_e32 v5, v5
	s_waitcnt_depctr 0xfff
	v_ldexp_f32 v5, v5, v6
	s_delay_alu instid0(VALU_DEP_1) | instskip(SKIP_1) | instid1(VALU_DEP_2)
	v_cndmask_b32_e32 v5, 0, v5, vcc_lo
	v_cmp_nlt_f32_e32 vcc_lo, 0x42b17218, v4
	v_cndmask_b32_e32 v6, 0x7f800000, v5, vcc_lo
	v_lshlrev_b64 v[4:5], 2, v[1:2]
	v_add_nc_u32_e32 v1, s0, v1
	s_delay_alu instid0(VALU_DEP_2) | instskip(NEXT) | instid1(VALU_DEP_3)
	v_add_co_u32 v4, vcc_lo, s6, v4
	v_add_co_ci_u32_e32 v5, vcc_lo, s7, v5, vcc_lo
	global_store_b32 v[4:5], v6, off
	v_fmaak_f32 v4, s1, v0, 0x425e3fa3
	s_mov_b32 s1, 0xc048f5c3
	s_delay_alu instid0(VALU_DEP_1) | instskip(NEXT) | instid1(VALU_DEP_1)
	v_fmamk_f32 v4, v3, 0xc433455c, v4
	;; [unrolled: 26-line block ×17, first 2 shown]
	v_mul_f32_e32 v5, 0x3fb8aa3b, v4
	v_cmp_ngt_f32_e32 vcc_lo, 0xc2ce8ed0, v4
	s_delay_alu instid0(VALU_DEP_2) | instskip(SKIP_1) | instid1(VALU_DEP_1)
	v_fma_f32 v6, 0x3fb8aa3b, v4, -v5
	v_rndne_f32_e32 v7, v5
	v_dual_fmac_f32 v6, 0x32a5705f, v4 :: v_dual_sub_f32 v5, v5, v7
	s_delay_alu instid0(VALU_DEP_1) | instskip(SKIP_1) | instid1(VALU_DEP_2)
	v_add_f32_e32 v5, v5, v6
	v_cvt_i32_f32_e32 v6, v7
	v_exp_f32_e32 v5, v5
	s_waitcnt_depctr 0xfff
	v_ldexp_f32 v5, v5, v6
	s_delay_alu instid0(VALU_DEP_1) | instskip(SKIP_1) | instid1(VALU_DEP_2)
	v_cndmask_b32_e32 v5, 0, v5, vcc_lo
	v_cmp_nlt_f32_e32 vcc_lo, 0x42b17218, v4
	v_cndmask_b32_e32 v6, 0x7f800000, v5, vcc_lo
	v_lshlrev_b64 v[4:5], 2, v[1:2]
	v_add_nc_u32_e32 v1, s0, v1
	s_delay_alu instid0(VALU_DEP_2) | instskip(NEXT) | instid1(VALU_DEP_3)
	v_add_co_u32 v4, vcc_lo, s6, v4
	v_add_co_ci_u32_e32 v5, vcc_lo, s7, v5, vcc_lo
	global_store_b32 v[4:5], v6, off
	v_fmaak_f32 v4, s1, v0, 0x430a70b7
	s_mov_b32 s1, 0xc0d51eb8
	s_delay_alu instid0(SALU_CYCLE_1) | instskip(NEXT) | instid1(VALU_DEP_2)
	v_fmaak_f32 v0, s1, v0, 0x42b2aa32
	v_fmamk_f32 v4, v3, 0xc53bb18b, v4
	s_delay_alu instid0(VALU_DEP_2) | instskip(NEXT) | instid1(VALU_DEP_2)
	v_fmamk_f32 v0, v3, 0xc55c2844, v0
	v_mul_f32_e32 v5, 0x3fb8aa3b, v4
	v_cmp_ngt_f32_e32 vcc_lo, 0xc2ce8ed0, v4
	s_delay_alu instid0(VALU_DEP_3) | instskip(NEXT) | instid1(VALU_DEP_3)
	v_mul_f32_e32 v3, 0x3fb8aa3b, v0
	v_fma_f32 v6, 0x3fb8aa3b, v4, -v5
	v_rndne_f32_e32 v7, v5
	s_delay_alu instid0(VALU_DEP_1) | instskip(NEXT) | instid1(VALU_DEP_1)
	v_dual_fmac_f32 v6, 0x32a5705f, v4 :: v_dual_sub_f32 v5, v5, v7
	v_add_f32_e32 v5, v5, v6
	v_cvt_i32_f32_e32 v6, v7
	s_delay_alu instid0(VALU_DEP_2) | instskip(SKIP_2) | instid1(VALU_DEP_1)
	v_exp_f32_e32 v5, v5
	s_waitcnt_depctr 0xfff
	v_ldexp_f32 v5, v5, v6
	v_cndmask_b32_e32 v5, 0, v5, vcc_lo
	v_cmp_nlt_f32_e32 vcc_lo, 0x42b17218, v4
	s_delay_alu instid0(VALU_DEP_2) | instskip(SKIP_2) | instid1(VALU_DEP_2)
	v_cndmask_b32_e32 v6, 0x7f800000, v5, vcc_lo
	v_lshlrev_b64 v[4:5], 2, v[1:2]
	v_add_nc_u32_e32 v1, s0, v1
	v_add_co_u32 v4, vcc_lo, s6, v4
	s_delay_alu instid0(VALU_DEP_3) | instskip(SKIP_4) | instid1(VALU_DEP_1)
	v_add_co_ci_u32_e32 v5, vcc_lo, s7, v5, vcc_lo
	v_cmp_ngt_f32_e32 vcc_lo, 0xc2ce8ed0, v0
	global_store_b32 v[4:5], v6, off
	v_fma_f32 v4, 0x3fb8aa3b, v0, -v3
	v_rndne_f32_e32 v5, v3
	v_dual_fmac_f32 v4, 0x32a5705f, v0 :: v_dual_sub_f32 v3, v3, v5
	s_delay_alu instid0(VALU_DEP_1) | instskip(SKIP_1) | instid1(VALU_DEP_2)
	v_add_f32_e32 v3, v3, v4
	v_cvt_i32_f32_e32 v4, v5
	v_exp_f32_e32 v3, v3
	s_waitcnt_depctr 0xfff
	v_ldexp_f32 v3, v3, v4
	s_delay_alu instid0(VALU_DEP_1) | instskip(SKIP_2) | instid1(VALU_DEP_3)
	v_cndmask_b32_e32 v3, 0, v3, vcc_lo
	v_cmp_nlt_f32_e32 vcc_lo, 0x42b17218, v0
	v_lshlrev_b64 v[0:1], 2, v[1:2]
	v_cndmask_b32_e32 v3, 0x7f800000, v3, vcc_lo
	s_delay_alu instid0(VALU_DEP_2) | instskip(NEXT) | instid1(VALU_DEP_3)
	v_add_co_u32 v0, vcc_lo, s6, v0
	v_add_co_ci_u32_e32 v1, vcc_lo, s7, v1, vcc_lo
	global_store_b32 v[0:1], v3, off
	s_nop 0
	s_sendmsg sendmsg(MSG_DEALLOC_VGPRS)
	s_endpgm
	.section	.rodata,"a",@progbits
	.p2align	6, 0x0
	.amdhsa_kernel _Z13ratt10_kernelIfEvPKT_PS0_S0_
		.amdhsa_group_segment_fixed_size 0
		.amdhsa_private_segment_fixed_size 0
		.amdhsa_kernarg_size 280
		.amdhsa_user_sgpr_count 15
		.amdhsa_user_sgpr_dispatch_ptr 0
		.amdhsa_user_sgpr_queue_ptr 0
		.amdhsa_user_sgpr_kernarg_segment_ptr 1
		.amdhsa_user_sgpr_dispatch_id 0
		.amdhsa_user_sgpr_private_segment_size 0
		.amdhsa_wavefront_size32 1
		.amdhsa_uses_dynamic_stack 0
		.amdhsa_enable_private_segment 0
		.amdhsa_system_sgpr_workgroup_id_x 1
		.amdhsa_system_sgpr_workgroup_id_y 0
		.amdhsa_system_sgpr_workgroup_id_z 0
		.amdhsa_system_sgpr_workgroup_info 0
		.amdhsa_system_vgpr_workitem_id 0
		.amdhsa_next_free_vgpr 12
		.amdhsa_next_free_sgpr 16
		.amdhsa_reserve_vcc 1
		.amdhsa_float_round_mode_32 0
		.amdhsa_float_round_mode_16_64 0
		.amdhsa_float_denorm_mode_32 3
		.amdhsa_float_denorm_mode_16_64 3
		.amdhsa_dx10_clamp 1
		.amdhsa_ieee_mode 1
		.amdhsa_fp16_overflow 0
		.amdhsa_workgroup_processor_mode 1
		.amdhsa_memory_ordered 1
		.amdhsa_forward_progress 0
		.amdhsa_shared_vgpr_count 0
		.amdhsa_exception_fp_ieee_invalid_op 0
		.amdhsa_exception_fp_denorm_src 0
		.amdhsa_exception_fp_ieee_div_zero 0
		.amdhsa_exception_fp_ieee_overflow 0
		.amdhsa_exception_fp_ieee_underflow 0
		.amdhsa_exception_fp_ieee_inexact 0
		.amdhsa_exception_int_div_zero 0
	.end_amdhsa_kernel
	.section	.text._Z13ratt10_kernelIfEvPKT_PS0_S0_,"axG",@progbits,_Z13ratt10_kernelIfEvPKT_PS0_S0_,comdat
.Lfunc_end11:
	.size	_Z13ratt10_kernelIfEvPKT_PS0_S0_, .Lfunc_end11-_Z13ratt10_kernelIfEvPKT_PS0_S0_
                                        ; -- End function
	.section	.AMDGPU.csdata,"",@progbits
; Kernel info:
; codeLenInByte = 3756
; NumSgprs: 18
; NumVgprs: 12
; ScratchSize: 0
; MemoryBound: 0
; FloatMode: 240
; IeeeMode: 1
; LDSByteSize: 0 bytes/workgroup (compile time only)
; SGPRBlocks: 2
; VGPRBlocks: 1
; NumSGPRsForWavesPerEU: 18
; NumVGPRsForWavesPerEU: 12
; Occupancy: 16
; WaveLimiterHint : 0
; COMPUTE_PGM_RSRC2:SCRATCH_EN: 0
; COMPUTE_PGM_RSRC2:USER_SGPR: 15
; COMPUTE_PGM_RSRC2:TRAP_HANDLER: 0
; COMPUTE_PGM_RSRC2:TGID_X_EN: 1
; COMPUTE_PGM_RSRC2:TGID_Y_EN: 0
; COMPUTE_PGM_RSRC2:TGID_Z_EN: 0
; COMPUTE_PGM_RSRC2:TIDIG_COMP_CNT: 0
	.section	.text._Z11ratx_kernelIfEvPKT_S2_PS0_S3_S2_S0_,"axG",@progbits,_Z11ratx_kernelIfEvPKT_S2_PS0_S3_S2_S0_,comdat
	.protected	_Z11ratx_kernelIfEvPKT_S2_PS0_S3_S2_S0_ ; -- Begin function _Z11ratx_kernelIfEvPKT_S2_PS0_S3_S2_S0_
	.globl	_Z11ratx_kernelIfEvPKT_S2_PS0_S3_S2_S0_
	.p2align	8
	.type	_Z11ratx_kernelIfEvPKT_S2_PS0_S3_S2_S0_,@function
_Z11ratx_kernelIfEvPKT_S2_PS0_S3_S2_S0_: ; @_Z11ratx_kernelIfEvPKT_S2_PS0_S3_S2_S0_
; %bb.0:
	s_clause 0x2
	s_load_b32 s2, s[0:1], 0x3c
	s_load_b32 s12, s[0:1], 0x30
	s_load_b256 s[4:11], s[0:1], 0x0
	s_waitcnt lgkmcnt(0)
	s_and_b32 s2, s2, 0xffff
	s_delay_alu instid0(SALU_CYCLE_1) | instskip(SKIP_2) | instid1(VALU_DEP_1)
	v_mad_u64_u32 v[1:2], null, s15, s2, v[0:1]
	s_mul_i32 s12, s12, s2
	v_mov_b32_e32 v2, 0
	v_lshlrev_b64 v[17:18], 2, v[1:2]
	v_add_nc_u32_e32 v1, s12, v1
	s_delay_alu instid0(VALU_DEP_1) | instskip(SKIP_1) | instid1(VALU_DEP_4)
	v_lshlrev_b64 v[19:20], 2, v[1:2]
	v_add_nc_u32_e32 v1, s12, v1
	v_add_co_u32 v3, vcc_lo, s6, v17
	v_add_co_ci_u32_e32 v4, vcc_lo, s7, v18, vcc_lo
	s_delay_alu instid0(VALU_DEP_3) | instskip(SKIP_3) | instid1(VALU_DEP_3)
	v_lshlrev_b64 v[5:6], 2, v[1:2]
	v_add_nc_u32_e32 v1, s12, v1
	v_add_co_u32 v15, vcc_lo, s6, v19
	v_add_co_ci_u32_e32 v16, vcc_lo, s7, v20, vcc_lo
	v_lshlrev_b64 v[21:22], 2, v[1:2]
	v_add_nc_u32_e32 v1, s12, v1
	v_add_co_u32 v5, vcc_lo, s6, v5
	v_add_co_ci_u32_e32 v6, vcc_lo, s7, v6, vcc_lo
	s_delay_alu instid0(VALU_DEP_3) | instskip(SKIP_3) | instid1(VALU_DEP_3)
	v_lshlrev_b64 v[7:8], 2, v[1:2]
	v_add_nc_u32_e32 v1, s12, v1
	v_add_co_u32 v23, vcc_lo, s6, v21
	v_add_co_ci_u32_e32 v24, vcc_lo, s7, v22, vcc_lo
	;; [unrolled: 9-line block ×4, first 2 shown]
	v_lshlrev_b64 v[7:8], 2, v[1:2]
	v_add_nc_u32_e32 v1, s12, v1
	s_clause 0x7
	global_load_b32 v0, v[3:4], off
	global_load_b32 v37, v[15:16], off
	;; [unrolled: 1-line block ×8, first 2 shown]
	v_add_co_u32 v15, vcc_lo, s6, v31
	v_add_co_ci_u32_e32 v16, vcc_lo, s7, v32, vcc_lo
	v_lshlrev_b64 v[5:6], 2, v[1:2]
	v_add_nc_u32_e32 v1, s12, v1
	v_add_co_u32 v23, vcc_lo, s6, v7
	v_add_co_ci_u32_e32 v24, vcc_lo, s7, v8, vcc_lo
	s_delay_alu instid0(VALU_DEP_3) | instskip(SKIP_3) | instid1(VALU_DEP_3)
	v_lshlrev_b64 v[3:4], 2, v[1:2]
	v_add_nc_u32_e32 v1, s12, v1
	v_add_co_u32 v25, vcc_lo, s6, v5
	v_add_co_ci_u32_e32 v26, vcc_lo, s7, v6, vcc_lo
	v_lshlrev_b64 v[27:28], 2, v[1:2]
	v_add_nc_u32_e32 v1, s12, v1
	v_add_co_u32 v29, vcc_lo, s6, v3
	v_add_co_ci_u32_e32 v30, vcc_lo, s7, v4, vcc_lo
	s_delay_alu instid0(VALU_DEP_3)
	v_lshlrev_b64 v[31:32], 2, v[1:2]
	v_add_nc_u32_e32 v1, s12, v1
	v_add_co_u32 v27, vcc_lo, s6, v27
	v_add_co_ci_u32_e32 v28, vcc_lo, s7, v28, vcc_lo
	s_clause 0x4
	global_load_b32 v44, v[15:16], off
	global_load_b32 v45, v[23:24], off
	;; [unrolled: 1-line block ×5, first 2 shown]
	v_lshlrev_b64 v[23:24], 2, v[1:2]
	v_add_nc_u32_e32 v1, s12, v1
	v_add_co_u32 v25, vcc_lo, s6, v31
	v_add_co_ci_u32_e32 v26, vcc_lo, s7, v32, vcc_lo
	s_delay_alu instid0(VALU_DEP_3) | instskip(SKIP_3) | instid1(VALU_DEP_3)
	v_lshlrev_b64 v[15:16], 2, v[1:2]
	v_add_nc_u32_e32 v1, s12, v1
	v_add_co_u32 v23, vcc_lo, s6, v23
	v_add_co_ci_u32_e32 v24, vcc_lo, s7, v24, vcc_lo
	v_lshlrev_b64 v[27:28], 2, v[1:2]
	v_add_nc_u32_e32 v1, s12, v1
	v_add_co_u32 v31, vcc_lo, s6, v15
	v_add_co_ci_u32_e32 v32, vcc_lo, s7, v16, vcc_lo
	s_delay_alu instid0(VALU_DEP_3) | instskip(SKIP_3) | instid1(VALU_DEP_3)
	v_lshlrev_b64 v[29:30], 2, v[1:2]
	v_add_nc_u32_e32 v1, s12, v1
	v_add_co_u32 v27, vcc_lo, s6, v27
	v_add_co_ci_u32_e32 v28, vcc_lo, s7, v28, vcc_lo
	v_lshlrev_b64 v[35:36], 2, v[1:2]
	v_add_nc_u32_e32 v1, s12, v1
	v_add_co_u32 v33, vcc_lo, s6, v29
	v_add_co_ci_u32_e32 v34, vcc_lo, s7, v30, vcc_lo
	s_clause 0x4
	global_load_b32 v29, v[25:26], off
	global_load_b32 v30, v[23:24], off
	;; [unrolled: 1-line block ×5, first 2 shown]
	v_lshlrev_b64 v[23:24], 2, v[1:2]
	v_add_co_u32 v25, vcc_lo, s6, v35
	v_add_co_ci_u32_e32 v26, vcc_lo, s7, v36, vcc_lo
	v_add_nc_u32_e32 v1, s12, v1
	s_delay_alu instid0(VALU_DEP_4)
	v_add_co_u32 v23, vcc_lo, s6, v23
	v_add_co_ci_u32_e32 v24, vcc_lo, s7, v24, vcc_lo
	v_add_co_u32 v35, vcc_lo, s8, v15
	v_add_co_ci_u32_e32 v36, vcc_lo, s9, v16, vcc_lo
	s_clause 0x1
	global_load_b32 v34, v[25:26], off
	global_load_b32 v49, v[23:24], off
	v_lshlrev_b64 v[27:28], 2, v[1:2]
	v_add_nc_u32_e32 v1, s12, v1
	global_load_b32 v50, v[35:36], off
	v_lshlrev_b64 v[23:24], 2, v[1:2]
	v_add_co_u32 v25, vcc_lo, s6, v27
	v_add_co_ci_u32_e32 v26, vcc_lo, s7, v28, vcc_lo
	s_delay_alu instid0(VALU_DEP_3) | instskip(NEXT) | instid1(VALU_DEP_4)
	v_add_co_u32 v23, vcc_lo, s6, v23
	v_add_co_ci_u32_e32 v24, vcc_lo, s7, v24, vcc_lo
	s_clause 0x1
	global_load_b32 v25, v[25:26], off
	global_load_b32 v26, v[23:24], off
	s_clause 0x1
	s_load_b64 s[2:3], s[0:1], 0x20
	s_load_b32 s0, s[0:1], 0x28
	s_waitcnt lgkmcnt(0)
	v_add_co_u32 v23, vcc_lo, s2, v17
	v_add_co_ci_u32_e32 v24, vcc_lo, s3, v18, vcc_lo
	v_add_co_u32 v17, vcc_lo, s4, v17
	v_add_co_ci_u32_e32 v18, vcc_lo, s5, v18, vcc_lo
	global_load_b32 v23, v[23:24], off
	global_load_b32 v17, v[17:18], off
	s_mov_b32 s4, 0x3f2b851f
	s_mov_b32 s5, 0xbfa28f5c
	s_waitcnt vmcnt(24)
	v_add_f32_e32 v18, 0, v0
	s_waitcnt vmcnt(4)
	v_div_scale_f32 v24, null, v50, v50, 1.0
	s_delay_alu instid0(VALU_DEP_1) | instskip(NEXT) | instid1(VALU_DEP_2)
	v_rcp_f32_e32 v27, v24
	v_add_f32_e32 v18, v18, v37
	s_delay_alu instid0(VALU_DEP_1) | instskip(NEXT) | instid1(VALU_DEP_1)
	v_add_f32_e32 v18, v18, v38
	v_add_f32_e32 v18, v18, v39
	s_delay_alu instid0(VALU_DEP_1) | instskip(NEXT) | instid1(VALU_DEP_1)
	v_add_f32_e32 v18, v18, v40
	v_add_f32_e32 v18, v18, v41
	s_delay_alu instid0(VALU_DEP_1) | instskip(NEXT) | instid1(VALU_DEP_1)
	v_add_f32_e32 v18, v18, v42
	v_add_f32_e32 v18, v18, v43
	s_delay_alu instid0(VALU_DEP_1) | instskip(NEXT) | instid1(VALU_DEP_1)
	v_add_f32_e32 v18, v18, v44
	v_add_f32_e32 v18, v18, v45
	s_delay_alu instid0(VALU_DEP_1) | instskip(NEXT) | instid1(VALU_DEP_1)
	v_add_f32_e32 v18, v18, v46
	v_add_f32_e32 v18, v18, v47
	s_delay_alu instid0(VALU_DEP_1) | instskip(NEXT) | instid1(VALU_DEP_1)
	v_add_f32_e32 v18, v18, v48
	v_add_f32_e32 v18, v18, v29
	s_delay_alu instid0(VALU_DEP_1) | instskip(NEXT) | instid1(VALU_DEP_1)
	v_add_f32_e32 v18, v18, v30
	v_add_f32_e32 v18, v18, v31
	s_delay_alu instid0(VALU_DEP_1) | instskip(NEXT) | instid1(VALU_DEP_1)
	v_add_f32_e32 v18, v18, v32
	v_add_f32_e32 v18, v18, v33
	s_delay_alu instid0(VALU_DEP_1) | instskip(NEXT) | instid1(VALU_DEP_1)
	v_add_f32_e32 v18, v18, v34
	v_add_f32_e32 v18, v18, v49
	s_waitcnt vmcnt(3)
	s_delay_alu instid0(VALU_DEP_1) | instskip(SKIP_2) | instid1(VALU_DEP_1)
	v_add_f32_e32 v18, v18, v25
	v_fma_f32 v25, -v24, v27, 1.0
	s_waitcnt vmcnt(2)
	v_dual_add_f32 v18, v18, v26 :: v_dual_fmac_f32 v27, v25, v27
	s_delay_alu instid0(VALU_DEP_1) | instskip(SKIP_1) | instid1(VALU_DEP_1)
	v_add_f32_e32 v0, v18, v0
	v_div_scale_f32 v18, vcc_lo, 1.0, v50, 1.0
	v_dual_fmamk_f32 v0, v41, 0x40a00000, v0 :: v_dual_mul_f32 v25, v18, v27
	s_delay_alu instid0(VALU_DEP_1) | instskip(NEXT) | instid1(VALU_DEP_2)
	v_add_f32_e32 v0, v45, v0
	v_fma_f32 v26, -v24, v25, v18
	s_delay_alu instid0(VALU_DEP_1) | instskip(NEXT) | instid1(VALU_DEP_1)
	v_dual_fmac_f32 v0, 0.5, v46 :: v_dual_fmac_f32 v25, v26, v27
	v_add_f32_e32 v32, v47, v0
	s_delay_alu instid0(VALU_DEP_2) | instskip(SKIP_1) | instid1(VALU_DEP_2)
	v_fma_f32 v0, -v24, v25, v18
	s_waitcnt vmcnt(0)
	v_dual_fmac_f32 v32, 2.0, v31 :: v_dual_mul_f32 v31, s0, v17
	s_delay_alu instid0(VALU_DEP_1) | instskip(NEXT) | instid1(VALU_DEP_1)
	v_div_scale_f32 v24, null, v31, v31, 1.0
	v_rcp_f32_e32 v26, v24
	s_waitcnt_depctr 0xfff
	v_fma_f32 v33, -v24, v26, 1.0
	s_delay_alu instid0(VALU_DEP_1) | instskip(SKIP_3) | instid1(VALU_DEP_3)
	v_fmac_f32_e32 v26, v33, v26
	v_div_fmas_f32 v0, v0, v27, v25
	v_fma_f32 v27, 2.0, v29, v32
	v_fmac_f32_e32 v32, 0x3fc00000, v29
	v_div_fixup_f32 v0, v0, v50, 1.0
	s_delay_alu instid0(VALU_DEP_3) | instskip(NEXT) | instid1(VALU_DEP_3)
	v_fmac_f32_e32 v27, 2.0, v30
	v_fmac_f32_e32 v32, 0x3fc00000, v30
	s_delay_alu instid0(VALU_DEP_2) | instskip(NEXT) | instid1(VALU_DEP_1)
	v_mul_f32_e32 v0, v27, v0
	v_fma_f32 v18, v23, v0, 1.0
	v_mul_f32_e32 v0, v23, v0
	s_delay_alu instid0(VALU_DEP_2) | instskip(SKIP_1) | instid1(VALU_DEP_2)
	v_div_scale_f32 v17, null, v18, v18, 1.0
	v_div_scale_f32 v34, vcc_lo, 1.0, v18, 1.0
	v_rcp_f32_e32 v25, v17
	s_waitcnt_depctr 0xfff
	v_fma_f32 v28, -v17, v25, 1.0
	s_delay_alu instid0(VALU_DEP_1) | instskip(SKIP_1) | instid1(VALU_DEP_2)
	v_fmac_f32_e32 v25, v28, v25
	v_div_scale_f32 v28, s0, 1.0, v31, 1.0
	v_mul_f32_e32 v33, v34, v25
	s_delay_alu instid0(VALU_DEP_2) | instskip(NEXT) | instid1(VALU_DEP_2)
	v_mul_f32_e32 v37, v28, v26
	v_fma_f32 v38, -v17, v33, v34
	s_delay_alu instid0(VALU_DEP_2) | instskip(NEXT) | instid1(VALU_DEP_2)
	v_fma_f32 v39, -v24, v37, v28
	v_fmac_f32_e32 v33, v38, v25
	s_delay_alu instid0(VALU_DEP_2) | instskip(NEXT) | instid1(VALU_DEP_2)
	v_fmac_f32_e32 v37, v39, v26
	v_fma_f32 v17, -v17, v33, v34
	s_delay_alu instid0(VALU_DEP_2) | instskip(SKIP_1) | instid1(VALU_DEP_3)
	v_fma_f32 v24, -v24, v37, v28
	v_mul_f32_e32 v34, 0xba1548e5, v31
	v_div_fmas_f32 v17, v17, v25, v33
	s_mov_b32 vcc_lo, s0
	v_mul_f32_e32 v25, 0xbc2e4c41, v31
	v_div_fmas_f32 v24, v24, v26, v37
	v_mul_f32_e32 v26, 0x3fb8aa3b, v34
	v_cmp_ngt_f32_e32 vcc_lo, 0xc2ce8ed0, v34
	v_div_fixup_f32 v17, v17, v18, 1.0
	s_delay_alu instid0(VALU_DEP_4) | instskip(NEXT) | instid1(VALU_DEP_4)
	v_div_fixup_f32 v28, v24, v31, 1.0
	v_fma_f32 v33, 0x3fb8aa3b, v34, -v26
	v_rndne_f32_e32 v37, v26
	s_delay_alu instid0(VALU_DEP_3) | instskip(NEXT) | instid1(VALU_DEP_2)
	v_mul_f32_e32 v38, 0xc5a1f000, v28
	v_dual_fmac_f32 v33, 0x32a5705f, v34 :: v_dual_sub_f32 v26, v26, v37
	v_cvt_i32_f32_e32 v37, v37
	s_delay_alu instid0(VALU_DEP_2) | instskip(NEXT) | instid1(VALU_DEP_1)
	v_dual_mul_f32 v41, 0x3fb8aa3b, v38 :: v_dual_add_f32 v26, v26, v33
	v_rndne_f32_e32 v42, v41
	v_mul_f32_e32 v24, 0x3fb8aa3b, v25
	v_fma_f32 v33, 0x3fb8aa3b, v38, -v41
	s_delay_alu instid0(VALU_DEP_4) | instskip(NEXT) | instid1(VALU_DEP_2)
	v_exp_f32_e32 v26, v26
	v_fma_f32 v39, 0x3fb8aa3b, v25, -v24
	v_rndne_f32_e32 v40, v24
	s_delay_alu instid0(VALU_DEP_3) | instskip(NEXT) | instid1(VALU_DEP_2)
	v_fmac_f32_e32 v33, 0x32a5705f, v38
	v_dual_fmac_f32 v39, 0x32a5705f, v25 :: v_dual_sub_f32 v24, v24, v40
	s_waitcnt_depctr 0xfff
	v_ldexp_f32 v26, v26, v37
	v_cvt_i32_f32_e32 v37, v42
	v_dual_add_f32 v24, v24, v39 :: v_dual_sub_f32 v39, v41, v42
	s_delay_alu instid0(VALU_DEP_3) | instskip(SKIP_1) | instid1(VALU_DEP_3)
	v_cndmask_b32_e32 v26, 0, v26, vcc_lo
	v_cmp_ngt_f32_e32 vcc_lo, 0xc2ce8ed0, v25
	v_add_f32_e32 v33, v39, v33
	s_delay_alu instid0(VALU_DEP_4) | instskip(SKIP_2) | instid1(VALU_DEP_3)
	v_exp_f32_e32 v24, v24
	v_cvt_i32_f32_e32 v39, v40
	v_mul_f32_e32 v40, 0xc620f000, v28
	v_exp_f32_e32 v33, v33
	s_delay_alu instid0(VALU_DEP_1) | instskip(SKIP_4) | instid1(VALU_DEP_3)
	v_mul_f32_e32 v41, 0x3fb8aa3b, v40
	s_waitcnt_depctr 0xfff
	v_ldexp_f32 v24, v24, v39
	v_fma_f32 v42, 0x3fb8aa3b, v40, -v41
	v_rndne_f32_e32 v43, v41
	v_cndmask_b32_e32 v24, 0, v24, vcc_lo
	v_cmp_nlt_f32_e32 vcc_lo, 0x42b17218, v34
	v_ldexp_f32 v34, v33, v37
	s_delay_alu instid0(VALU_DEP_4) | instskip(SKIP_4) | instid1(VALU_DEP_4)
	v_dual_fmac_f32 v42, 0x32a5705f, v40 :: v_dual_sub_f32 v41, v41, v43
	v_cndmask_b32_e32 v26, 0x7f800000, v26, vcc_lo
	v_cmp_nlt_f32_e32 vcc_lo, 0x42b17218, v25
	v_cndmask_b32_e32 v33, 0x7f800000, v24, vcc_lo
	v_cmp_ngt_f32_e32 vcc_lo, 0xc2ce8ed0, v38
	v_mul_f32_e32 v24, 0x3f3c0ebf, v26
	v_cndmask_b32_e32 v25, 0, v34, vcc_lo
	v_cmp_nlt_f32_e32 vcc_lo, 0x42b17218, v38
	s_delay_alu instid0(VALU_DEP_3) | instskip(NEXT) | instid1(VALU_DEP_3)
	v_fmamk_f32 v24, v33, 0x3e87e282, v24
	v_cndmask_b32_e32 v25, 0x7f800000, v25, vcc_lo
	s_delay_alu instid0(VALU_DEP_1) | instskip(NEXT) | instid1(VALU_DEP_1)
	v_add_f32_e32 v24, v25, v24
	v_max_f32_e32 v23, 0x800000, v24
	v_max_f32_e32 v24, 0x800000, v0
	v_mul_f32_e32 v0, v0, v17
	s_delay_alu instid0(VALU_DEP_3) | instskip(NEXT) | instid1(VALU_DEP_3)
	v_cmp_gt_f32_e32 vcc_lo, 0x800000, v23
	v_cmp_gt_f32_e64 s0, 0x800000, v24
	v_cndmask_b32_e64 v25, 1.0, 0x4f800000, vcc_lo
	s_delay_alu instid0(VALU_DEP_2) | instskip(SKIP_1) | instid1(VALU_DEP_3)
	v_cndmask_b32_e64 v26, 1.0, 0x4f800000, s0
	v_cndmask_b32_e64 v34, 0, 0x411a209b, vcc_lo
	v_mul_f32_e32 v23, v23, v25
	s_delay_alu instid0(VALU_DEP_1) | instskip(SKIP_3) | instid1(VALU_DEP_2)
	v_log_f32_e32 v23, v23
	s_waitcnt_depctr 0xfff
	v_mul_f32_e32 v25, 0x3e9a209a, v23
	v_cmp_gt_f32_e64 vcc_lo, 0x7f800000, |v23|
	v_fma_f32 v25, 0x3e9a209a, v23, -v25
	s_delay_alu instid0(VALU_DEP_1) | instskip(NEXT) | instid1(VALU_DEP_1)
	v_dual_mul_f32 v24, v24, v26 :: v_dual_fmac_f32 v25, 0x3284fbcf, v23
	v_log_f32_e32 v24, v24
	s_delay_alu instid0(VALU_DEP_1) | instskip(SKIP_4) | instid1(VALU_DEP_3)
	v_fmac_f32_e32 v25, 0x3e9a209a, v23
	s_waitcnt_depctr 0xfff
	v_dual_cndmask_b32 v23, v23, v25 :: v_dual_mul_f32 v26, 0x3e9a209a, v24
	v_cmp_gt_f32_e64 vcc_lo, 0x7f800000, |v24|
	v_cndmask_b32_e64 v25, 0, 0x411a209b, s0
	v_sub_f32_e32 v23, v23, v34
	s_delay_alu instid0(VALU_DEP_4) | instskip(NEXT) | instid1(VALU_DEP_1)
	v_fma_f32 v26, 0x3e9a209a, v24, -v26
	v_fmac_f32_e32 v26, 0x3284fbcf, v24
	s_delay_alu instid0(VALU_DEP_1) | instskip(NEXT) | instid1(VALU_DEP_1)
	v_fmac_f32_e32 v26, 0x3e9a209a, v24
	v_cndmask_b32_e32 v24, v24, v26, vcc_lo
	v_fmaak_f32 v26, s5, v23, 0x3f400000
	s_delay_alu instid0(VALU_DEP_2) | instskip(NEXT) | instid1(VALU_DEP_1)
	v_dual_sub_f32 v24, v24, v25 :: v_dual_fmaak_f32 v25, s4, v23, 0x3ecccccd
	v_sub_f32_e32 v24, v24, v25
	s_delay_alu instid0(VALU_DEP_1) | instskip(NEXT) | instid1(VALU_DEP_1)
	v_fmac_f32_e32 v26, 0xbe0f5c29, v24
	v_div_scale_f32 v25, null, v26, v26, 1.0
	v_div_scale_f32 v38, vcc_lo, 1.0, v26, 1.0
	s_delay_alu instid0(VALU_DEP_2) | instskip(SKIP_2) | instid1(VALU_DEP_1)
	v_rcp_f32_e32 v34, v25
	s_waitcnt_depctr 0xfff
	v_fma_f32 v37, -v25, v34, 1.0
	v_fmac_f32_e32 v34, v37, v34
	s_delay_alu instid0(VALU_DEP_1) | instskip(NEXT) | instid1(VALU_DEP_1)
	v_mul_f32_e32 v37, v38, v34
	v_fma_f32 v39, -v25, v37, v38
	s_delay_alu instid0(VALU_DEP_1) | instskip(NEXT) | instid1(VALU_DEP_1)
	v_fmac_f32_e32 v37, v39, v34
	v_fma_f32 v25, -v25, v37, v38
	s_delay_alu instid0(VALU_DEP_1) | instskip(NEXT) | instid1(VALU_DEP_1)
	v_div_fmas_f32 v25, v25, v34, v37
	v_div_fixup_f32 v25, v25, v26, 1.0
	s_delay_alu instid0(VALU_DEP_1) | instskip(NEXT) | instid1(VALU_DEP_1)
	v_mul_f32_e32 v24, v24, v25
	v_fma_f32 v24, v24, v24, 1.0
	s_delay_alu instid0(VALU_DEP_1) | instskip(SKIP_1) | instid1(VALU_DEP_2)
	v_div_scale_f32 v25, null, v24, v24, 1.0
	v_div_scale_f32 v37, vcc_lo, 1.0, v24, 1.0
	v_rcp_f32_e32 v26, v25
	s_waitcnt_depctr 0xfff
	v_fma_f32 v34, -v25, v26, 1.0
	s_delay_alu instid0(VALU_DEP_1) | instskip(NEXT) | instid1(VALU_DEP_1)
	v_fmac_f32_e32 v26, v34, v26
	v_mul_f32_e32 v34, v37, v26
	s_delay_alu instid0(VALU_DEP_1) | instskip(NEXT) | instid1(VALU_DEP_1)
	v_fma_f32 v38, -v25, v34, v37
	v_fmac_f32_e32 v34, v38, v26
	s_delay_alu instid0(VALU_DEP_1) | instskip(NEXT) | instid1(VALU_DEP_1)
	v_fma_f32 v25, -v25, v34, v37
	v_div_fmas_f32 v25, v25, v26, v34
	s_delay_alu instid0(VALU_DEP_1) | instskip(NEXT) | instid1(VALU_DEP_1)
	v_div_fixup_f32 v24, v25, v24, 1.0
	v_mul_f32_e32 v25, v23, v24
	s_delay_alu instid0(VALU_DEP_1) | instskip(SKIP_1) | instid1(VALU_DEP_2)
	v_mul_f32_e32 v23, 0x40549a78, v25
	v_cmp_ngt_f32_e32 vcc_lo, 0xc23369f4, v25
	v_fma_f32 v24, 0x40549a78, v25, -v23
	v_rndne_f32_e32 v26, v23
	s_delay_alu instid0(VALU_DEP_1) | instskip(NEXT) | instid1(VALU_DEP_1)
	v_dual_fmac_f32 v24, 0x33979a37, v25 :: v_dual_sub_f32 v23, v23, v26
	v_add_f32_e32 v23, v24, v23
	v_cvt_i32_f32_e32 v24, v26
	s_delay_alu instid0(VALU_DEP_2) | instskip(SKIP_2) | instid1(VALU_DEP_1)
	v_exp_f32_e32 v23, v23
	s_waitcnt_depctr 0xfff
	v_ldexp_f32 v23, v23, v24
	v_cndmask_b32_e32 v18, 0, v23, vcc_lo
	v_mad_u64_u32 v[23:24], null, s12, 9, v[1:2]
	v_cmp_nlt_f32_e32 vcc_lo, 0x421a209b, v25
	s_delay_alu instid0(VALU_DEP_3) | instskip(NEXT) | instid1(VALU_DEP_1)
	v_dual_mov_b32 v24, v2 :: v_dual_cndmask_b32 v1, 0x7f800000, v18
	v_lshlrev_b64 v[17:18], 2, v[23:24]
	s_delay_alu instid0(VALU_DEP_2) | instskip(NEXT) | instid1(VALU_DEP_2)
	v_mul_f32_e32 v34, v0, v1
	v_add_co_u32 v0, vcc_lo, s8, v17
	s_delay_alu instid0(VALU_DEP_3) | instskip(NEXT) | instid1(VALU_DEP_3)
	v_add_co_ci_u32_e32 v1, vcc_lo, s9, v18, vcc_lo
	v_mul_f32_e32 v24, v50, v34
	v_add_co_u32 v19, vcc_lo, s2, v19
	v_add_co_ci_u32_e32 v20, vcc_lo, s3, v20, vcc_lo
	global_store_b32 v[35:36], v24, off
	global_load_b32 v26, v[0:1], off
	v_mul_f32_e32 v24, 0xbba655c4, v31
	global_load_b32 v19, v[19:20], off
	v_mul_f32_e32 v35, 0x3fb8aa3b, v24
	s_delay_alu instid0(VALU_DEP_1) | instskip(SKIP_1) | instid1(VALU_DEP_1)
	v_fma_f32 v38, 0x3fb8aa3b, v24, -v35
	v_rndne_f32_e32 v39, v35
	v_dual_fmac_f32 v38, 0x32a5705f, v24 :: v_dual_sub_f32 v35, v35, v39
	v_cvt_i32_f32_e32 v39, v39
	s_delay_alu instid0(VALU_DEP_2) | instskip(NEXT) | instid1(VALU_DEP_1)
	v_add_f32_e32 v35, v35, v38
	v_exp_f32_e32 v35, v35
	s_waitcnt_depctr 0xfff
	v_ldexp_f32 v35, v35, v39
	s_waitcnt vmcnt(1)
	v_div_scale_f32 v44, vcc_lo, 1.0, v26, 1.0
	v_mul_f32_e32 v20, 0xba2a392f, v31
	s_delay_alu instid0(VALU_DEP_1) | instskip(NEXT) | instid1(VALU_DEP_1)
	v_mul_f32_e32 v25, 0x3fb8aa3b, v20
	v_fma_f32 v36, 0x3fb8aa3b, v20, -v25
	v_rndne_f32_e32 v37, v25
	s_delay_alu instid0(VALU_DEP_1) | instskip(SKIP_1) | instid1(VALU_DEP_2)
	v_dual_fmac_f32 v36, 0x32a5705f, v20 :: v_dual_sub_f32 v25, v25, v37
	v_cvt_i32_f32_e32 v37, v37
	v_add_f32_e32 v25, v25, v36
	v_div_scale_f32 v36, null, v26, v26, 1.0
	s_delay_alu instid0(VALU_DEP_2) | instskip(NEXT) | instid1(VALU_DEP_1)
	v_exp_f32_e32 v25, v25
	v_rcp_f32_e32 v38, v36
	s_waitcnt_depctr 0xfff
	v_ldexp_f32 v25, v25, v37
	v_fma_f32 v37, -v36, v38, 1.0
	s_delay_alu instid0(VALU_DEP_1) | instskip(SKIP_2) | instid1(VALU_DEP_3)
	v_fmac_f32_e32 v38, v37, v38
	v_add_f32_e32 v37, v41, v42
	v_cvt_i32_f32_e32 v41, v43
	v_mul_f32_e32 v39, v44, v38
	v_cmp_ngt_f32_e64 s0, 0xc2ce8ed0, v20
	s_delay_alu instid0(VALU_DEP_4) | instskip(NEXT) | instid1(VALU_DEP_1)
	v_exp_f32_e32 v37, v37
	v_cndmask_b32_e64 v25, 0, v25, s0
	v_cmp_ngt_f32_e64 s0, 0xc2ce8ed0, v24
	s_delay_alu instid0(VALU_DEP_1) | instskip(SKIP_1) | instid1(VALU_DEP_1)
	v_cndmask_b32_e64 v35, 0, v35, s0
	v_cmp_nlt_f32_e64 s0, 0x42b17218, v20
	v_cndmask_b32_e64 v20, 0x7f800000, v25, s0
	v_fma_f32 v25, -v36, v39, v44
	v_cmp_nlt_f32_e64 s0, 0x42b17218, v24
	s_delay_alu instid0(VALU_DEP_2) | instskip(NEXT) | instid1(VALU_DEP_2)
	v_dual_mul_f32 v20, 0x3f6e978d, v20 :: v_dual_fmac_f32 v39, v25, v38
	v_cndmask_b32_e64 v24, 0x7f800000, v35, s0
	v_ldexp_f32 v25, v37, v41
	v_cmp_ngt_f32_e64 s0, 0xc2ce8ed0, v40
	s_delay_alu instid0(VALU_DEP_3) | instskip(SKIP_1) | instid1(VALU_DEP_3)
	v_fmamk_f32 v20, v24, 0x3d8b4396, v20
	v_fma_f32 v24, -v36, v39, v44
	v_cndmask_b32_e64 v25, 0, v25, s0
	s_delay_alu instid0(VALU_DEP_2) | instskip(SKIP_1) | instid1(VALU_DEP_2)
	v_div_fmas_f32 v24, v24, v38, v39
	v_cmp_nlt_f32_e32 vcc_lo, 0x42b17218, v40
	v_div_fixup_f32 v24, v24, v26, 1.0
	s_delay_alu instid0(VALU_DEP_1) | instskip(NEXT) | instid1(VALU_DEP_1)
	v_dual_cndmask_b32 v25, 0x7f800000, v25 :: v_dual_mul_f32 v24, v27, v24
	v_add_f32_e32 v20, v25, v20
	s_waitcnt vmcnt(0)
	s_delay_alu instid0(VALU_DEP_2) | instskip(NEXT) | instid1(VALU_DEP_2)
	v_mul_f32_e32 v35, v19, v24
	v_max_f32_e32 v20, 0x800000, v20
	s_delay_alu instid0(VALU_DEP_2) | instskip(NEXT) | instid1(VALU_DEP_2)
	v_max_f32_e32 v36, 0x800000, v35
	v_cmp_gt_f32_e32 vcc_lo, 0x800000, v20
	s_delay_alu instid0(VALU_DEP_2) | instskip(SKIP_2) | instid1(VALU_DEP_2)
	v_cmp_gt_f32_e64 s0, 0x800000, v36
	v_cndmask_b32_e64 v25, 1.0, 0x4f800000, vcc_lo
	v_cndmask_b32_e64 v38, 0, 0x411a209b, vcc_lo
	v_mul_f32_e32 v20, v20, v25
	s_delay_alu instid0(VALU_DEP_4) | instskip(NEXT) | instid1(VALU_DEP_2)
	v_cndmask_b32_e64 v25, 1.0, 0x4f800000, s0
	v_log_f32_e32 v20, v20
	s_delay_alu instid0(VALU_DEP_1) | instskip(NEXT) | instid1(VALU_DEP_1)
	v_mul_f32_e32 v25, v36, v25
	v_log_f32_e32 v25, v25
	s_waitcnt_depctr 0xfff
	v_cmp_gt_f32_e64 vcc_lo, 0x7f800000, |v20|
	v_mul_f32_e32 v37, 0x3e9a209a, v25
	s_delay_alu instid0(VALU_DEP_1) | instskip(NEXT) | instid1(VALU_DEP_1)
	v_fma_f32 v37, 0x3e9a209a, v25, -v37
	v_fmac_f32_e32 v37, 0x3284fbcf, v25
	v_mul_f32_e32 v36, 0x3e9a209a, v20
	v_fma_f32 v19, v19, v24, 1.0
	s_delay_alu instid0(VALU_DEP_3) | instskip(NEXT) | instid1(VALU_DEP_3)
	v_fmac_f32_e32 v37, 0x3e9a209a, v25
	v_fma_f32 v36, 0x3e9a209a, v20, -v36
	s_delay_alu instid0(VALU_DEP_3) | instskip(NEXT) | instid1(VALU_DEP_2)
	v_div_scale_f32 v24, null, v19, v19, 1.0
	v_fmac_f32_e32 v36, 0x3284fbcf, v20
	s_delay_alu instid0(VALU_DEP_1) | instskip(NEXT) | instid1(VALU_DEP_1)
	v_fmac_f32_e32 v36, 0x3e9a209a, v20
	v_cndmask_b32_e32 v20, v20, v36, vcc_lo
	v_cmp_gt_f32_e64 vcc_lo, 0x7f800000, |v25|
	v_cndmask_b32_e64 v36, 0, 0x411a209b, s0
	s_delay_alu instid0(VALU_DEP_3) | instskip(SKIP_3) | instid1(VALU_DEP_2)
	v_sub_f32_e32 v20, v20, v38
	v_rcp_f32_e32 v38, v24
	v_cndmask_b32_e32 v25, v25, v37, vcc_lo
	v_div_scale_f32 v42, vcc_lo, 1.0, v19, 1.0
	v_sub_f32_e32 v25, v25, v36
	v_fmaak_f32 v36, s5, v20, 0x3f400000
	s_waitcnt_depctr 0xfff
	v_fma_f32 v40, -v24, v38, 1.0
	s_delay_alu instid0(VALU_DEP_1) | instskip(NEXT) | instid1(VALU_DEP_1)
	v_dual_fmaak_f32 v37, s4, v20, 0x3ecccccd :: v_dual_fmac_f32 v38, v40, v38
	v_sub_f32_e32 v25, v25, v37
	s_delay_alu instid0(VALU_DEP_1) | instskip(NEXT) | instid1(VALU_DEP_1)
	v_fmac_f32_e32 v36, 0xbe0f5c29, v25
	v_div_scale_f32 v37, null, v36, v36, 1.0
	v_div_scale_f32 v40, s0, 1.0, v36, 1.0
	s_delay_alu instid0(VALU_DEP_2) | instskip(SKIP_2) | instid1(VALU_DEP_1)
	v_rcp_f32_e32 v39, v37
	s_waitcnt_depctr 0xfff
	v_fma_f32 v41, -v37, v39, 1.0
	v_fmac_f32_e32 v39, v41, v39
	v_mul_f32_e32 v41, v42, v38
	s_delay_alu instid0(VALU_DEP_2) | instskip(NEXT) | instid1(VALU_DEP_2)
	v_mul_f32_e32 v43, v40, v39
	v_fma_f32 v44, -v24, v41, v42
	s_delay_alu instid0(VALU_DEP_2) | instskip(NEXT) | instid1(VALU_DEP_2)
	v_fma_f32 v45, -v37, v43, v40
	v_fmac_f32_e32 v41, v44, v38
	s_delay_alu instid0(VALU_DEP_2) | instskip(NEXT) | instid1(VALU_DEP_2)
	v_fmac_f32_e32 v43, v45, v39
	v_fma_f32 v24, -v24, v41, v42
	s_delay_alu instid0(VALU_DEP_2) | instskip(NEXT) | instid1(VALU_DEP_2)
	v_fma_f32 v37, -v37, v43, v40
	v_div_fmas_f32 v38, v24, v38, v41
	s_mov_b32 vcc_lo, s0
	s_delay_alu instid0(VALU_DEP_2) | instskip(NEXT) | instid1(VALU_DEP_2)
	v_div_fmas_f32 v24, v37, v39, v43
	v_div_fixup_f32 v19, v38, v19, 1.0
	v_mul_f32_e32 v43, 0xc59e6800, v28
	s_delay_alu instid0(VALU_DEP_3) | instskip(NEXT) | instid1(VALU_DEP_1)
	v_div_fixup_f32 v24, v24, v36, 1.0
	v_dual_mul_f32 v19, v35, v19 :: v_dual_mul_f32 v24, v25, v24
	s_delay_alu instid0(VALU_DEP_1) | instskip(NEXT) | instid1(VALU_DEP_1)
	v_fma_f32 v24, v24, v24, 1.0
	v_div_scale_f32 v25, null, v24, v24, 1.0
	v_div_scale_f32 v39, vcc_lo, 1.0, v24, 1.0
	s_delay_alu instid0(VALU_DEP_2) | instskip(SKIP_2) | instid1(VALU_DEP_1)
	v_rcp_f32_e32 v36, v25
	s_waitcnt_depctr 0xfff
	v_fma_f32 v37, -v25, v36, 1.0
	v_fmac_f32_e32 v36, v37, v36
	s_delay_alu instid0(VALU_DEP_1) | instskip(NEXT) | instid1(VALU_DEP_1)
	v_mul_f32_e32 v37, v39, v36
	v_fma_f32 v40, -v25, v37, v39
	s_delay_alu instid0(VALU_DEP_1) | instskip(NEXT) | instid1(VALU_DEP_1)
	v_fmac_f32_e32 v37, v40, v36
	v_fma_f32 v25, -v25, v37, v39
	s_delay_alu instid0(VALU_DEP_1) | instskip(NEXT) | instid1(VALU_DEP_1)
	v_div_fmas_f32 v25, v25, v36, v37
	v_div_fixup_f32 v24, v25, v24, 1.0
	s_delay_alu instid0(VALU_DEP_1) | instskip(NEXT) | instid1(VALU_DEP_1)
	v_mul_f32_e32 v20, v20, v24
	v_mul_f32_e32 v24, 0x40549a78, v20
	v_cmp_ngt_f32_e32 vcc_lo, 0xc23369f4, v20
	s_delay_alu instid0(VALU_DEP_2) | instskip(SKIP_1) | instid1(VALU_DEP_2)
	v_fma_f32 v25, 0x40549a78, v20, -v24
	v_rndne_f32_e32 v36, v24
	v_fmac_f32_e32 v25, 0x33979a37, v20
	s_delay_alu instid0(VALU_DEP_2) | instskip(SKIP_1) | instid1(VALU_DEP_2)
	v_sub_f32_e32 v24, v24, v36
	v_cvt_i32_f32_e32 v36, v36
	v_add_f32_e32 v24, v25, v24
	s_delay_alu instid0(VALU_DEP_1)
	v_exp_f32_e32 v37, v24
	v_mad_u64_u32 v[24:25], null, 0xffffffe4, s12, v[23:24]
	v_mov_b32_e32 v25, v2
	s_waitcnt_depctr 0xfff
	v_ldexp_f32 v23, v37, v36
	v_mad_u64_u32 v[36:37], null, s12, 36, v[24:25]
	v_mov_b32_e32 v37, v2
	s_delay_alu instid0(VALU_DEP_3) | instskip(SKIP_1) | instid1(VALU_DEP_2)
	v_cndmask_b32_e32 v23, 0, v23, vcc_lo
	v_cmp_nlt_f32_e32 vcc_lo, 0x421a209b, v20
	v_cndmask_b32_e32 v20, 0x7f800000, v23, vcc_lo
	s_delay_alu instid0(VALU_DEP_1) | instskip(SKIP_1) | instid1(VALU_DEP_2)
	v_mul_f32_e32 v35, v19, v20
	v_lshlrev_b64 v[19:20], 2, v[36:37]
	v_mul_f32_e32 v23, v26, v35
	s_delay_alu instid0(VALU_DEP_2) | instskip(NEXT) | instid1(VALU_DEP_3)
	v_add_co_u32 v37, vcc_lo, s8, v19
	v_add_co_ci_u32_e32 v38, vcc_lo, s9, v20, vcc_lo
	global_store_b32 v[0:1], v23, off
	v_lshlrev_b64 v[0:1], 2, v[24:25]
	v_mul_f32_e32 v23, 0xbb8a42f8, v31
	global_load_b32 v26, v[37:38], off
	v_add_co_u32 v0, vcc_lo, s2, v0
	v_add_co_ci_u32_e32 v1, vcc_lo, s3, v1, vcc_lo
	v_mul_f32_e32 v25, 0x3fb8aa3b, v23
	global_load_b32 v0, v[0:1], off
	v_mul_f32_e32 v1, 0xba1eaecd, v31
	v_fma_f32 v41, 0x3fb8aa3b, v23, -v25
	v_rndne_f32_e32 v42, v25
	s_delay_alu instid0(VALU_DEP_3) | instskip(NEXT) | instid1(VALU_DEP_3)
	v_mul_f32_e32 v24, 0x3fb8aa3b, v1
	v_fmac_f32_e32 v41, 0x32a5705f, v23
	s_delay_alu instid0(VALU_DEP_3)
	v_sub_f32_e32 v25, v25, v42
	v_cvt_i32_f32_e32 v42, v42
	v_cmp_ngt_f32_e64 s0, 0xc2ce8ed0, v1
	v_fma_f32 v39, 0x3fb8aa3b, v1, -v24
	v_rndne_f32_e32 v40, v24
	v_add_f32_e32 v25, v25, v41
	s_delay_alu instid0(VALU_DEP_2) | instskip(SKIP_1) | instid1(VALU_DEP_3)
	v_dual_fmac_f32 v39, 0x32a5705f, v1 :: v_dual_sub_f32 v24, v24, v40
	v_cvt_i32_f32_e32 v40, v40
	v_exp_f32_e32 v25, v25
	s_delay_alu instid0(VALU_DEP_2) | instskip(NEXT) | instid1(VALU_DEP_1)
	v_add_f32_e32 v24, v24, v39
	v_exp_f32_e32 v24, v24
	s_waitcnt_depctr 0xfff
	v_ldexp_f32 v25, v25, v42
	v_ldexp_f32 v24, v24, v40
	s_delay_alu instid0(VALU_DEP_1) | instskip(SKIP_1) | instid1(VALU_DEP_1)
	v_cndmask_b32_e64 v24, 0, v24, s0
	v_cmp_ngt_f32_e64 s0, 0xc2ce8ed0, v23
	v_cndmask_b32_e64 v25, 0, v25, s0
	v_cmp_nlt_f32_e64 s0, 0x42b17218, v1
	s_delay_alu instid0(VALU_DEP_1) | instskip(SKIP_1) | instid1(VALU_DEP_2)
	v_cndmask_b32_e64 v1, 0x7f800000, v24, s0
	v_cmp_nlt_f32_e64 s0, 0x42b17218, v23
	v_mul_f32_e32 v1, 0x3f136113, v1
	s_delay_alu instid0(VALU_DEP_2) | instskip(NEXT) | instid1(VALU_DEP_1)
	v_cndmask_b32_e64 v23, 0x7f800000, v25, s0
	v_fmamk_f32 v1, v23, 0x3ed93dd9, v1
	s_waitcnt vmcnt(1)
	v_div_scale_f32 v39, null, v26, v26, 1.0
	v_div_scale_f32 v47, vcc_lo, 1.0, v26, 1.0
	s_delay_alu instid0(VALU_DEP_2) | instskip(SKIP_2) | instid1(VALU_DEP_1)
	v_rcp_f32_e32 v41, v39
	s_waitcnt_depctr 0xfff
	v_fma_f32 v40, -v39, v41, 1.0
	v_dual_mul_f32 v44, 0x3fb8aa3b, v43 :: v_dual_fmac_f32 v41, v40, v41
	s_delay_alu instid0(VALU_DEP_1) | instskip(SKIP_1) | instid1(VALU_DEP_3)
	v_fma_f32 v45, 0x3fb8aa3b, v43, -v44
	v_rndne_f32_e32 v46, v44
	v_mul_f32_e32 v42, v47, v41
	s_delay_alu instid0(VALU_DEP_2) | instskip(SKIP_1) | instid1(VALU_DEP_3)
	v_dual_sub_f32 v44, v44, v46 :: v_dual_fmac_f32 v45, 0x32a5705f, v43
	v_cmp_ngt_f32_e64 s0, 0xc2ce8ed0, v43
	v_fma_f32 v24, -v39, v42, v47
	s_delay_alu instid0(VALU_DEP_3) | instskip(SKIP_1) | instid1(VALU_DEP_3)
	v_add_f32_e32 v40, v44, v45
	v_cvt_i32_f32_e32 v44, v46
	v_fmac_f32_e32 v42, v24, v41
	s_delay_alu instid0(VALU_DEP_3) | instskip(NEXT) | instid1(VALU_DEP_1)
	v_exp_f32_e32 v40, v40
	v_fma_f32 v23, -v39, v42, v47
	s_delay_alu instid0(VALU_DEP_1) | instskip(SKIP_4) | instid1(VALU_DEP_2)
	v_div_fmas_f32 v23, v23, v41, v42
	v_cmp_nlt_f32_e32 vcc_lo, 0x42b17218, v43
	s_waitcnt_depctr 0xfff
	v_ldexp_f32 v24, v40, v44
	v_div_fixup_f32 v23, v23, v26, 1.0
	v_cndmask_b32_e64 v24, 0, v24, s0
	s_delay_alu instid0(VALU_DEP_1) | instskip(NEXT) | instid1(VALU_DEP_1)
	v_dual_mul_f32 v23, v27, v23 :: v_dual_cndmask_b32 v24, 0x7f800000, v24
	v_add_f32_e32 v1, v24, v1
	s_waitcnt vmcnt(0)
	s_delay_alu instid0(VALU_DEP_2) | instskip(SKIP_1) | instid1(VALU_DEP_3)
	v_mul_f32_e32 v24, v0, v23
	v_fma_f32 v0, v0, v23, 1.0
	v_max_f32_e32 v1, 0x800000, v1
	s_delay_alu instid0(VALU_DEP_3) | instskip(NEXT) | instid1(VALU_DEP_3)
	v_max_f32_e32 v39, 0x800000, v24
	v_div_scale_f32 v23, null, v0, v0, 1.0
	s_delay_alu instid0(VALU_DEP_3) | instskip(NEXT) | instid1(VALU_DEP_3)
	v_cmp_gt_f32_e32 vcc_lo, 0x800000, v1
	v_cmp_gt_f32_e64 s0, 0x800000, v39
	v_cndmask_b32_e64 v25, 1.0, 0x4f800000, vcc_lo
	v_cndmask_b32_e64 v41, 0, 0x411a209b, vcc_lo
	s_delay_alu instid0(VALU_DEP_2) | instskip(NEXT) | instid1(VALU_DEP_4)
	v_mul_f32_e32 v1, v1, v25
	v_cndmask_b32_e64 v25, 1.0, 0x4f800000, s0
	s_delay_alu instid0(VALU_DEP_2) | instskip(NEXT) | instid1(VALU_DEP_1)
	v_log_f32_e32 v1, v1
	v_mul_f32_e32 v25, v39, v25
	s_delay_alu instid0(VALU_DEP_1) | instskip(SKIP_3) | instid1(VALU_DEP_2)
	v_log_f32_e32 v25, v25
	s_waitcnt_depctr 0xfff
	v_mul_f32_e32 v39, 0x3e9a209a, v1
	v_cmp_gt_f32_e64 vcc_lo, 0x7f800000, |v1|
	v_fma_f32 v39, 0x3e9a209a, v1, -v39
	s_delay_alu instid0(VALU_DEP_1) | instskip(NEXT) | instid1(VALU_DEP_1)
	v_fmac_f32_e32 v39, 0x3284fbcf, v1
	v_fmac_f32_e32 v39, 0x3e9a209a, v1
	s_delay_alu instid0(VALU_DEP_1) | instskip(NEXT) | instid1(VALU_DEP_1)
	v_dual_mul_f32 v40, 0x3e9a209a, v25 :: v_dual_cndmask_b32 v1, v1, v39
	v_fma_f32 v40, 0x3e9a209a, v25, -v40
	v_cndmask_b32_e64 v39, 0, 0x411a209b, s0
	v_cmp_gt_f32_e64 vcc_lo, 0x7f800000, |v25|
	s_delay_alu instid0(VALU_DEP_4) | instskip(SKIP_2) | instid1(VALU_DEP_1)
	v_sub_f32_e32 v1, v1, v41
	v_rcp_f32_e32 v41, v23
	v_fmac_f32_e32 v40, 0x3284fbcf, v25
	v_fmac_f32_e32 v40, 0x3e9a209a, v25
	s_waitcnt_depctr 0xfff
	v_fma_f32 v43, -v23, v41, 1.0
	s_delay_alu instid0(VALU_DEP_1) | instskip(SKIP_3) | instid1(VALU_DEP_3)
	v_fmac_f32_e32 v41, v43, v41
	v_cndmask_b32_e32 v25, v25, v40, vcc_lo
	v_fmaak_f32 v40, s4, v1, 0x3ecccccd
	v_div_scale_f32 v45, vcc_lo, 1.0, v0, 1.0
	v_sub_f32_e32 v25, v25, v39
	v_fmaak_f32 v39, s5, v1, 0x3f400000
	s_delay_alu instid0(VALU_DEP_2) | instskip(NEXT) | instid1(VALU_DEP_1)
	v_sub_f32_e32 v25, v25, v40
	v_fmac_f32_e32 v39, 0xbe0f5c29, v25
	s_delay_alu instid0(VALU_DEP_1) | instskip(SKIP_1) | instid1(VALU_DEP_2)
	v_div_scale_f32 v40, null, v39, v39, 1.0
	v_div_scale_f32 v43, s0, 1.0, v39, 1.0
	v_rcp_f32_e32 v42, v40
	s_waitcnt_depctr 0xfff
	v_fma_f32 v44, -v40, v42, 1.0
	s_delay_alu instid0(VALU_DEP_1) | instskip(SKIP_1) | instid1(VALU_DEP_2)
	v_fmac_f32_e32 v42, v44, v42
	v_mul_f32_e32 v44, v45, v41
	v_mul_f32_e32 v46, v43, v42
	s_delay_alu instid0(VALU_DEP_2) | instskip(NEXT) | instid1(VALU_DEP_2)
	v_fma_f32 v47, -v23, v44, v45
	v_fma_f32 v48, -v40, v46, v43
	s_delay_alu instid0(VALU_DEP_2) | instskip(NEXT) | instid1(VALU_DEP_2)
	v_fmac_f32_e32 v44, v47, v41
	v_fmac_f32_e32 v46, v48, v42
	s_delay_alu instid0(VALU_DEP_2) | instskip(NEXT) | instid1(VALU_DEP_2)
	v_fma_f32 v23, -v23, v44, v45
	v_fma_f32 v40, -v40, v46, v43
	s_delay_alu instid0(VALU_DEP_2) | instskip(SKIP_2) | instid1(VALU_DEP_3)
	v_div_fmas_f32 v23, v23, v41, v44
	s_mov_b32 vcc_lo, s0
	v_mul_f32_e32 v44, 0xc5cd5000, v28
	v_div_fmas_f32 v40, v40, v42, v46
	s_delay_alu instid0(VALU_DEP_3) | instskip(NEXT) | instid1(VALU_DEP_3)
	v_div_fixup_f32 v0, v23, v0, 1.0
	v_mul_f32_e32 v45, 0x3fb8aa3b, v44
	s_delay_alu instid0(VALU_DEP_3) | instskip(NEXT) | instid1(VALU_DEP_3)
	v_div_fixup_f32 v39, v40, v39, 1.0
	v_mul_f32_e32 v0, v24, v0
	s_delay_alu instid0(VALU_DEP_3) | instskip(SKIP_1) | instid1(VALU_DEP_2)
	v_fma_f32 v46, 0x3fb8aa3b, v44, -v45
	v_rndne_f32_e32 v47, v45
	v_dual_mul_f32 v25, v25, v39 :: v_dual_fmac_f32 v46, 0x32a5705f, v44
	s_delay_alu instid0(VALU_DEP_2) | instskip(NEXT) | instid1(VALU_DEP_2)
	v_sub_f32_e32 v45, v45, v47
	v_fma_f32 v25, v25, v25, 1.0
	s_delay_alu instid0(VALU_DEP_1) | instskip(SKIP_1) | instid1(VALU_DEP_2)
	v_div_scale_f32 v39, null, v25, v25, 1.0
	v_div_scale_f32 v42, vcc_lo, 1.0, v25, 1.0
	v_rcp_f32_e32 v40, v39
	s_waitcnt_depctr 0xfff
	v_fma_f32 v41, -v39, v40, 1.0
	s_delay_alu instid0(VALU_DEP_1) | instskip(NEXT) | instid1(VALU_DEP_1)
	v_fmac_f32_e32 v40, v41, v40
	v_mul_f32_e32 v41, v42, v40
	s_delay_alu instid0(VALU_DEP_1) | instskip(NEXT) | instid1(VALU_DEP_1)
	v_fma_f32 v43, -v39, v41, v42
	v_fmac_f32_e32 v41, v43, v40
	s_delay_alu instid0(VALU_DEP_1) | instskip(NEXT) | instid1(VALU_DEP_1)
	v_fma_f32 v39, -v39, v41, v42
	v_div_fmas_f32 v39, v39, v40, v41
	s_delay_alu instid0(VALU_DEP_1) | instskip(NEXT) | instid1(VALU_DEP_1)
	v_div_fixup_f32 v25, v39, v25, 1.0
	v_mul_f32_e32 v1, v1, v25
	s_delay_alu instid0(VALU_DEP_1) | instskip(SKIP_1) | instid1(VALU_DEP_2)
	v_mul_f32_e32 v25, 0x40549a78, v1
	v_cmp_ngt_f32_e32 vcc_lo, 0xc23369f4, v1
	v_fma_f32 v39, 0x40549a78, v1, -v25
	v_rndne_f32_e32 v40, v25
	s_delay_alu instid0(VALU_DEP_2) | instskip(NEXT) | instid1(VALU_DEP_2)
	v_fmac_f32_e32 v39, 0x33979a37, v1
	v_sub_f32_e32 v25, v25, v40
	s_delay_alu instid0(VALU_DEP_1) | instskip(SKIP_1) | instid1(VALU_DEP_2)
	v_add_f32_e32 v25, v39, v25
	v_cvt_i32_f32_e32 v39, v40
	v_exp_f32_e32 v25, v25
	s_waitcnt_depctr 0xfff
	v_ldexp_f32 v25, v25, v39
	s_delay_alu instid0(VALU_DEP_1) | instskip(SKIP_2) | instid1(VALU_DEP_3)
	v_cndmask_b32_e32 v23, 0, v25, vcc_lo
	v_cmp_nlt_f32_e32 vcc_lo, 0x421a209b, v1
	v_lshl_add_u32 v1, s12, 1, v36
	v_cndmask_b32_e32 v23, 0x7f800000, v23, vcc_lo
	s_delay_alu instid0(VALU_DEP_1) | instskip(NEXT) | instid1(VALU_DEP_3)
	v_mul_f32_e32 v36, v0, v23
	v_lshlrev_b64 v[23:24], 2, v[1:2]
	s_delay_alu instid0(VALU_DEP_2) | instskip(NEXT) | instid1(VALU_DEP_2)
	v_mul_f32_e32 v0, v26, v36
	v_add_co_u32 v25, vcc_lo, s8, v23
	s_delay_alu instid0(VALU_DEP_3)
	v_add_co_ci_u32_e32 v26, vcc_lo, s9, v24, vcc_lo
	global_store_b32 v[37:38], v0, off
	v_add_co_u32 v21, vcc_lo, s2, v21
	global_load_b32 v40, v[25:26], off
	v_add_co_ci_u32_e32 v22, vcc_lo, s3, v22, vcc_lo
	global_load_b32 v0, v[21:22], off
	v_mul_f32_e32 v21, 0xb9be4dde, v31
	v_mul_f32_e32 v22, 0xbb71d48c, v31
	s_delay_alu instid0(VALU_DEP_1) | instskip(SKIP_1) | instid1(VALU_DEP_2)
	v_dual_mul_f32 v37, 0x3fb8aa3b, v21 :: v_dual_mul_f32 v38, 0x3fb8aa3b, v22
	v_cmp_ngt_f32_e64 s0, 0xc2ce8ed0, v21
	v_fma_f32 v39, 0x3fb8aa3b, v21, -v37
	v_rndne_f32_e32 v41, v37
	s_delay_alu instid0(VALU_DEP_4) | instskip(SKIP_1) | instid1(VALU_DEP_4)
	v_fma_f32 v42, 0x3fb8aa3b, v22, -v38
	v_rndne_f32_e32 v43, v38
	v_fmac_f32_e32 v39, 0x32a5705f, v21
	s_delay_alu instid0(VALU_DEP_3) | instskip(NEXT) | instid1(VALU_DEP_3)
	v_dual_sub_f32 v37, v37, v41 :: v_dual_fmac_f32 v42, 0x32a5705f, v22
	v_sub_f32_e32 v38, v38, v43
	v_cvt_i32_f32_e32 v41, v41
	v_cvt_i32_f32_e32 v43, v43
	s_delay_alu instid0(VALU_DEP_3) | instskip(NEXT) | instid1(VALU_DEP_1)
	v_dual_add_f32 v37, v37, v39 :: v_dual_add_f32 v38, v38, v42
	v_exp_f32_e32 v37, v37
	s_delay_alu instid0(VALU_DEP_1) | instskip(SKIP_3) | instid1(VALU_DEP_2)
	v_exp_f32_e32 v38, v38
	s_waitcnt_depctr 0xfff
	v_ldexp_f32 v37, v37, v41
	v_ldexp_f32 v38, v38, v43
	v_cndmask_b32_e64 v37, 0, v37, s0
	v_cmp_ngt_f32_e64 s0, 0xc2ce8ed0, v22
	s_delay_alu instid0(VALU_DEP_1) | instskip(SKIP_1) | instid1(VALU_DEP_1)
	v_cndmask_b32_e64 v38, 0, v38, s0
	v_cmp_nlt_f32_e64 s0, 0x42b17218, v21
	v_cndmask_b32_e64 v21, 0x7f800000, v37, s0
	v_cmp_nlt_f32_e64 s0, 0x42b17218, v22
	s_delay_alu instid0(VALU_DEP_2) | instskip(NEXT) | instid1(VALU_DEP_2)
	v_mul_f32_e32 v21, 0x3f484b5e, v21
	v_cndmask_b32_e64 v22, 0x7f800000, v38, s0
	v_cmp_ngt_f32_e64 s0, 0xc2ce8ed0, v44
	s_delay_alu instid0(VALU_DEP_2) | instskip(SKIP_3) | instid1(VALU_DEP_2)
	v_fmamk_f32 v21, v22, 0x3e5ed289, v21
	s_waitcnt vmcnt(1)
	v_div_scale_f32 v39, null, v40, v40, 1.0
	v_div_scale_f32 v48, vcc_lo, 1.0, v40, 1.0
	v_rcp_f32_e32 v42, v39
	s_waitcnt_depctr 0xfff
	v_fma_f32 v41, -v39, v42, 1.0
	s_delay_alu instid0(VALU_DEP_1) | instskip(SKIP_2) | instid1(VALU_DEP_3)
	v_fmac_f32_e32 v42, v41, v42
	v_add_f32_e32 v41, v45, v46
	v_cvt_i32_f32_e32 v45, v47
	v_mul_f32_e32 v43, v48, v42
	s_delay_alu instid0(VALU_DEP_3) | instskip(NEXT) | instid1(VALU_DEP_1)
	v_exp_f32_e32 v41, v41
	v_fma_f32 v37, -v39, v43, v48
	s_delay_alu instid0(VALU_DEP_1) | instskip(SKIP_3) | instid1(VALU_DEP_2)
	v_fmac_f32_e32 v43, v37, v42
	s_waitcnt_depctr 0xfff
	v_ldexp_f32 v37, v41, v45
	v_fma_f32 v22, -v39, v43, v48
	v_cndmask_b32_e64 v37, 0, v37, s0
	s_delay_alu instid0(VALU_DEP_2) | instskip(SKIP_1) | instid1(VALU_DEP_2)
	v_div_fmas_f32 v22, v22, v42, v43
	v_cmp_nlt_f32_e32 vcc_lo, 0x42b17218, v44
	v_div_fixup_f32 v22, v22, v40, 1.0
	s_delay_alu instid0(VALU_DEP_1) | instskip(NEXT) | instid1(VALU_DEP_1)
	v_dual_cndmask_b32 v37, 0x7f800000, v37 :: v_dual_mul_f32 v22, v27, v22
	v_add_f32_e32 v21, v37, v21
	s_waitcnt vmcnt(0)
	s_delay_alu instid0(VALU_DEP_2) | instskip(NEXT) | instid1(VALU_DEP_2)
	v_mul_f32_e32 v37, v0, v22
	v_max_f32_e32 v21, 0x800000, v21
	v_fma_f32 v0, v0, v22, 1.0
	s_delay_alu instid0(VALU_DEP_3) | instskip(NEXT) | instid1(VALU_DEP_3)
	v_max_f32_e32 v39, 0x800000, v37
	v_cmp_gt_f32_e32 vcc_lo, 0x800000, v21
	s_delay_alu instid0(VALU_DEP_3) | instskip(NEXT) | instid1(VALU_DEP_3)
	v_div_scale_f32 v22, null, v0, v0, 1.0
	v_cmp_gt_f32_e64 s0, 0x800000, v39
	v_cndmask_b32_e64 v38, 1.0, 0x4f800000, vcc_lo
	v_cndmask_b32_e64 v42, 0, 0x411a209b, vcc_lo
	s_delay_alu instid0(VALU_DEP_2) | instskip(NEXT) | instid1(VALU_DEP_4)
	v_mul_f32_e32 v21, v21, v38
	v_cndmask_b32_e64 v38, 1.0, 0x4f800000, s0
	s_delay_alu instid0(VALU_DEP_2) | instskip(NEXT) | instid1(VALU_DEP_1)
	v_log_f32_e32 v21, v21
	v_mul_f32_e32 v38, v39, v38
	s_delay_alu instid0(VALU_DEP_1) | instskip(SKIP_3) | instid1(VALU_DEP_2)
	v_log_f32_e32 v38, v38
	s_waitcnt_depctr 0xfff
	v_mul_f32_e32 v39, 0x3e9a209a, v21
	v_cmp_gt_f32_e64 vcc_lo, 0x7f800000, |v21|
	v_fma_f32 v39, 0x3e9a209a, v21, -v39
	v_mul_f32_e32 v41, 0x3e9a209a, v38
	s_delay_alu instid0(VALU_DEP_2) | instskip(NEXT) | instid1(VALU_DEP_2)
	v_fmac_f32_e32 v39, 0x3284fbcf, v21
	v_fma_f32 v41, 0x3e9a209a, v38, -v41
	s_delay_alu instid0(VALU_DEP_2) | instskip(NEXT) | instid1(VALU_DEP_2)
	v_fmac_f32_e32 v39, 0x3e9a209a, v21
	v_fmac_f32_e32 v41, 0x3284fbcf, v38
	s_delay_alu instid0(VALU_DEP_2) | instskip(NEXT) | instid1(VALU_DEP_2)
	v_cndmask_b32_e32 v21, v21, v39, vcc_lo
	v_fmac_f32_e32 v41, 0x3e9a209a, v38
	v_cmp_gt_f32_e64 vcc_lo, 0x7f800000, |v38|
	v_cndmask_b32_e64 v39, 0, 0x411a209b, s0
	s_delay_alu instid0(VALU_DEP_4) | instskip(SKIP_3) | instid1(VALU_DEP_2)
	v_sub_f32_e32 v21, v21, v42
	v_rcp_f32_e32 v42, v22
	v_cndmask_b32_e32 v38, v38, v41, vcc_lo
	v_div_scale_f32 v46, vcc_lo, 1.0, v0, 1.0
	v_dual_fmaak_f32 v41, s4, v21, 0x3ecccccd :: v_dual_sub_f32 v38, v38, v39
	v_fmaak_f32 v39, s5, v21, 0x3f400000
	s_waitcnt_depctr 0xfff
	v_fma_f32 v44, -v22, v42, 1.0
	v_sub_f32_e32 v38, v38, v41
	s_delay_alu instid0(VALU_DEP_2) | instskip(NEXT) | instid1(VALU_DEP_2)
	v_fmac_f32_e32 v42, v44, v42
	v_fmac_f32_e32 v39, 0xbe0f5c29, v38
	s_delay_alu instid0(VALU_DEP_1) | instskip(SKIP_1) | instid1(VALU_DEP_2)
	v_div_scale_f32 v41, null, v39, v39, 1.0
	v_div_scale_f32 v44, s0, 1.0, v39, 1.0
	v_rcp_f32_e32 v43, v41
	s_waitcnt_depctr 0xfff
	v_fma_f32 v45, -v41, v43, 1.0
	s_delay_alu instid0(VALU_DEP_1) | instskip(SKIP_1) | instid1(VALU_DEP_2)
	v_fmac_f32_e32 v43, v45, v43
	v_mul_f32_e32 v45, v46, v42
	v_mul_f32_e32 v47, v44, v43
	s_delay_alu instid0(VALU_DEP_2) | instskip(NEXT) | instid1(VALU_DEP_2)
	v_fma_f32 v48, -v22, v45, v46
	v_fma_f32 v49, -v41, v47, v44
	s_delay_alu instid0(VALU_DEP_2) | instskip(NEXT) | instid1(VALU_DEP_2)
	v_fmac_f32_e32 v45, v48, v42
	v_fmac_f32_e32 v47, v49, v43
	s_delay_alu instid0(VALU_DEP_2) | instskip(NEXT) | instid1(VALU_DEP_2)
	v_fma_f32 v22, -v22, v45, v46
	v_fma_f32 v41, -v41, v47, v44
	s_delay_alu instid0(VALU_DEP_2) | instskip(SKIP_1) | instid1(VALU_DEP_2)
	v_div_fmas_f32 v22, v22, v42, v45
	s_mov_b32 vcc_lo, s0
	v_div_fmas_f32 v41, v41, v43, v47
	s_delay_alu instid0(VALU_DEP_2) | instskip(SKIP_1) | instid1(VALU_DEP_3)
	v_div_fixup_f32 v22, v22, v0, 1.0
	v_mul_f32_e32 v47, 0xc5aeb000, v28
	v_div_fixup_f32 v39, v41, v39, 1.0
	s_delay_alu instid0(VALU_DEP_3) | instskip(NEXT) | instid1(VALU_DEP_3)
	v_mul_f32_e32 v22, v37, v22
	v_mul_f32_e32 v48, 0x3fb8aa3b, v47
	s_delay_alu instid0(VALU_DEP_3) | instskip(NEXT) | instid1(VALU_DEP_2)
	v_mul_f32_e32 v38, v38, v39
	v_fma_f32 v49, 0x3fb8aa3b, v47, -v48
	v_rndne_f32_e32 v50, v48
	s_delay_alu instid0(VALU_DEP_3) | instskip(NEXT) | instid1(VALU_DEP_2)
	v_fma_f32 v38, v38, v38, 1.0
	v_dual_fmac_f32 v49, 0x32a5705f, v47 :: v_dual_sub_f32 v48, v48, v50
	s_delay_alu instid0(VALU_DEP_2) | instskip(SKIP_1) | instid1(VALU_DEP_2)
	v_div_scale_f32 v39, null, v38, v38, 1.0
	v_div_scale_f32 v43, vcc_lo, 1.0, v38, 1.0
	v_rcp_f32_e32 v41, v39
	s_waitcnt_depctr 0xfff
	v_fma_f32 v42, -v39, v41, 1.0
	s_delay_alu instid0(VALU_DEP_1) | instskip(NEXT) | instid1(VALU_DEP_1)
	v_fmac_f32_e32 v41, v42, v41
	v_mul_f32_e32 v42, v43, v41
	s_delay_alu instid0(VALU_DEP_1) | instskip(NEXT) | instid1(VALU_DEP_1)
	v_fma_f32 v44, -v39, v42, v43
	v_fmac_f32_e32 v42, v44, v41
	s_delay_alu instid0(VALU_DEP_1) | instskip(NEXT) | instid1(VALU_DEP_1)
	v_fma_f32 v39, -v39, v42, v43
	v_div_fmas_f32 v39, v39, v41, v42
	s_delay_alu instid0(VALU_DEP_1) | instskip(NEXT) | instid1(VALU_DEP_1)
	v_div_fixup_f32 v38, v39, v38, 1.0
	v_mul_f32_e32 v21, v21, v38
	s_delay_alu instid0(VALU_DEP_1) | instskip(SKIP_1) | instid1(VALU_DEP_2)
	v_mul_f32_e32 v38, 0x40549a78, v21
	v_cmp_ngt_f32_e32 vcc_lo, 0xc23369f4, v21
	v_fma_f32 v39, 0x40549a78, v21, -v38
	v_rndne_f32_e32 v41, v38
	s_delay_alu instid0(VALU_DEP_2) | instskip(NEXT) | instid1(VALU_DEP_2)
	v_fmac_f32_e32 v39, 0x33979a37, v21
	v_sub_f32_e32 v38, v38, v41
	v_cvt_i32_f32_e32 v41, v41
	s_delay_alu instid0(VALU_DEP_2) | instskip(NEXT) | instid1(VALU_DEP_1)
	v_add_f32_e32 v38, v39, v38
	v_exp_f32_e32 v42, v38
	v_mad_u64_u32 v[38:39], null, 0xffffffdc, s12, v[1:2]
	v_mov_b32_e32 v39, v2
	s_waitcnt_depctr 0xfff
	v_ldexp_f32 v1, v42, v41
	s_delay_alu instid0(VALU_DEP_1) | instskip(SKIP_3) | instid1(VALU_DEP_4)
	v_cndmask_b32_e32 v41, 0, v1, vcc_lo
	v_cmp_nlt_f32_e32 vcc_lo, 0x421a209b, v21
	v_mad_u64_u32 v[0:1], null, s12, 43, v[38:39]
	v_mov_b32_e32 v1, v2
	v_cndmask_b32_e32 v21, 0x7f800000, v41, vcc_lo
	s_delay_alu instid0(VALU_DEP_1) | instskip(NEXT) | instid1(VALU_DEP_3)
	v_mul_f32_e32 v37, v22, v21
	v_lshlrev_b64 v[21:22], 2, v[0:1]
	s_delay_alu instid0(VALU_DEP_2) | instskip(NEXT) | instid1(VALU_DEP_2)
	v_mul_f32_e32 v1, v40, v37
	v_add_co_u32 v40, vcc_lo, s8, v21
	s_delay_alu instid0(VALU_DEP_3)
	v_add_co_ci_u32_e32 v41, vcc_lo, s9, v22, vcc_lo
	global_store_b32 v[25:26], v1, off
	v_lshlrev_b64 v[25:26], 2, v[38:39]
	global_load_b32 v42, v[40:41], off
	v_add_co_u32 v25, vcc_lo, s2, v25
	v_add_co_ci_u32_e32 v26, vcc_lo, s3, v26, vcc_lo
	global_load_b32 v1, v[25:26], off
	v_mul_f32_e32 v25, 0xba036687, v31
	v_mul_f32_e32 v26, 0xbc520d21, v31
	s_delay_alu instid0(VALU_DEP_1) | instskip(SKIP_1) | instid1(VALU_DEP_2)
	v_dual_mul_f32 v38, 0x3fb8aa3b, v25 :: v_dual_mul_f32 v39, 0x3fb8aa3b, v26
	v_cmp_ngt_f32_e64 s0, 0xc2ce8ed0, v25
	v_fma_f32 v43, 0x3fb8aa3b, v25, -v38
	v_rndne_f32_e32 v44, v38
	s_delay_alu instid0(VALU_DEP_4) | instskip(SKIP_1) | instid1(VALU_DEP_3)
	v_fma_f32 v45, 0x3fb8aa3b, v26, -v39
	v_rndne_f32_e32 v46, v39
	v_dual_fmac_f32 v43, 0x32a5705f, v25 :: v_dual_sub_f32 v38, v38, v44
	s_delay_alu instid0(VALU_DEP_3) | instskip(NEXT) | instid1(VALU_DEP_3)
	v_fmac_f32_e32 v45, 0x32a5705f, v26
	v_sub_f32_e32 v39, v39, v46
	v_cvt_i32_f32_e32 v44, v44
	v_cvt_i32_f32_e32 v46, v46
	s_delay_alu instid0(VALU_DEP_3) | instskip(NEXT) | instid1(VALU_DEP_1)
	v_dual_add_f32 v38, v38, v43 :: v_dual_add_f32 v39, v39, v45
	v_exp_f32_e32 v38, v38
	s_delay_alu instid0(VALU_DEP_1) | instskip(SKIP_3) | instid1(VALU_DEP_2)
	v_exp_f32_e32 v39, v39
	s_waitcnt_depctr 0xfff
	v_ldexp_f32 v38, v38, v44
	v_ldexp_f32 v39, v39, v46
	v_cndmask_b32_e64 v38, 0, v38, s0
	v_cmp_ngt_f32_e64 s0, 0xc2ce8ed0, v26
	s_delay_alu instid0(VALU_DEP_1) | instskip(SKIP_1) | instid1(VALU_DEP_1)
	v_cndmask_b32_e64 v39, 0, v39, s0
	v_cmp_nlt_f32_e64 s0, 0x42b17218, v25
	v_cndmask_b32_e64 v25, 0x7f800000, v38, s0
	v_cmp_nlt_f32_e64 s0, 0x42b17218, v26
	s_delay_alu instid0(VALU_DEP_2) | instskip(NEXT) | instid1(VALU_DEP_2)
	v_mul_f32_e32 v25, 0x3f2e147b, v25
	v_cndmask_b32_e64 v26, 0x7f800000, v39, s0
	v_cmp_ngt_f32_e64 s0, 0xc2ce8ed0, v47
	s_delay_alu instid0(VALU_DEP_2) | instskip(SKIP_3) | instid1(VALU_DEP_2)
	v_fmamk_f32 v25, v26, 0x3ea3d70a, v25
	s_waitcnt vmcnt(1)
	v_div_scale_f32 v43, null, v42, v42, 1.0
	v_div_scale_f32 v51, vcc_lo, 1.0, v42, 1.0
	v_rcp_f32_e32 v45, v43
	s_waitcnt_depctr 0xfff
	v_fma_f32 v44, -v43, v45, 1.0
	s_delay_alu instid0(VALU_DEP_1) | instskip(SKIP_2) | instid1(VALU_DEP_3)
	v_fmac_f32_e32 v45, v44, v45
	v_add_f32_e32 v44, v48, v49
	v_cvt_i32_f32_e32 v48, v50
	v_mul_f32_e32 v46, v51, v45
	s_delay_alu instid0(VALU_DEP_3) | instskip(NEXT) | instid1(VALU_DEP_1)
	v_exp_f32_e32 v44, v44
	v_fma_f32 v38, -v43, v46, v51
	s_delay_alu instid0(VALU_DEP_1) | instskip(SKIP_3) | instid1(VALU_DEP_2)
	v_fmac_f32_e32 v46, v38, v45
	s_waitcnt_depctr 0xfff
	v_ldexp_f32 v38, v44, v48
	v_fma_f32 v26, -v43, v46, v51
	v_cndmask_b32_e64 v38, 0, v38, s0
	s_delay_alu instid0(VALU_DEP_2) | instskip(SKIP_1) | instid1(VALU_DEP_2)
	v_div_fmas_f32 v26, v26, v45, v46
	v_cmp_nlt_f32_e32 vcc_lo, 0x42b17218, v47
	v_div_fixup_f32 v26, v26, v42, 1.0
	s_delay_alu instid0(VALU_DEP_4) | instskip(NEXT) | instid1(VALU_DEP_1)
	v_cndmask_b32_e32 v38, 0x7f800000, v38, vcc_lo
	v_dual_mul_f32 v26, v27, v26 :: v_dual_add_f32 v25, v38, v25
	s_waitcnt vmcnt(0)
	s_delay_alu instid0(VALU_DEP_1) | instskip(SKIP_1) | instid1(VALU_DEP_2)
	v_dual_mul_f32 v38, v1, v26 :: v_dual_max_f32 v25, 0x800000, v25
	v_fma_f32 v1, v1, v26, 1.0
	v_max_f32_e32 v43, 0x800000, v38
	s_delay_alu instid0(VALU_DEP_3) | instskip(NEXT) | instid1(VALU_DEP_3)
	v_cmp_gt_f32_e32 vcc_lo, 0x800000, v25
	v_div_scale_f32 v26, null, v1, v1, 1.0
	s_delay_alu instid0(VALU_DEP_3) | instskip(SKIP_2) | instid1(VALU_DEP_2)
	v_cmp_gt_f32_e64 s0, 0x800000, v43
	v_cndmask_b32_e64 v39, 1.0, 0x4f800000, vcc_lo
	v_cndmask_b32_e64 v45, 0, 0x411a209b, vcc_lo
	v_mul_f32_e32 v25, v25, v39
	s_delay_alu instid0(VALU_DEP_4) | instskip(NEXT) | instid1(VALU_DEP_2)
	v_cndmask_b32_e64 v39, 1.0, 0x4f800000, s0
	v_log_f32_e32 v25, v25
	s_delay_alu instid0(VALU_DEP_1) | instskip(NEXT) | instid1(VALU_DEP_1)
	v_mul_f32_e32 v39, v43, v39
	v_log_f32_e32 v39, v39
	s_waitcnt_depctr 0xfff
	v_mul_f32_e32 v43, 0x3e9a209a, v25
	v_cmp_gt_f32_e64 vcc_lo, 0x7f800000, |v25|
	s_delay_alu instid0(VALU_DEP_2) | instskip(SKIP_1) | instid1(VALU_DEP_2)
	v_fma_f32 v43, 0x3e9a209a, v25, -v43
	v_mul_f32_e32 v44, 0x3e9a209a, v39
	v_fmac_f32_e32 v43, 0x3284fbcf, v25
	s_delay_alu instid0(VALU_DEP_2) | instskip(NEXT) | instid1(VALU_DEP_2)
	v_fma_f32 v44, 0x3e9a209a, v39, -v44
	v_fmac_f32_e32 v43, 0x3e9a209a, v25
	s_delay_alu instid0(VALU_DEP_2) | instskip(NEXT) | instid1(VALU_DEP_2)
	v_fmac_f32_e32 v44, 0x3284fbcf, v39
	v_cndmask_b32_e32 v25, v25, v43, vcc_lo
	s_delay_alu instid0(VALU_DEP_2) | instskip(SKIP_2) | instid1(VALU_DEP_4)
	v_fmac_f32_e32 v44, 0x3e9a209a, v39
	v_cmp_gt_f32_e64 vcc_lo, 0x7f800000, |v39|
	v_cndmask_b32_e64 v43, 0, 0x411a209b, s0
	v_sub_f32_e32 v25, v25, v45
	v_rcp_f32_e32 v45, v26
	v_cndmask_b32_e32 v39, v39, v44, vcc_lo
	v_div_scale_f32 v49, vcc_lo, 1.0, v1, 1.0
	s_delay_alu instid0(VALU_DEP_2) | instskip(SKIP_4) | instid1(VALU_DEP_2)
	v_dual_fmaak_f32 v44, s4, v25, 0x3ecccccd :: v_dual_sub_f32 v39, v39, v43
	v_fmaak_f32 v43, s5, v25, 0x3f400000
	s_waitcnt_depctr 0xfff
	v_fma_f32 v47, -v26, v45, 1.0
	v_sub_f32_e32 v39, v39, v44
	v_fmac_f32_e32 v45, v47, v45
	s_delay_alu instid0(VALU_DEP_2) | instskip(NEXT) | instid1(VALU_DEP_1)
	v_fmac_f32_e32 v43, 0xbe0f5c29, v39
	v_div_scale_f32 v44, null, v43, v43, 1.0
	v_div_scale_f32 v47, s0, 1.0, v43, 1.0
	s_delay_alu instid0(VALU_DEP_2) | instskip(SKIP_2) | instid1(VALU_DEP_1)
	v_rcp_f32_e32 v46, v44
	s_waitcnt_depctr 0xfff
	v_fma_f32 v48, -v44, v46, 1.0
	v_fmac_f32_e32 v46, v48, v46
	v_mul_f32_e32 v48, v49, v45
	s_delay_alu instid0(VALU_DEP_2) | instskip(NEXT) | instid1(VALU_DEP_2)
	v_mul_f32_e32 v50, v47, v46
	v_fma_f32 v51, -v26, v48, v49
	s_delay_alu instid0(VALU_DEP_2) | instskip(NEXT) | instid1(VALU_DEP_2)
	v_fma_f32 v52, -v44, v50, v47
	v_fmac_f32_e32 v48, v51, v45
	s_delay_alu instid0(VALU_DEP_2) | instskip(NEXT) | instid1(VALU_DEP_2)
	v_fmac_f32_e32 v50, v52, v46
	v_fma_f32 v26, -v26, v48, v49
	s_delay_alu instid0(VALU_DEP_2) | instskip(NEXT) | instid1(VALU_DEP_2)
	v_fma_f32 v44, -v44, v50, v47
	v_div_fmas_f32 v26, v26, v45, v48
	s_mov_b32 vcc_lo, s0
	v_mul_f32_e32 v48, 0xc5a20800, v28
	s_delay_alu instid0(VALU_DEP_3) | instskip(NEXT) | instid1(VALU_DEP_3)
	v_div_fmas_f32 v44, v44, v46, v50
	v_div_fixup_f32 v1, v26, v1, 1.0
	s_delay_alu instid0(VALU_DEP_2) | instskip(NEXT) | instid1(VALU_DEP_2)
	v_div_fixup_f32 v43, v44, v43, 1.0
	v_mul_f32_e32 v38, v38, v1
	v_lshl_add_u32 v1, s12, 3, v0
	s_delay_alu instid0(VALU_DEP_3) | instskip(NEXT) | instid1(VALU_DEP_1)
	v_mul_f32_e32 v39, v39, v43
	v_fma_f32 v39, v39, v39, 1.0
	s_delay_alu instid0(VALU_DEP_1) | instskip(SKIP_1) | instid1(VALU_DEP_2)
	v_div_scale_f32 v43, null, v39, v39, 1.0
	v_div_scale_f32 v46, vcc_lo, 1.0, v39, 1.0
	v_rcp_f32_e32 v44, v43
	s_waitcnt_depctr 0xfff
	v_fma_f32 v45, -v43, v44, 1.0
	s_delay_alu instid0(VALU_DEP_1) | instskip(NEXT) | instid1(VALU_DEP_1)
	v_fmac_f32_e32 v44, v45, v44
	v_mul_f32_e32 v45, v46, v44
	s_delay_alu instid0(VALU_DEP_1) | instskip(NEXT) | instid1(VALU_DEP_1)
	v_fma_f32 v47, -v43, v45, v46
	v_fmac_f32_e32 v45, v47, v44
	s_delay_alu instid0(VALU_DEP_1) | instskip(NEXT) | instid1(VALU_DEP_1)
	v_fma_f32 v43, -v43, v45, v46
	v_div_fmas_f32 v43, v43, v44, v45
	s_delay_alu instid0(VALU_DEP_1) | instskip(NEXT) | instid1(VALU_DEP_1)
	v_div_fixup_f32 v39, v43, v39, 1.0
	v_mul_f32_e32 v25, v25, v39
	s_delay_alu instid0(VALU_DEP_1) | instskip(SKIP_1) | instid1(VALU_DEP_2)
	v_mul_f32_e32 v39, 0x40549a78, v25
	v_cmp_ngt_f32_e32 vcc_lo, 0xc23369f4, v25
	v_fma_f32 v43, 0x40549a78, v25, -v39
	v_rndne_f32_e32 v44, v39
	s_delay_alu instid0(VALU_DEP_2) | instskip(NEXT) | instid1(VALU_DEP_2)
	v_fmac_f32_e32 v43, 0x33979a37, v25
	v_sub_f32_e32 v39, v39, v44
	s_delay_alu instid0(VALU_DEP_1) | instskip(SKIP_1) | instid1(VALU_DEP_2)
	v_add_f32_e32 v39, v43, v39
	v_cvt_i32_f32_e32 v43, v44
	v_exp_f32_e32 v39, v39
	s_waitcnt_depctr 0xfff
	v_ldexp_f32 v39, v39, v43
	s_delay_alu instid0(VALU_DEP_1) | instskip(SKIP_2) | instid1(VALU_DEP_3)
	v_cndmask_b32_e32 v26, 0, v39, vcc_lo
	v_cmp_nlt_f32_e32 vcc_lo, 0x421a209b, v25
	v_mul_f32_e32 v39, 0xbb6e500f, v31
	v_cndmask_b32_e32 v25, 0x7f800000, v26, vcc_lo
	s_delay_alu instid0(VALU_DEP_1) | instskip(SKIP_1) | instid1(VALU_DEP_2)
	v_mul_f32_e32 v38, v38, v25
	v_lshlrev_b64 v[25:26], 2, v[1:2]
	v_mul_f32_e32 v0, v42, v38
	s_delay_alu instid0(VALU_DEP_2) | instskip(NEXT) | instid1(VALU_DEP_3)
	v_add_co_u32 v42, vcc_lo, s8, v25
	v_add_co_ci_u32_e32 v43, vcc_lo, s9, v26, vcc_lo
	global_store_b32 v[40:41], v0, off
	v_add_co_u32 v13, vcc_lo, s2, v13
	global_load_b32 v41, v[42:43], off
	v_add_co_ci_u32_e32 v14, vcc_lo, s3, v14, vcc_lo
	v_mul_f32_e32 v40, 0x3fb8aa3b, v39
	global_load_b32 v0, v[13:14], off
	v_mul_f32_e32 v13, 0xba55d210, v31
	v_fma_f32 v46, 0x3fb8aa3b, v39, -v40
	v_rndne_f32_e32 v47, v40
	s_delay_alu instid0(VALU_DEP_3) | instskip(NEXT) | instid1(VALU_DEP_3)
	v_mul_f32_e32 v14, 0x3fb8aa3b, v13
	v_fmac_f32_e32 v46, 0x32a5705f, v39
	s_delay_alu instid0(VALU_DEP_3) | instskip(SKIP_4) | instid1(VALU_DEP_2)
	v_sub_f32_e32 v40, v40, v47
	v_cvt_i32_f32_e32 v47, v47
	v_cmp_ngt_f32_e64 s0, 0xc2ce8ed0, v13
	v_fma_f32 v44, 0x3fb8aa3b, v13, -v14
	v_rndne_f32_e32 v45, v14
	v_fmac_f32_e32 v44, 0x32a5705f, v13
	s_delay_alu instid0(VALU_DEP_2) | instskip(SKIP_1) | instid1(VALU_DEP_2)
	v_sub_f32_e32 v14, v14, v45
	v_cvt_i32_f32_e32 v45, v45
	v_add_f32_e32 v44, v14, v44
	v_add_co_u32 v14, vcc_lo, s10, v15
	v_add_co_ci_u32_e32 v15, vcc_lo, s11, v16, vcc_lo
	v_add_f32_e32 v16, v40, v46
	s_delay_alu instid0(VALU_DEP_4)
	v_exp_f32_e32 v40, v44
	v_mul_f32_e32 v46, 0x3fb8aa3b, v48
	global_load_b32 v50, v[14:15], off
	v_exp_f32_e32 v16, v16
	v_fma_f32 v51, 0x3fb8aa3b, v48, -v46
	v_rndne_f32_e32 v52, v46
	v_ldexp_f32 v40, v40, v45
	s_delay_alu instid0(VALU_DEP_3) | instskip(NEXT) | instid1(VALU_DEP_3)
	v_fmac_f32_e32 v51, 0x32a5705f, v48
	v_sub_f32_e32 v46, v46, v52
	s_waitcnt_depctr 0xfff
	v_ldexp_f32 v16, v16, v47
	v_cndmask_b32_e64 v40, 0, v40, s0
	v_cmp_ngt_f32_e64 s0, 0xc2ce8ed0, v39
	v_cvt_i32_f32_e32 v47, v52
	s_delay_alu instid0(VALU_DEP_2) | instskip(SKIP_1) | instid1(VALU_DEP_1)
	v_cndmask_b32_e64 v16, 0, v16, s0
	v_cmp_nlt_f32_e64 s0, 0x42b17218, v13
	v_cndmask_b32_e64 v13, 0x7f800000, v40, s0
	v_cmp_nlt_f32_e64 s0, 0x42b17218, v39
	s_delay_alu instid0(VALU_DEP_2) | instskip(NEXT) | instid1(VALU_DEP_2)
	v_mul_f32_e32 v13, 0x3f17381d, v13
	v_cndmask_b32_e64 v16, 0x7f800000, v16, s0
	v_cmp_ngt_f32_e64 s0, 0xc2ce8ed0, v48
	s_delay_alu instid0(VALU_DEP_2) | instskip(SKIP_3) | instid1(VALU_DEP_2)
	v_fmamk_f32 v13, v16, 0x3ed18fc5, v13
	s_waitcnt vmcnt(2)
	v_div_scale_f32 v49, null, v41, v41, 1.0
	v_div_scale_f32 v53, vcc_lo, 1.0, v41, 1.0
	v_rcp_f32_e32 v44, v49
	s_waitcnt_depctr 0xfff
	v_fma_f32 v45, -v49, v44, 1.0
	s_delay_alu instid0(VALU_DEP_1) | instskip(NEXT) | instid1(VALU_DEP_1)
	v_dual_fmac_f32 v44, v45, v44 :: v_dual_add_f32 v45, v46, v51
	v_mul_f32_e32 v46, v53, v44
	s_delay_alu instid0(VALU_DEP_2) | instskip(NEXT) | instid1(VALU_DEP_1)
	v_exp_f32_e32 v45, v45
	v_fma_f32 v40, -v49, v46, v53
	s_delay_alu instid0(VALU_DEP_1)
	v_fmac_f32_e32 v46, v40, v44
	s_waitcnt_depctr 0xfff
	v_ldexp_f32 v39, v45, v47
	s_waitcnt vmcnt(0)
	v_mul_f32_e32 v34, v50, v34
	v_fma_f32 v16, -v49, v46, v53
	s_delay_alu instid0(VALU_DEP_3) | instskip(SKIP_3) | instid1(VALU_DEP_2)
	v_cndmask_b32_e64 v39, 0, v39, s0
	global_store_b32 v[14:15], v34, off
	v_div_fmas_f32 v16, v16, v44, v46
	v_cmp_nlt_f32_e32 vcc_lo, 0x42b17218, v48
	v_div_fixup_f32 v16, v16, v41, 1.0
	s_delay_alu instid0(VALU_DEP_1) | instskip(NEXT) | instid1(VALU_DEP_1)
	v_dual_cndmask_b32 v39, 0x7f800000, v39 :: v_dual_mul_f32 v16, v27, v16
	v_dual_add_f32 v13, v39, v13 :: v_dual_mul_f32 v44, v0, v16
	s_delay_alu instid0(VALU_DEP_1) | instskip(SKIP_1) | instid1(VALU_DEP_3)
	v_max_f32_e32 v13, 0x800000, v13
	v_fma_f32 v0, v0, v16, 1.0
	v_max_f32_e32 v40, 0x800000, v44
	s_delay_alu instid0(VALU_DEP_3) | instskip(NEXT) | instid1(VALU_DEP_3)
	v_cmp_gt_f32_e32 vcc_lo, 0x800000, v13
	v_div_scale_f32 v16, null, v0, v0, 1.0
	s_delay_alu instid0(VALU_DEP_3) | instskip(SKIP_2) | instid1(VALU_DEP_2)
	v_cmp_gt_f32_e64 s0, 0x800000, v40
	v_cndmask_b32_e64 v39, 1.0, 0x4f800000, vcc_lo
	v_cndmask_b32_e64 v46, 0, 0x411a209b, vcc_lo
	v_mul_f32_e32 v13, v13, v39
	s_delay_alu instid0(VALU_DEP_4) | instskip(NEXT) | instid1(VALU_DEP_2)
	v_cndmask_b32_e64 v39, 1.0, 0x4f800000, s0
	v_log_f32_e32 v13, v13
	s_delay_alu instid0(VALU_DEP_1) | instskip(NEXT) | instid1(VALU_DEP_1)
	v_mul_f32_e32 v39, v40, v39
	v_log_f32_e32 v39, v39
	s_waitcnt_depctr 0xfff
	v_mul_f32_e32 v40, 0x3e9a209a, v13
	v_cmp_gt_f32_e64 vcc_lo, 0x7f800000, |v13|
	s_delay_alu instid0(VALU_DEP_2) | instskip(SKIP_1) | instid1(VALU_DEP_2)
	v_fma_f32 v40, 0x3e9a209a, v13, -v40
	v_mul_f32_e32 v45, 0x3e9a209a, v39
	v_fmac_f32_e32 v40, 0x3284fbcf, v13
	s_delay_alu instid0(VALU_DEP_2) | instskip(NEXT) | instid1(VALU_DEP_2)
	v_fma_f32 v45, 0x3e9a209a, v39, -v45
	v_fmac_f32_e32 v40, 0x3e9a209a, v13
	s_delay_alu instid0(VALU_DEP_2) | instskip(NEXT) | instid1(VALU_DEP_2)
	v_fmac_f32_e32 v45, 0x3284fbcf, v39
	v_cndmask_b32_e32 v13, v13, v40, vcc_lo
	s_delay_alu instid0(VALU_DEP_2) | instskip(SKIP_2) | instid1(VALU_DEP_4)
	v_fmac_f32_e32 v45, 0x3e9a209a, v39
	v_cmp_gt_f32_e64 vcc_lo, 0x7f800000, |v39|
	v_cndmask_b32_e64 v40, 0, 0x411a209b, s0
	v_sub_f32_e32 v13, v13, v46
	v_rcp_f32_e32 v46, v16
	v_cndmask_b32_e32 v39, v39, v45, vcc_lo
	v_div_scale_f32 v51, vcc_lo, 1.0, v0, 1.0
	s_delay_alu instid0(VALU_DEP_3) | instskip(NEXT) | instid1(VALU_DEP_3)
	v_fmaak_f32 v45, s4, v13, 0x3ecccccd
	v_dual_sub_f32 v39, v39, v40 :: v_dual_fmaak_f32 v40, s5, v13, 0x3f400000
	s_waitcnt_depctr 0xfff
	v_fma_f32 v48, -v16, v46, 1.0
	s_delay_alu instid0(VALU_DEP_1) | instskip(NEXT) | instid1(VALU_DEP_1)
	v_dual_sub_f32 v39, v39, v45 :: v_dual_fmac_f32 v46, v48, v46
	v_fmac_f32_e32 v40, 0xbe0f5c29, v39
	s_delay_alu instid0(VALU_DEP_1) | instskip(SKIP_1) | instid1(VALU_DEP_2)
	v_div_scale_f32 v45, null, v40, v40, 1.0
	v_div_scale_f32 v48, s0, 1.0, v40, 1.0
	v_rcp_f32_e32 v47, v45
	s_waitcnt_depctr 0xfff
	v_fma_f32 v49, -v45, v47, 1.0
	s_delay_alu instid0(VALU_DEP_1) | instskip(NEXT) | instid1(VALU_DEP_1)
	v_fmac_f32_e32 v47, v49, v47
	v_dual_mul_f32 v49, v51, v46 :: v_dual_mul_f32 v52, v48, v47
	s_delay_alu instid0(VALU_DEP_1) | instskip(NEXT) | instid1(VALU_DEP_2)
	v_fma_f32 v53, -v16, v49, v51
	v_fma_f32 v54, -v45, v52, v48
	s_delay_alu instid0(VALU_DEP_1) | instskip(NEXT) | instid1(VALU_DEP_1)
	v_dual_fmac_f32 v49, v53, v46 :: v_dual_fmac_f32 v52, v54, v47
	v_fma_f32 v16, -v16, v49, v51
	s_delay_alu instid0(VALU_DEP_2) | instskip(NEXT) | instid1(VALU_DEP_2)
	v_fma_f32 v45, -v45, v52, v48
	v_div_fmas_f32 v16, v16, v46, v49
	s_mov_b32 vcc_lo, s0
	s_delay_alu instid0(VALU_DEP_2) | instskip(NEXT) | instid1(VALU_DEP_2)
	v_div_fmas_f32 v45, v45, v47, v52
	v_div_fixup_f32 v0, v16, v0, 1.0
	s_delay_alu instid0(VALU_DEP_2) | instskip(NEXT) | instid1(VALU_DEP_2)
	v_div_fixup_f32 v40, v45, v40, 1.0
	v_mul_f32_e32 v0, v44, v0
	s_delay_alu instid0(VALU_DEP_2) | instskip(NEXT) | instid1(VALU_DEP_1)
	v_mul_f32_e32 v39, v39, v40
	v_fma_f32 v39, v39, v39, 1.0
	s_delay_alu instid0(VALU_DEP_1) | instskip(SKIP_1) | instid1(VALU_DEP_2)
	v_div_scale_f32 v40, null, v39, v39, 1.0
	v_div_scale_f32 v47, vcc_lo, 1.0, v39, 1.0
	v_rcp_f32_e32 v45, v40
	s_waitcnt_depctr 0xfff
	v_fma_f32 v46, -v40, v45, 1.0
	s_delay_alu instid0(VALU_DEP_1) | instskip(NEXT) | instid1(VALU_DEP_1)
	v_fmac_f32_e32 v45, v46, v45
	v_mul_f32_e32 v46, v47, v45
	s_delay_alu instid0(VALU_DEP_1) | instskip(NEXT) | instid1(VALU_DEP_1)
	v_fma_f32 v48, -v40, v46, v47
	v_fmac_f32_e32 v46, v48, v45
	s_delay_alu instid0(VALU_DEP_1) | instskip(NEXT) | instid1(VALU_DEP_1)
	v_fma_f32 v40, -v40, v46, v47
	v_div_fmas_f32 v40, v40, v45, v46
	s_delay_alu instid0(VALU_DEP_1) | instskip(NEXT) | instid1(VALU_DEP_1)
	v_div_fixup_f32 v39, v40, v39, 1.0
	v_mul_f32_e32 v13, v13, v39
	s_delay_alu instid0(VALU_DEP_1) | instskip(SKIP_1) | instid1(VALU_DEP_2)
	v_mul_f32_e32 v39, 0x40549a78, v13
	v_cmp_ngt_f32_e32 vcc_lo, 0xc23369f4, v13
	v_fma_f32 v40, 0x40549a78, v13, -v39
	v_rndne_f32_e32 v45, v39
	s_delay_alu instid0(VALU_DEP_2) | instskip(NEXT) | instid1(VALU_DEP_2)
	v_fmac_f32_e32 v40, 0x33979a37, v13
	v_sub_f32_e32 v39, v39, v45
	s_delay_alu instid0(VALU_DEP_1) | instskip(SKIP_1) | instid1(VALU_DEP_2)
	v_add_f32_e32 v39, v40, v39
	v_cvt_i32_f32_e32 v40, v45
	v_exp_f32_e32 v39, v39
	s_waitcnt_depctr 0xfff
	v_ldexp_f32 v39, v39, v40
	s_delay_alu instid0(VALU_DEP_1) | instskip(SKIP_2) | instid1(VALU_DEP_3)
	v_cndmask_b32_e32 v16, 0, v39, vcc_lo
	v_cmp_nlt_f32_e32 vcc_lo, 0x421a209b, v13
	v_mad_u64_u32 v[39:40], null, s12, 15, v[1:2]
	v_dual_mov_b32 v40, v2 :: v_dual_cndmask_b32 v1, 0x7f800000, v16
	s_delay_alu instid0(VALU_DEP_1) | instskip(NEXT) | instid1(VALU_DEP_2)
	v_mul_f32_e32 v13, v0, v1
	v_lshlrev_b64 v[0:1], 2, v[39:40]
	s_delay_alu instid0(VALU_DEP_2) | instskip(NEXT) | instid1(VALU_DEP_2)
	v_mul_f32_e32 v16, v41, v13
	v_add_co_u32 v40, vcc_lo, s8, v0
	s_delay_alu instid0(VALU_DEP_3)
	v_add_co_ci_u32_e32 v41, vcc_lo, s9, v1, vcc_lo
	global_store_b32 v[42:43], v16, off
	v_add_co_u32 v16, vcc_lo, s10, v17
	global_load_b32 v42, v[40:41], off
	v_add_co_ci_u32_e32 v17, vcc_lo, s11, v18, vcc_lo
	v_add_co_u32 v11, vcc_lo, s2, v11
	v_add_co_ci_u32_e32 v12, vcc_lo, s3, v12, vcc_lo
	global_load_b32 v14, v[16:17], off
	v_mul_f32_e32 v43, 0xc5834000, v28
	global_load_b32 v11, v[11:12], off
	v_mul_f32_e32 v12, 0xba2894d3, v31
	s_delay_alu instid0(VALU_DEP_1) | instskip(SKIP_1) | instid1(VALU_DEP_2)
	v_mul_f32_e32 v15, 0x3fb8aa3b, v12
	v_cmp_ngt_f32_e64 s0, 0xc2ce8ed0, v12
	v_fma_f32 v18, 0x3fb8aa3b, v12, -v15
	v_rndne_f32_e32 v34, v15
	s_delay_alu instid0(VALU_DEP_1) | instskip(SKIP_1) | instid1(VALU_DEP_2)
	v_dual_fmac_f32 v18, 0x32a5705f, v12 :: v_dual_sub_f32 v15, v15, v34
	v_cvt_i32_f32_e32 v34, v34
	v_dual_add_f32 v15, v15, v18 :: v_dual_mul_f32 v18, 0x3fb8aa3b, v43
	s_delay_alu instid0(VALU_DEP_1) | instskip(NEXT) | instid1(VALU_DEP_1)
	v_exp_f32_e32 v15, v15
	v_fma_f32 v46, 0x3fb8aa3b, v43, -v18
	v_rndne_f32_e32 v47, v18
	s_delay_alu instid0(VALU_DEP_2) | instskip(NEXT) | instid1(VALU_DEP_2)
	v_fmac_f32_e32 v46, 0x32a5705f, v43
	v_sub_f32_e32 v18, v18, v47
	s_waitcnt_depctr 0xfff
	v_ldexp_f32 v15, v15, v34
	v_add_f32_e32 v18, v18, v46
	s_delay_alu instid0(VALU_DEP_2) | instskip(SKIP_1) | instid1(VALU_DEP_3)
	v_cndmask_b32_e64 v15, 0, v15, s0
	v_cmp_nlt_f32_e64 s0, 0x42b17218, v12
	v_exp_f32_e32 v18, v18
	s_delay_alu instid0(VALU_DEP_1) | instskip(SKIP_1) | instid1(VALU_DEP_2)
	v_cndmask_b32_e64 v12, 0x7f800000, v15, s0
	v_cvt_i32_f32_e32 v15, v47
	v_mul_f32_e32 v12, 0x3f420c4a, v12
	s_waitcnt_depctr 0xfff
	v_ldexp_f32 v15, v18, v15
	v_add_co_u32 v18, s0, s10, v19
	s_delay_alu instid0(VALU_DEP_1) | instskip(SKIP_2) | instid1(VALU_DEP_2)
	v_add_co_ci_u32_e64 v19, s0, s11, v20, s0
	v_cmp_ngt_f32_e64 s0, 0xc2ce8ed0, v43
	v_fmamk_f32 v12, v33, 0x3e77ced9, v12
	v_cndmask_b32_e64 v15, 0, v15, s0
	s_waitcnt vmcnt(2)
	v_div_scale_f32 v44, null, v42, v42, 1.0
	v_div_scale_f32 v34, vcc_lo, 1.0, v42, 1.0
	s_delay_alu instid0(VALU_DEP_2)
	v_rcp_f32_e32 v45, v44
	s_waitcnt vmcnt(1)
	v_mul_f32_e32 v14, v14, v35
	global_store_b32 v[16:17], v14, off
	global_load_b32 v33, v[18:19], off
	v_fma_f32 v48, -v44, v45, 1.0
	s_delay_alu instid0(VALU_DEP_1) | instskip(NEXT) | instid1(VALU_DEP_1)
	v_fmac_f32_e32 v45, v48, v45
	v_mul_f32_e32 v46, v34, v45
	s_delay_alu instid0(VALU_DEP_1) | instskip(NEXT) | instid1(VALU_DEP_1)
	v_fma_f32 v47, -v44, v46, v34
	v_fmac_f32_e32 v46, v47, v45
	s_delay_alu instid0(VALU_DEP_1) | instskip(NEXT) | instid1(VALU_DEP_1)
	v_fma_f32 v20, -v44, v46, v34
	v_div_fmas_f32 v20, v20, v45, v46
	v_cmp_nlt_f32_e32 vcc_lo, 0x42b17218, v43
	s_delay_alu instid0(VALU_DEP_2) | instskip(NEXT) | instid1(VALU_DEP_1)
	v_div_fixup_f32 v14, v20, v42, 1.0
	v_dual_cndmask_b32 v15, 0x7f800000, v15 :: v_dual_mul_f32 v14, v27, v14
	s_delay_alu instid0(VALU_DEP_1) | instskip(SKIP_1) | instid1(VALU_DEP_1)
	v_add_f32_e32 v12, v15, v12
	s_waitcnt vmcnt(1)
	v_dual_mul_f32 v17, v11, v14 :: v_dual_max_f32 v12, 0x800000, v12
	v_fma_f32 v11, v11, v14, 1.0
	s_delay_alu instid0(VALU_DEP_2) | instskip(NEXT) | instid1(VALU_DEP_3)
	v_max_f32_e32 v16, 0x800000, v17
	v_cmp_gt_f32_e32 vcc_lo, 0x800000, v12
	s_delay_alu instid0(VALU_DEP_3) | instskip(NEXT) | instid1(VALU_DEP_3)
	v_div_scale_f32 v14, null, v11, v11, 1.0
	v_cmp_gt_f32_e64 s0, 0x800000, v16
	v_cndmask_b32_e64 v15, 1.0, 0x4f800000, vcc_lo
	v_cndmask_b32_e64 v34, 0, 0x411a209b, vcc_lo
	s_delay_alu instid0(VALU_DEP_2) | instskip(NEXT) | instid1(VALU_DEP_4)
	v_mul_f32_e32 v12, v12, v15
	v_cndmask_b32_e64 v15, 1.0, 0x4f800000, s0
	s_delay_alu instid0(VALU_DEP_2) | instskip(NEXT) | instid1(VALU_DEP_1)
	v_log_f32_e32 v12, v12
	v_mul_f32_e32 v15, v16, v15
	s_delay_alu instid0(VALU_DEP_1) | instskip(SKIP_3) | instid1(VALU_DEP_2)
	v_log_f32_e32 v15, v15
	s_waitcnt_depctr 0xfff
	v_mul_f32_e32 v16, 0x3e9a209a, v12
	v_cmp_gt_f32_e64 vcc_lo, 0x7f800000, |v12|
	v_fma_f32 v16, 0x3e9a209a, v12, -v16
	v_mul_f32_e32 v20, 0x3e9a209a, v15
	s_delay_alu instid0(VALU_DEP_2) | instskip(NEXT) | instid1(VALU_DEP_2)
	v_fmac_f32_e32 v16, 0x3284fbcf, v12
	v_fma_f32 v20, 0x3e9a209a, v15, -v20
	s_delay_alu instid0(VALU_DEP_2) | instskip(NEXT) | instid1(VALU_DEP_2)
	v_fmac_f32_e32 v16, 0x3e9a209a, v12
	v_fmac_f32_e32 v20, 0x3284fbcf, v15
	s_delay_alu instid0(VALU_DEP_2) | instskip(NEXT) | instid1(VALU_DEP_2)
	v_cndmask_b32_e32 v12, v12, v16, vcc_lo
	v_fmac_f32_e32 v20, 0x3e9a209a, v15
	v_cmp_gt_f32_e64 vcc_lo, 0x7f800000, |v15|
	v_cndmask_b32_e64 v16, 0, 0x411a209b, s0
	s_delay_alu instid0(VALU_DEP_4) | instskip(SKIP_3) | instid1(VALU_DEP_3)
	v_sub_f32_e32 v12, v12, v34
	v_rcp_f32_e32 v34, v14
	v_cndmask_b32_e32 v15, v15, v20, vcc_lo
	v_div_scale_f32 v45, vcc_lo, 1.0, v11, 1.0
	v_fmaak_f32 v20, s4, v12, 0x3ecccccd
	s_delay_alu instid0(VALU_DEP_3) | instskip(SKIP_4) | instid1(VALU_DEP_2)
	v_sub_f32_e32 v15, v15, v16
	v_fmaak_f32 v16, s5, v12, 0x3f400000
	s_waitcnt_depctr 0xfff
	v_fma_f32 v43, -v14, v34, 1.0
	v_sub_f32_e32 v15, v15, v20
	v_fmac_f32_e32 v34, v43, v34
	s_delay_alu instid0(VALU_DEP_2) | instskip(NEXT) | instid1(VALU_DEP_1)
	v_fmac_f32_e32 v16, 0xbe0f5c29, v15
	v_div_scale_f32 v20, null, v16, v16, 1.0
	v_div_scale_f32 v43, s0, 1.0, v16, 1.0
	s_delay_alu instid0(VALU_DEP_2) | instskip(SKIP_2) | instid1(VALU_DEP_1)
	v_rcp_f32_e32 v35, v20
	s_waitcnt_depctr 0xfff
	v_fma_f32 v44, -v20, v35, 1.0
	v_dual_fmac_f32 v35, v44, v35 :: v_dual_mul_f32 v44, v45, v34
	s_delay_alu instid0(VALU_DEP_1) | instskip(NEXT) | instid1(VALU_DEP_2)
	v_mul_f32_e32 v46, v43, v35
	v_fma_f32 v47, -v14, v44, v45
	s_delay_alu instid0(VALU_DEP_2) | instskip(NEXT) | instid1(VALU_DEP_2)
	v_fma_f32 v48, -v20, v46, v43
	v_fmac_f32_e32 v44, v47, v34
	s_delay_alu instid0(VALU_DEP_2) | instskip(NEXT) | instid1(VALU_DEP_2)
	v_fmac_f32_e32 v46, v48, v35
	v_fma_f32 v14, -v14, v44, v45
	s_delay_alu instid0(VALU_DEP_2) | instskip(NEXT) | instid1(VALU_DEP_2)
	v_fma_f32 v20, -v20, v46, v43
	v_div_fmas_f32 v14, v14, v34, v44
	s_mov_b32 vcc_lo, s0
	s_delay_alu instid0(VALU_DEP_2) | instskip(NEXT) | instid1(VALU_DEP_2)
	v_div_fmas_f32 v20, v20, v35, v46
	v_div_fixup_f32 v11, v14, v11, 1.0
	s_delay_alu instid0(VALU_DEP_2) | instskip(NEXT) | instid1(VALU_DEP_2)
	v_div_fixup_f32 v16, v20, v16, 1.0
	v_mul_f32_e32 v11, v17, v11
	s_delay_alu instid0(VALU_DEP_2) | instskip(NEXT) | instid1(VALU_DEP_1)
	v_mul_f32_e32 v15, v15, v16
	v_fma_f32 v15, v15, v15, 1.0
	s_delay_alu instid0(VALU_DEP_1) | instskip(SKIP_1) | instid1(VALU_DEP_2)
	v_div_scale_f32 v16, null, v15, v15, 1.0
	v_div_scale_f32 v35, vcc_lo, 1.0, v15, 1.0
	v_rcp_f32_e32 v20, v16
	s_waitcnt_depctr 0xfff
	v_fma_f32 v34, -v16, v20, 1.0
	s_delay_alu instid0(VALU_DEP_1) | instskip(NEXT) | instid1(VALU_DEP_1)
	v_fmac_f32_e32 v20, v34, v20
	v_mul_f32_e32 v34, v35, v20
	s_delay_alu instid0(VALU_DEP_1) | instskip(NEXT) | instid1(VALU_DEP_1)
	v_fma_f32 v43, -v16, v34, v35
	v_fmac_f32_e32 v34, v43, v20
	s_delay_alu instid0(VALU_DEP_1) | instskip(NEXT) | instid1(VALU_DEP_1)
	v_fma_f32 v16, -v16, v34, v35
	v_div_fmas_f32 v16, v16, v20, v34
	s_delay_alu instid0(VALU_DEP_1) | instskip(NEXT) | instid1(VALU_DEP_1)
	v_div_fixup_f32 v15, v16, v15, 1.0
	v_mul_f32_e32 v12, v12, v15
	s_delay_alu instid0(VALU_DEP_1) | instskip(SKIP_1) | instid1(VALU_DEP_2)
	v_mul_f32_e32 v15, 0x40549a78, v12
	v_cmp_ngt_f32_e32 vcc_lo, 0xc23369f4, v12
	v_fma_f32 v16, 0x40549a78, v12, -v15
	v_rndne_f32_e32 v20, v15
	s_delay_alu instid0(VALU_DEP_2) | instskip(NEXT) | instid1(VALU_DEP_2)
	v_fmac_f32_e32 v16, 0x33979a37, v12
	v_sub_f32_e32 v15, v15, v20
	s_delay_alu instid0(VALU_DEP_1) | instskip(SKIP_1) | instid1(VALU_DEP_2)
	v_add_f32_e32 v15, v16, v15
	v_cvt_i32_f32_e32 v16, v20
	v_exp_f32_e32 v15, v15
	s_waitcnt_depctr 0xfff
	v_ldexp_f32 v15, v15, v16
	s_delay_alu instid0(VALU_DEP_1) | instskip(SKIP_3) | instid1(VALU_DEP_4)
	v_cndmask_b32_e32 v14, 0, v15, vcc_lo
	v_cmp_nlt_f32_e32 vcc_lo, 0x421a209b, v12
	v_mad_u64_u32 v[15:16], null, s12, 7, v[39:40]
	v_mov_b32_e32 v16, v2
	v_cndmask_b32_e32 v12, 0x7f800000, v14, vcc_lo
	s_delay_alu instid0(VALU_DEP_1) | instskip(NEXT) | instid1(VALU_DEP_3)
	v_mul_f32_e32 v14, v11, v12
	v_lshlrev_b64 v[11:12], 2, v[15:16]
	s_delay_alu instid0(VALU_DEP_2) | instskip(NEXT) | instid1(VALU_DEP_2)
	v_mul_f32_e32 v20, v42, v14
	v_add_co_u32 v16, vcc_lo, s8, v11
	s_delay_alu instid0(VALU_DEP_3)
	v_add_co_ci_u32_e32 v17, vcc_lo, s9, v12, vcc_lo
	global_store_b32 v[40:41], v20, off
	v_add_co_u32 v23, vcc_lo, s10, v23
	global_load_b32 v34, v[16:17], off
	v_add_co_ci_u32_e32 v24, vcc_lo, s11, v24, vcc_lo
	v_add_co_u32 v9, vcc_lo, s2, v9
	v_add_co_ci_u32_e32 v10, vcc_lo, s3, v10, vcc_lo
	v_mul_f32_e32 v41, 0xc5d9a000, v28
	s_waitcnt vmcnt(1)
	v_mul_f32_e32 v20, v33, v36
	global_store_b32 v[18:19], v20, off
	global_load_b32 v18, v[23:24], off
	global_load_b32 v9, v[9:10], off
	v_mul_f32_e32 v10, 0xbc5d67c9, v31
	v_mul_f32_e32 v19, 0xb9b244c4, v31
	s_delay_alu instid0(VALU_DEP_1) | instskip(SKIP_1) | instid1(VALU_DEP_2)
	v_dual_mul_f32 v20, 0x3fb8aa3b, v10 :: v_dual_mul_f32 v33, 0x3fb8aa3b, v19
	v_cmp_ngt_f32_e64 s0, 0xc2ce8ed0, v19
	v_fma_f32 v35, 0x3fb8aa3b, v10, -v20
	v_rndne_f32_e32 v36, v20
	s_delay_alu instid0(VALU_DEP_4) | instskip(SKIP_1) | instid1(VALU_DEP_3)
	v_fma_f32 v39, 0x3fb8aa3b, v19, -v33
	v_rndne_f32_e32 v40, v33
	v_dual_fmac_f32 v35, 0x32a5705f, v10 :: v_dual_sub_f32 v20, v20, v36
	s_delay_alu instid0(VALU_DEP_3) | instskip(NEXT) | instid1(VALU_DEP_3)
	v_fmac_f32_e32 v39, 0x32a5705f, v19
	v_sub_f32_e32 v33, v33, v40
	v_cvt_i32_f32_e32 v36, v36
	v_cvt_i32_f32_e32 v40, v40
	v_dual_add_f32 v20, v20, v35 :: v_dual_mul_f32 v35, 0x3fb8aa3b, v41
	s_delay_alu instid0(VALU_DEP_4) | instskip(NEXT) | instid1(VALU_DEP_2)
	v_add_f32_e32 v33, v33, v39
	v_exp_f32_e32 v20, v20
	s_delay_alu instid0(VALU_DEP_2) | instskip(NEXT) | instid1(VALU_DEP_2)
	v_fma_f32 v39, 0x3fb8aa3b, v41, -v35
	v_exp_f32_e32 v33, v33
	v_rndne_f32_e32 v44, v35
	s_delay_alu instid0(VALU_DEP_2) | instskip(NEXT) | instid1(VALU_DEP_2)
	v_fmac_f32_e32 v39, 0x32a5705f, v41
	v_sub_f32_e32 v35, v35, v44
	s_waitcnt_depctr 0xfff
	v_ldexp_f32 v20, v20, v36
	v_ldexp_f32 v33, v33, v40
	v_add_f32_e32 v35, v35, v39
	s_delay_alu instid0(VALU_DEP_2) | instskip(SKIP_1) | instid1(VALU_DEP_3)
	v_cndmask_b32_e64 v33, 0, v33, s0
	v_cmp_ngt_f32_e64 s0, 0xc2ce8ed0, v10
	v_exp_f32_e32 v35, v35
	s_delay_alu instid0(VALU_DEP_1) | instskip(SKIP_1) | instid1(VALU_DEP_1)
	v_cndmask_b32_e64 v20, 0, v20, s0
	v_cmp_nlt_f32_e64 s0, 0x42b17218, v19
	v_cndmask_b32_e64 v19, 0x7f800000, v33, s0
	v_cmp_nlt_f32_e64 s0, 0x42b17218, v10
	s_delay_alu instid0(VALU_DEP_2) | instskip(NEXT) | instid1(VALU_DEP_2)
	v_mul_f32_e32 v19, 0x3f4872b0, v19
	v_cndmask_b32_e64 v10, 0x7f800000, v20, s0
	v_cmp_ngt_f32_e64 s0, 0xc2ce8ed0, v41
	s_delay_alu instid0(VALU_DEP_2) | instskip(SKIP_3) | instid1(VALU_DEP_2)
	v_fmamk_f32 v10, v10, 0x3e5e353f, v19
	s_waitcnt vmcnt(2)
	v_div_scale_f32 v42, null, v34, v34, 1.0
	v_div_scale_f32 v39, vcc_lo, 1.0, v34, 1.0
	v_rcp_f32_e32 v43, v42
	s_waitcnt_depctr 0xfff
	v_fma_f32 v36, -v42, v43, 1.0
	s_delay_alu instid0(VALU_DEP_1) | instskip(SKIP_1) | instid1(VALU_DEP_2)
	v_fmac_f32_e32 v43, v36, v43
	v_cvt_i32_f32_e32 v36, v44
	v_mul_f32_e32 v40, v39, v43
	s_delay_alu instid0(VALU_DEP_2) | instskip(NEXT) | instid1(VALU_DEP_2)
	v_ldexp_f32 v35, v35, v36
	v_fma_f32 v33, -v42, v40, v39
	s_delay_alu instid0(VALU_DEP_2) | instskip(SKIP_2) | instid1(VALU_DEP_3)
	v_cndmask_b32_e64 v20, 0, v35, s0
	v_cmp_nlt_f32_e64 s0, 0x42b17218, v41
	s_waitcnt vmcnt(1)
	v_dual_mul_f32 v35, v18, v37 :: v_dual_fmac_f32 v40, v33, v43
	s_delay_alu instid0(VALU_DEP_2) | instskip(SKIP_1) | instid1(VALU_DEP_3)
	v_cndmask_b32_e64 v20, 0x7f800000, v20, s0
	v_add_co_u32 v18, s0, s10, v21
	v_fma_f32 v19, -v42, v40, v39
	global_store_b32 v[23:24], v35, off
	v_add_f32_e32 v10, v20, v10
	v_div_fmas_f32 v19, v19, v43, v40
	s_delay_alu instid0(VALU_DEP_2) | instskip(NEXT) | instid1(VALU_DEP_2)
	v_max_f32_e32 v10, 0x800000, v10
	v_div_fixup_f32 v19, v19, v34, 1.0
	s_delay_alu instid0(VALU_DEP_2) | instskip(NEXT) | instid1(VALU_DEP_2)
	v_cmp_gt_f32_e32 vcc_lo, 0x800000, v10
	v_mul_f32_e32 v20, v27, v19
	v_add_co_ci_u32_e64 v19, s0, s11, v22, s0
	v_cndmask_b32_e64 v33, 1.0, 0x4f800000, vcc_lo
	v_cndmask_b32_e64 v24, 0, 0x411a209b, vcc_lo
	s_waitcnt vmcnt(0)
	v_mul_f32_e32 v36, v9, v20
	v_fma_f32 v9, v9, v20, 1.0
	v_mul_f32_e32 v10, v10, v33
	global_load_b32 v33, v[18:19], off
	v_max_f32_e32 v21, 0x800000, v36
	v_div_scale_f32 v20, null, v9, v9, 1.0
	v_log_f32_e32 v10, v10
	s_delay_alu instid0(VALU_DEP_2) | instskip(NEXT) | instid1(VALU_DEP_1)
	v_cmp_gt_f32_e64 s0, 0x800000, v21
	v_cndmask_b32_e64 v22, 1.0, 0x4f800000, s0
	s_waitcnt_depctr 0xfff
	v_cmp_gt_f32_e64 vcc_lo, 0x7f800000, |v10|
	v_mul_f32_e32 v21, v21, v22
	v_mul_f32_e32 v22, 0x3e9a209a, v10
	s_delay_alu instid0(VALU_DEP_2) | instskip(NEXT) | instid1(VALU_DEP_1)
	v_log_f32_e32 v21, v21
	v_fma_f32 v22, 0x3e9a209a, v10, -v22
	s_delay_alu instid0(VALU_DEP_1) | instskip(SKIP_2) | instid1(VALU_DEP_1)
	v_fmac_f32_e32 v22, 0x3284fbcf, v10
	s_waitcnt_depctr 0xfff
	v_dual_mul_f32 v23, 0x3e9a209a, v21 :: v_dual_fmac_f32 v22, 0x3e9a209a, v10
	v_fma_f32 v23, 0x3e9a209a, v21, -v23
	s_delay_alu instid0(VALU_DEP_2) | instskip(SKIP_2) | instid1(VALU_DEP_3)
	v_cndmask_b32_e32 v10, v10, v22, vcc_lo
	v_cmp_gt_f32_e64 vcc_lo, 0x7f800000, |v21|
	v_cndmask_b32_e64 v22, 0, 0x411a209b, s0
	v_dual_fmac_f32 v23, 0x3284fbcf, v21 :: v_dual_sub_f32 v10, v10, v24
	v_rcp_f32_e32 v24, v20
	s_delay_alu instid0(VALU_DEP_1) | instskip(NEXT) | instid1(VALU_DEP_1)
	v_fmac_f32_e32 v23, 0x3e9a209a, v21
	v_cndmask_b32_e32 v21, v21, v23, vcc_lo
	s_delay_alu instid0(VALU_DEP_3)
	v_fmaak_f32 v23, s4, v10, 0x3ecccccd
	s_waitcnt_depctr 0xfff
	v_fma_f32 v37, -v20, v24, 1.0
	v_div_scale_f32 v40, vcc_lo, 1.0, v9, 1.0
	v_sub_f32_e32 v21, v21, v22
	v_fmaak_f32 v22, s5, v10, 0x3f400000
	s_delay_alu instid0(VALU_DEP_4) | instskip(NEXT) | instid1(VALU_DEP_3)
	v_fmac_f32_e32 v24, v37, v24
	v_sub_f32_e32 v21, v21, v23
	s_delay_alu instid0(VALU_DEP_1) | instskip(NEXT) | instid1(VALU_DEP_1)
	v_fmac_f32_e32 v22, 0xbe0f5c29, v21
	v_div_scale_f32 v23, null, v22, v22, 1.0
	v_div_scale_f32 v37, s0, 1.0, v22, 1.0
	s_delay_alu instid0(VALU_DEP_2) | instskip(SKIP_2) | instid1(VALU_DEP_1)
	v_rcp_f32_e32 v35, v23
	s_waitcnt_depctr 0xfff
	v_fma_f32 v39, -v23, v35, 1.0
	v_fmac_f32_e32 v35, v39, v35
	v_mul_f32_e32 v39, v40, v24
	s_delay_alu instid0(VALU_DEP_2) | instskip(NEXT) | instid1(VALU_DEP_2)
	v_mul_f32_e32 v41, v37, v35
	v_fma_f32 v42, -v20, v39, v40
	s_delay_alu instid0(VALU_DEP_2) | instskip(NEXT) | instid1(VALU_DEP_2)
	v_fma_f32 v43, -v23, v41, v37
	v_fmac_f32_e32 v39, v42, v24
	s_delay_alu instid0(VALU_DEP_2) | instskip(NEXT) | instid1(VALU_DEP_2)
	v_fmac_f32_e32 v41, v43, v35
	v_fma_f32 v20, -v20, v39, v40
	s_delay_alu instid0(VALU_DEP_2) | instskip(NEXT) | instid1(VALU_DEP_2)
	v_fma_f32 v23, -v23, v41, v37
	v_div_fmas_f32 v24, v20, v24, v39
	s_mov_b32 vcc_lo, s0
	s_delay_alu instid0(VALU_DEP_2) | instskip(NEXT) | instid1(VALU_DEP_2)
	v_div_fmas_f32 v20, v23, v35, v41
	v_div_fixup_f32 v9, v24, v9, 1.0
	s_delay_alu instid0(VALU_DEP_2) | instskip(NEXT) | instid1(VALU_DEP_1)
	v_div_fixup_f32 v20, v20, v22, 1.0
	v_dual_mul_f32 v9, v36, v9 :: v_dual_mul_f32 v20, v21, v20
	s_delay_alu instid0(VALU_DEP_1) | instskip(NEXT) | instid1(VALU_DEP_1)
	v_fma_f32 v20, v20, v20, 1.0
	v_div_scale_f32 v21, null, v20, v20, 1.0
	v_div_scale_f32 v35, vcc_lo, 1.0, v20, 1.0
	s_delay_alu instid0(VALU_DEP_2) | instskip(SKIP_2) | instid1(VALU_DEP_1)
	v_rcp_f32_e32 v22, v21
	s_waitcnt_depctr 0xfff
	v_fma_f32 v23, -v21, v22, 1.0
	v_fmac_f32_e32 v22, v23, v22
	s_delay_alu instid0(VALU_DEP_1) | instskip(NEXT) | instid1(VALU_DEP_1)
	v_mul_f32_e32 v23, v35, v22
	v_fma_f32 v37, -v21, v23, v35
	s_delay_alu instid0(VALU_DEP_1) | instskip(NEXT) | instid1(VALU_DEP_1)
	v_fmac_f32_e32 v23, v37, v22
	v_fma_f32 v21, -v21, v23, v35
	s_delay_alu instid0(VALU_DEP_1) | instskip(NEXT) | instid1(VALU_DEP_1)
	v_div_fmas_f32 v21, v21, v22, v23
	v_div_fixup_f32 v20, v21, v20, 1.0
	s_delay_alu instid0(VALU_DEP_1) | instskip(NEXT) | instid1(VALU_DEP_1)
	v_mul_f32_e32 v10, v10, v20
	v_mul_f32_e32 v20, 0x40549a78, v10
	v_cmp_ngt_f32_e32 vcc_lo, 0xc23369f4, v10
	s_delay_alu instid0(VALU_DEP_2) | instskip(SKIP_1) | instid1(VALU_DEP_2)
	v_fma_f32 v21, 0x40549a78, v10, -v20
	v_rndne_f32_e32 v22, v20
	v_fmac_f32_e32 v21, 0x33979a37, v10
	s_delay_alu instid0(VALU_DEP_2) | instskip(SKIP_1) | instid1(VALU_DEP_2)
	v_sub_f32_e32 v20, v20, v22
	v_cvt_i32_f32_e32 v22, v22
	v_add_f32_e32 v20, v21, v20
	s_delay_alu instid0(VALU_DEP_1)
	v_exp_f32_e32 v23, v20
	v_mad_u64_u32 v[20:21], null, 0xffffffbb, s12, v[15:16]
	v_mov_b32_e32 v21, v2
	s_waitcnt_depctr 0xfff
	v_ldexp_f32 v15, v23, v22
	v_mad_u64_u32 v[22:23], null, 0x50, s12, v[20:21]
	v_mov_b32_e32 v23, v2
	s_delay_alu instid0(VALU_DEP_3) | instskip(SKIP_1) | instid1(VALU_DEP_2)
	v_cndmask_b32_e32 v15, 0, v15, vcc_lo
	v_cmp_nlt_f32_e32 vcc_lo, 0x421a209b, v10
	v_cndmask_b32_e32 v10, 0x7f800000, v15, vcc_lo
	s_delay_alu instid0(VALU_DEP_1) | instskip(SKIP_1) | instid1(VALU_DEP_2)
	v_mul_f32_e32 v15, v9, v10
	v_lshlrev_b64 v[9:10], 2, v[22:23]
	v_mul_f32_e32 v34, v34, v15
	s_delay_alu instid0(VALU_DEP_2) | instskip(NEXT) | instid1(VALU_DEP_3)
	v_add_co_u32 v23, vcc_lo, s8, v9
	v_add_co_ci_u32_e32 v24, vcc_lo, s9, v10, vcc_lo
	global_store_b32 v[16:17], v34, off
	v_lshlrev_b64 v[16:17], 2, v[20:21]
	global_load_b32 v34, v[23:24], off
	v_add_co_u32 v16, vcc_lo, s2, v16
	v_add_co_ci_u32_e32 v17, vcc_lo, s3, v17, vcc_lo
	global_load_b32 v20, v[16:17], off
	v_add_co_u32 v16, vcc_lo, s10, v25
	v_add_co_ci_u32_e32 v17, vcc_lo, s11, v26, vcc_lo
	s_waitcnt vmcnt(2)
	v_dual_mul_f32 v21, v33, v38 :: v_dual_mul_f32 v38, 0xc59f2800, v28
	global_store_b32 v[18:19], v21, off
	global_load_b32 v18, v[16:17], off
	v_mul_f32_e32 v21, 0xb9fc4ddc, v31
	v_mul_f32_e32 v19, 0xbd9c9f71, v31
	s_delay_alu instid0(VALU_DEP_1) | instskip(SKIP_1) | instid1(VALU_DEP_2)
	v_dual_mul_f32 v26, 0x3fb8aa3b, v21 :: v_dual_mul_f32 v25, 0x3fb8aa3b, v19
	v_cmp_ngt_f32_e64 s0, 0xc2ce8ed0, v21
	v_fma_f32 v36, 0x3fb8aa3b, v21, -v26
	v_rndne_f32_e32 v37, v26
	s_delay_alu instid0(VALU_DEP_4) | instskip(SKIP_1) | instid1(VALU_DEP_4)
	v_fma_f32 v33, 0x3fb8aa3b, v19, -v25
	v_rndne_f32_e32 v35, v25
	v_fmac_f32_e32 v36, 0x32a5705f, v21
	s_delay_alu instid0(VALU_DEP_3) | instskip(NEXT) | instid1(VALU_DEP_3)
	v_dual_sub_f32 v26, v26, v37 :: v_dual_fmac_f32 v33, 0x32a5705f, v19
	v_sub_f32_e32 v25, v25, v35
	v_cvt_i32_f32_e32 v37, v37
	v_cvt_i32_f32_e32 v35, v35
	s_delay_alu instid0(VALU_DEP_3) | instskip(SKIP_1) | instid1(VALU_DEP_2)
	v_dual_add_f32 v26, v26, v36 :: v_dual_add_f32 v25, v25, v33
	v_mul_f32_e32 v33, 0x3fb8aa3b, v38
	v_exp_f32_e32 v26, v26
	s_delay_alu instid0(VALU_DEP_2) | instskip(NEXT) | instid1(VALU_DEP_1)
	v_exp_f32_e32 v25, v25
	v_fma_f32 v36, 0x3fb8aa3b, v38, -v33
	v_rndne_f32_e32 v41, v33
	s_delay_alu instid0(VALU_DEP_1) | instskip(SKIP_4) | instid1(VALU_DEP_3)
	v_dual_fmac_f32 v36, 0x32a5705f, v38 :: v_dual_sub_f32 v33, v33, v41
	s_waitcnt_depctr 0xfff
	v_ldexp_f32 v26, v26, v37
	v_ldexp_f32 v25, v25, v35
	v_add_f32_e32 v33, v33, v36
	v_cndmask_b32_e64 v26, 0, v26, s0
	v_cmp_ngt_f32_e64 s0, 0xc2ce8ed0, v19
	s_delay_alu instid0(VALU_DEP_3) | instskip(NEXT) | instid1(VALU_DEP_1)
	v_exp_f32_e32 v33, v33
	v_cndmask_b32_e64 v25, 0, v25, s0
	v_cmp_nlt_f32_e64 s0, 0x42b17218, v21
	s_delay_alu instid0(VALU_DEP_1) | instskip(SKIP_1) | instid1(VALU_DEP_2)
	v_cndmask_b32_e64 v21, 0x7f800000, v26, s0
	v_cmp_nlt_f32_e64 s0, 0x42b17218, v19
	v_mul_f32_e32 v21, 0x3f1e075f, v21
	s_delay_alu instid0(VALU_DEP_2) | instskip(SKIP_1) | instid1(VALU_DEP_2)
	v_cndmask_b32_e64 v19, 0x7f800000, v25, s0
	v_cmp_ngt_f32_e64 s0, 0xc2ce8ed0, v38
	v_fmamk_f32 v19, v19, 0x3ec3f141, v21
	s_waitcnt vmcnt(2)
	v_div_scale_f32 v39, null, v34, v34, 1.0
	v_div_scale_f32 v36, vcc_lo, 1.0, v34, 1.0
	s_delay_alu instid0(VALU_DEP_2) | instskip(SKIP_2) | instid1(VALU_DEP_1)
	v_rcp_f32_e32 v40, v39
	s_waitcnt_depctr 0xfff
	v_fma_f32 v35, -v39, v40, 1.0
	v_fmac_f32_e32 v40, v35, v40
	v_cvt_i32_f32_e32 v35, v41
	s_delay_alu instid0(VALU_DEP_2) | instskip(NEXT) | instid1(VALU_DEP_2)
	v_mul_f32_e32 v37, v36, v40
	v_ldexp_f32 v33, v33, v35
	s_delay_alu instid0(VALU_DEP_2) | instskip(NEXT) | instid1(VALU_DEP_2)
	v_fma_f32 v26, -v39, v37, v36
	v_cndmask_b32_e64 v25, 0, v33, s0
	v_cmp_nlt_f32_e64 s0, 0x42b17218, v38
	s_delay_alu instid0(VALU_DEP_3) | instskip(NEXT) | instid1(VALU_DEP_2)
	v_fmac_f32_e32 v37, v26, v40
	v_cndmask_b32_e64 v25, 0x7f800000, v25, s0
	s_delay_alu instid0(VALU_DEP_2) | instskip(NEXT) | instid1(VALU_DEP_2)
	v_fma_f32 v21, -v39, v37, v36
	v_add_f32_e32 v19, v25, v19
	s_delay_alu instid0(VALU_DEP_2) | instskip(NEXT) | instid1(VALU_DEP_2)
	v_div_fmas_f32 v21, v21, v40, v37
	v_max_f32_e32 v19, 0x800000, v19
	s_delay_alu instid0(VALU_DEP_2) | instskip(NEXT) | instid1(VALU_DEP_2)
	v_div_fixup_f32 v21, v21, v34, 1.0
	v_cmp_gt_f32_e32 vcc_lo, 0x800000, v19
	s_delay_alu instid0(VALU_DEP_2) | instskip(SKIP_2) | instid1(VALU_DEP_2)
	v_mul_f32_e32 v21, v27, v21
	v_cndmask_b32_e64 v25, 1.0, 0x4f800000, vcc_lo
	s_waitcnt vmcnt(1)
	v_mul_f32_e32 v26, v20, v21
	s_delay_alu instid0(VALU_DEP_2) | instskip(NEXT) | instid1(VALU_DEP_2)
	v_mul_f32_e32 v19, v19, v25
	v_max_f32_e32 v25, 0x800000, v26
	s_delay_alu instid0(VALU_DEP_2) | instskip(SKIP_2) | instid1(VALU_DEP_2)
	v_log_f32_e32 v33, v19
	s_waitcnt vmcnt(0)
	v_mul_f32_e32 v13, v18, v13
	v_cmp_gt_f32_e64 s0, 0x800000, v25
	v_add_co_u32 v18, s1, s10, v0
	global_store_b32 v[16:17], v13, off
	v_cndmask_b32_e64 v19, 1.0, 0x4f800000, s0
	v_cndmask_b32_e64 v16, 0, 0x411a209b, vcc_lo
	v_cmp_gt_f32_e64 vcc_lo, 0x7f800000, |v33|
	s_delay_alu instid0(VALU_DEP_3) | instskip(SKIP_1) | instid1(VALU_DEP_2)
	v_mul_f32_e32 v19, v25, v19
	v_mul_f32_e32 v25, 0x3e9a209a, v33
	v_log_f32_e32 v35, v19
	v_add_co_ci_u32_e64 v19, s1, s11, v1, s1
	s_delay_alu instid0(VALU_DEP_2) | instskip(SKIP_4) | instid1(VALU_DEP_1)
	v_fma_f32 v0, 0x3e9a209a, v33, -v25
	v_add_co_u32 v9, s1, s10, v9
	global_load_b32 v13, v[18:19], off
	v_add_co_ci_u32_e64 v10, s1, s11, v10, s1
	v_fmac_f32_e32 v0, 0x3284fbcf, v33
	v_dual_mul_f32 v1, 0x3e9a209a, v35 :: v_dual_fmac_f32 v0, 0x3e9a209a, v33
	s_delay_alu instid0(VALU_DEP_1) | instskip(NEXT) | instid1(VALU_DEP_1)
	v_fma_f32 v1, 0x3e9a209a, v35, -v1
	v_dual_cndmask_b32 v0, v33, v0 :: v_dual_fmac_f32 v1, 0x3284fbcf, v35
	v_cmp_gt_f32_e64 vcc_lo, 0x7f800000, |v35|
	s_delay_alu instid0(VALU_DEP_2) | instskip(SKIP_1) | instid1(VALU_DEP_2)
	v_dual_sub_f32 v0, v0, v16 :: v_dual_fmac_f32 v1, 0x3e9a209a, v35
	v_cndmask_b32_e64 v16, 0, 0x411a209b, s0
	v_fmaak_f32 v17, s4, v0, 0x3ecccccd
	s_delay_alu instid0(VALU_DEP_3) | instskip(NEXT) | instid1(VALU_DEP_1)
	v_cndmask_b32_e32 v1, v35, v1, vcc_lo
	v_sub_f32_e32 v1, v1, v16
	s_delay_alu instid0(VALU_DEP_1) | instskip(SKIP_1) | instid1(VALU_DEP_2)
	v_dual_fmaak_f32 v16, s5, v0, 0x3f400000 :: v_dual_sub_f32 v1, v1, v17
	v_fma_f32 v17, v20, v21, 1.0
	v_fmac_f32_e32 v16, 0xbe0f5c29, v1
	s_delay_alu instid0(VALU_DEP_2) | instskip(SKIP_1) | instid1(VALU_DEP_3)
	v_div_scale_f32 v20, null, v17, v17, 1.0
	v_div_scale_f32 v37, vcc_lo, 1.0, v17, 1.0
	v_div_scale_f32 v21, null, v16, v16, 1.0
	s_delay_alu instid0(VALU_DEP_3) | instskip(NEXT) | instid1(VALU_DEP_1)
	v_rcp_f32_e32 v25, v20
	v_rcp_f32_e32 v33, v21
	s_waitcnt_depctr 0xfff
	v_fma_f32 v35, -v20, v25, 1.0
	v_fma_f32 v36, -v21, v33, 1.0
	s_delay_alu instid0(VALU_DEP_2) | instskip(SKIP_1) | instid1(VALU_DEP_3)
	v_fmac_f32_e32 v25, v35, v25
	v_div_scale_f32 v35, s0, 1.0, v16, 1.0
	v_fmac_f32_e32 v33, v36, v33
	s_delay_alu instid0(VALU_DEP_3) | instskip(NEXT) | instid1(VALU_DEP_2)
	v_mul_f32_e32 v36, v37, v25
	v_mul_f32_e32 v38, v35, v33
	s_delay_alu instid0(VALU_DEP_2) | instskip(NEXT) | instid1(VALU_DEP_2)
	v_fma_f32 v39, -v20, v36, v37
	v_fma_f32 v40, -v21, v38, v35
	s_delay_alu instid0(VALU_DEP_2) | instskip(NEXT) | instid1(VALU_DEP_2)
	v_fmac_f32_e32 v36, v39, v25
	v_fmac_f32_e32 v38, v40, v33
	s_delay_alu instid0(VALU_DEP_2) | instskip(NEXT) | instid1(VALU_DEP_2)
	v_fma_f32 v20, -v20, v36, v37
	v_fma_f32 v21, -v21, v38, v35
	s_delay_alu instid0(VALU_DEP_2) | instskip(SKIP_1) | instid1(VALU_DEP_2)
	v_div_fmas_f32 v20, v20, v25, v36
	s_mov_b32 vcc_lo, s0
	v_div_fmas_f32 v21, v21, v33, v38
	s_delay_alu instid0(VALU_DEP_1) | instskip(NEXT) | instid1(VALU_DEP_1)
	v_div_fixup_f32 v16, v21, v16, 1.0
	v_mul_f32_e32 v1, v1, v16
	s_delay_alu instid0(VALU_DEP_1) | instskip(NEXT) | instid1(VALU_DEP_1)
	v_fma_f32 v1, v1, v1, 1.0
	v_div_scale_f32 v16, null, v1, v1, 1.0
	v_div_scale_f32 v33, vcc_lo, 1.0, v1, 1.0
	s_delay_alu instid0(VALU_DEP_2) | instskip(SKIP_2) | instid1(VALU_DEP_1)
	v_rcp_f32_e32 v21, v16
	s_waitcnt_depctr 0xfff
	v_fma_f32 v25, -v16, v21, 1.0
	v_fmac_f32_e32 v21, v25, v21
	s_delay_alu instid0(VALU_DEP_1) | instskip(NEXT) | instid1(VALU_DEP_1)
	v_mul_f32_e32 v25, v33, v21
	v_fma_f32 v35, -v16, v25, v33
	s_delay_alu instid0(VALU_DEP_1) | instskip(NEXT) | instid1(VALU_DEP_1)
	v_fmac_f32_e32 v25, v35, v21
	v_fma_f32 v16, -v16, v25, v33
	v_mul_f32_e32 v33, 0xc59b5000, v28
	s_delay_alu instid0(VALU_DEP_2) | instskip(NEXT) | instid1(VALU_DEP_2)
	v_div_fmas_f32 v16, v16, v21, v25
	v_mul_f32_e32 v35, 0x3fb8aa3b, v33
	s_delay_alu instid0(VALU_DEP_2) | instskip(NEXT) | instid1(VALU_DEP_1)
	v_div_fixup_f32 v1, v16, v1, 1.0
	v_mul_f32_e32 v0, v0, v1
	s_delay_alu instid0(VALU_DEP_1) | instskip(SKIP_1) | instid1(VALU_DEP_2)
	v_mul_f32_e32 v1, 0x40549a78, v0
	v_cmp_ngt_f32_e32 vcc_lo, 0xc23369f4, v0
	v_fma_f32 v16, 0x40549a78, v0, -v1
	v_rndne_f32_e32 v21, v1
	s_delay_alu instid0(VALU_DEP_1) | instskip(NEXT) | instid1(VALU_DEP_1)
	v_dual_fmac_f32 v16, 0x33979a37, v0 :: v_dual_sub_f32 v1, v1, v21
	v_add_f32_e32 v1, v16, v1
	v_cvt_i32_f32_e32 v16, v21
	s_delay_alu instid0(VALU_DEP_2) | instskip(SKIP_3) | instid1(VALU_DEP_2)
	v_exp_f32_e32 v1, v1
	s_waitcnt_depctr 0xfff
	v_ldexp_f32 v1, v1, v16
	v_div_fixup_f32 v16, v20, v17, 1.0
	v_cndmask_b32_e32 v1, 0, v1, vcc_lo
	v_cmp_nlt_f32_e32 vcc_lo, 0x421a209b, v0
	s_delay_alu instid0(VALU_DEP_3) | instskip(NEXT) | instid1(VALU_DEP_3)
	v_mul_f32_e32 v16, v26, v16
	v_cndmask_b32_e32 v0, 0x7f800000, v1, vcc_lo
	v_lshl_add_u32 v1, s12, 2, v22
	s_delay_alu instid0(VALU_DEP_2) | instskip(NEXT) | instid1(VALU_DEP_2)
	v_mul_f32_e32 v22, v16, v0
	v_lshlrev_b64 v[16:17], 2, v[1:2]
	s_delay_alu instid0(VALU_DEP_2) | instskip(NEXT) | instid1(VALU_DEP_2)
	v_mul_f32_e32 v0, v34, v22
	v_add_co_u32 v20, vcc_lo, s8, v16
	s_delay_alu instid0(VALU_DEP_3)
	v_add_co_ci_u32_e32 v21, vcc_lo, s9, v17, vcc_lo
	global_store_b32 v[23:24], v0, off
	v_add_co_u32 v7, vcc_lo, s2, v7
	global_load_b32 v23, v[20:21], off
	v_add_co_ci_u32_e32 v8, vcc_lo, s3, v8, vcc_lo
	global_load_b32 v0, v[7:8], off
	v_add_co_u32 v7, vcc_lo, s10, v11
	v_add_co_ci_u32_e32 v8, vcc_lo, s11, v12, vcc_lo
	s_waitcnt vmcnt(2)
	v_dual_mul_f32 v12, 0xbbd901b2, v31 :: v_dual_mul_f32 v13, v13, v14
	s_delay_alu instid0(VALU_DEP_1)
	v_mul_f32_e32 v14, 0x3fb8aa3b, v12
	global_store_b32 v[18:19], v13, off
	global_load_b32 v11, v[7:8], off
	v_mul_f32_e32 v13, 0xba7c8c16, v31
	v_fma_f32 v19, 0x3fb8aa3b, v12, -v14
	v_rndne_f32_e32 v24, v14
	s_delay_alu instid0(VALU_DEP_3) | instskip(NEXT) | instid1(VALU_DEP_3)
	v_mul_f32_e32 v18, 0x3fb8aa3b, v13
	v_fmac_f32_e32 v19, 0x32a5705f, v12
	s_delay_alu instid0(VALU_DEP_3)
	v_sub_f32_e32 v14, v14, v24
	v_cvt_i32_f32_e32 v24, v24
	v_cmp_ngt_f32_e64 s0, 0xc2ce8ed0, v13
	v_fma_f32 v25, 0x3fb8aa3b, v13, -v18
	v_rndne_f32_e32 v26, v18
	v_add_f32_e32 v14, v14, v19
	v_fma_f32 v19, 0x3fb8aa3b, v33, -v35
	s_delay_alu instid0(VALU_DEP_3) | instskip(NEXT) | instid1(VALU_DEP_3)
	v_dual_fmac_f32 v25, 0x32a5705f, v13 :: v_dual_sub_f32 v18, v18, v26
	v_exp_f32_e32 v14, v14
	v_cvt_i32_f32_e32 v26, v26
	s_delay_alu instid0(VALU_DEP_3) | instskip(NEXT) | instid1(VALU_DEP_3)
	v_fmac_f32_e32 v19, 0x32a5705f, v33
	v_add_f32_e32 v18, v18, v25
	v_rndne_f32_e32 v25, v35
	s_delay_alu instid0(VALU_DEP_2) | instskip(NEXT) | instid1(VALU_DEP_1)
	v_exp_f32_e32 v18, v18
	v_sub_f32_e32 v35, v35, v25
	s_delay_alu instid0(TRANS32_DEP_2) | instskip(SKIP_1) | instid1(VALU_DEP_3)
	v_ldexp_f32 v14, v14, v24
	v_cvt_i32_f32_e32 v25, v25
	v_add_f32_e32 v19, v35, v19
	s_waitcnt_depctr 0xfff
	v_ldexp_f32 v18, v18, v26
	v_exp_f32_e32 v19, v19
	s_delay_alu instid0(VALU_DEP_1) | instskip(SKIP_1) | instid1(VALU_DEP_1)
	v_cndmask_b32_e64 v18, 0, v18, s0
	v_cmp_ngt_f32_e64 s0, 0xc2ce8ed0, v12
	v_cndmask_b32_e64 v14, 0, v14, s0
	v_cmp_nlt_f32_e64 s0, 0x42b17218, v13
	s_delay_alu instid0(VALU_DEP_1) | instskip(SKIP_1) | instid1(TRANS32_DEP_1)
	v_cndmask_b32_e64 v13, 0x7f800000, v18, s0
	v_cmp_nlt_f32_e64 s0, 0x42b17218, v12
	v_ldexp_f32 v18, v19, v25
	s_delay_alu instid0(VALU_DEP_3) | instskip(NEXT) | instid1(VALU_DEP_3)
	v_mul_f32_e32 v13, 0x3f0851ec, v13
	v_cndmask_b32_e64 v12, 0x7f800000, v14, s0
	v_cmp_ngt_f32_e64 s0, 0xc2ce8ed0, v33
	s_delay_alu instid0(VALU_DEP_2) | instskip(NEXT) | instid1(VALU_DEP_2)
	v_fmamk_f32 v12, v12, 0x3eef5c29, v13
	v_cndmask_b32_e64 v18, 0, v18, s0
	s_waitcnt vmcnt(2)
	v_div_scale_f32 v34, null, v23, v23, 1.0
	v_div_scale_f32 v38, vcc_lo, 1.0, v23, 1.0
	s_delay_alu instid0(VALU_DEP_2) | instskip(SKIP_2) | instid1(VALU_DEP_1)
	v_rcp_f32_e32 v36, v34
	s_waitcnt_depctr 0xfff
	v_fma_f32 v37, -v34, v36, 1.0
	v_fmac_f32_e32 v36, v37, v36
	s_delay_alu instid0(VALU_DEP_1) | instskip(NEXT) | instid1(VALU_DEP_1)
	v_mul_f32_e32 v24, v38, v36
	v_fma_f32 v26, -v34, v24, v38
	s_delay_alu instid0(VALU_DEP_1) | instskip(NEXT) | instid1(VALU_DEP_1)
	v_fmac_f32_e32 v24, v26, v36
	v_fma_f32 v14, -v34, v24, v38
	s_delay_alu instid0(VALU_DEP_1) | instskip(SKIP_1) | instid1(VALU_DEP_2)
	v_div_fmas_f32 v14, v14, v36, v24
	v_cmp_nlt_f32_e32 vcc_lo, 0x42b17218, v33
	v_div_fixup_f32 v14, v14, v23, 1.0
	v_cndmask_b32_e32 v13, 0x7f800000, v18, vcc_lo
	s_delay_alu instid0(VALU_DEP_1) | instskip(NEXT) | instid1(VALU_DEP_1)
	v_dual_add_f32 v12, v13, v12 :: v_dual_mul_f32 v13, v27, v14
	v_max_f32_e32 v12, 0x800000, v12
	s_waitcnt vmcnt(1)
	s_delay_alu instid0(VALU_DEP_2) | instskip(SKIP_1) | instid1(VALU_DEP_3)
	v_mul_f32_e32 v14, v0, v13
	v_fma_f32 v0, v0, v13, 1.0
	v_cmp_gt_f32_e32 vcc_lo, 0x800000, v12
	s_delay_alu instid0(VALU_DEP_3) | instskip(SKIP_1) | instid1(VALU_DEP_2)
	v_max_f32_e32 v19, 0x800000, v14
	v_cndmask_b32_e64 v18, 1.0, 0x4f800000, vcc_lo
	v_cmp_gt_f32_e64 s0, 0x800000, v19
	s_delay_alu instid0(VALU_DEP_2) | instskip(NEXT) | instid1(VALU_DEP_2)
	v_mul_f32_e32 v12, v12, v18
	v_cndmask_b32_e64 v18, 1.0, 0x4f800000, s0
	s_delay_alu instid0(VALU_DEP_2) | instskip(NEXT) | instid1(VALU_DEP_1)
	v_log_f32_e32 v12, v12
	v_mul_f32_e32 v18, v19, v18
	s_delay_alu instid0(VALU_DEP_1) | instskip(SKIP_2) | instid1(VALU_DEP_1)
	v_log_f32_e32 v18, v18
	s_waitcnt_depctr 0xfff
	v_mul_f32_e32 v19, 0x3e9a209a, v12
	v_fma_f32 v19, 0x3e9a209a, v12, -v19
	s_waitcnt vmcnt(0)
	v_dual_mul_f32 v24, 0x3e9a209a, v18 :: v_dual_mul_f32 v11, v11, v15
	v_cndmask_b32_e64 v15, 0, 0x411a209b, vcc_lo
	v_cmp_gt_f32_e64 vcc_lo, 0x7f800000, |v12|
	v_fmac_f32_e32 v19, 0x3284fbcf, v12
	s_delay_alu instid0(VALU_DEP_4) | instskip(SKIP_4) | instid1(VALU_DEP_2)
	v_fma_f32 v24, 0x3e9a209a, v18, -v24
	global_store_b32 v[7:8], v11, off
	v_cndmask_b32_e64 v8, 0, 0x411a209b, s0
	v_fmac_f32_e32 v19, 0x3e9a209a, v12
	v_fmac_f32_e32 v24, 0x3284fbcf, v18
	v_cndmask_b32_e32 v12, v12, v19, vcc_lo
	global_load_b32 v19, v[9:10], off
	v_fmac_f32_e32 v24, 0x3e9a209a, v18
	v_cmp_gt_f32_e64 vcc_lo, 0x7f800000, |v18|
	v_sub_f32_e32 v7, v12, v15
	s_delay_alu instid0(VALU_DEP_3) | instskip(SKIP_1) | instid1(VALU_DEP_3)
	v_cndmask_b32_e32 v11, v18, v24, vcc_lo
	v_div_scale_f32 v26, vcc_lo, 1.0, v0, 1.0
	v_fmaak_f32 v12, s4, v7, 0x3ecccccd
	s_delay_alu instid0(VALU_DEP_3) | instskip(NEXT) | instid1(VALU_DEP_1)
	v_dual_sub_f32 v8, v11, v8 :: v_dual_fmaak_f32 v11, s5, v7, 0x3f400000
	v_sub_f32_e32 v8, v8, v12
	v_div_scale_f32 v12, null, v0, v0, 1.0
	s_delay_alu instid0(VALU_DEP_2) | instskip(NEXT) | instid1(VALU_DEP_2)
	v_fmac_f32_e32 v11, 0xbe0f5c29, v8
	v_rcp_f32_e32 v15, v12
	s_delay_alu instid0(VALU_DEP_1) | instskip(NEXT) | instid1(VALU_DEP_1)
	v_div_scale_f32 v13, null, v11, v11, 1.0
	v_rcp_f32_e32 v18, v13
	s_waitcnt_depctr 0xfff
	v_fma_f32 v24, -v12, v15, 1.0
	s_delay_alu instid0(VALU_DEP_1) | instskip(SKIP_2) | instid1(VALU_DEP_1)
	v_fmac_f32_e32 v15, v24, v15
	v_div_scale_f32 v24, s0, 1.0, v11, 1.0
	v_fma_f32 v25, -v13, v18, 1.0
	v_dual_fmac_f32 v18, v25, v18 :: v_dual_mul_f32 v25, v26, v15
	s_delay_alu instid0(VALU_DEP_1) | instskip(NEXT) | instid1(VALU_DEP_2)
	v_mul_f32_e32 v33, v24, v18
	v_fma_f32 v34, -v12, v25, v26
	s_delay_alu instid0(VALU_DEP_2) | instskip(NEXT) | instid1(VALU_DEP_2)
	v_fma_f32 v35, -v13, v33, v24
	v_fmac_f32_e32 v25, v34, v15
	s_delay_alu instid0(VALU_DEP_2) | instskip(NEXT) | instid1(VALU_DEP_2)
	v_fmac_f32_e32 v33, v35, v18
	v_fma_f32 v12, -v12, v25, v26
	s_delay_alu instid0(VALU_DEP_2) | instskip(NEXT) | instid1(VALU_DEP_2)
	v_fma_f32 v13, -v13, v33, v24
	v_div_fmas_f32 v12, v12, v15, v25
	s_mov_b32 vcc_lo, s0
	s_delay_alu instid0(VALU_DEP_2) | instskip(NEXT) | instid1(VALU_DEP_2)
	v_div_fmas_f32 v13, v13, v18, v33
	v_div_fixup_f32 v0, v12, v0, 1.0
	s_delay_alu instid0(VALU_DEP_2) | instskip(NEXT) | instid1(VALU_DEP_2)
	v_div_fixup_f32 v11, v13, v11, 1.0
	v_mul_f32_e32 v0, v14, v0
	s_delay_alu instid0(VALU_DEP_2) | instskip(NEXT) | instid1(VALU_DEP_1)
	v_mul_f32_e32 v8, v8, v11
	v_fma_f32 v8, v8, v8, 1.0
	s_delay_alu instid0(VALU_DEP_1) | instskip(SKIP_1) | instid1(VALU_DEP_2)
	v_div_scale_f32 v11, null, v8, v8, 1.0
	v_div_scale_f32 v18, vcc_lo, 1.0, v8, 1.0
	v_rcp_f32_e32 v13, v11
	s_waitcnt_depctr 0xfff
	v_fma_f32 v15, -v11, v13, 1.0
	s_delay_alu instid0(VALU_DEP_1) | instskip(NEXT) | instid1(VALU_DEP_1)
	v_fmac_f32_e32 v13, v15, v13
	v_mul_f32_e32 v15, v18, v13
	s_delay_alu instid0(VALU_DEP_1) | instskip(NEXT) | instid1(VALU_DEP_1)
	v_fma_f32 v24, -v11, v15, v18
	v_fmac_f32_e32 v15, v24, v13
	s_delay_alu instid0(VALU_DEP_1) | instskip(NEXT) | instid1(VALU_DEP_1)
	v_fma_f32 v11, -v11, v15, v18
	v_div_fmas_f32 v11, v11, v13, v15
	s_delay_alu instid0(VALU_DEP_1) | instskip(NEXT) | instid1(VALU_DEP_1)
	v_div_fixup_f32 v8, v11, v8, 1.0
	v_mul_f32_e32 v11, v7, v8
	s_delay_alu instid0(VALU_DEP_1) | instskip(SKIP_1) | instid1(VALU_DEP_2)
	v_mul_f32_e32 v7, 0x40549a78, v11
	v_cmp_ngt_f32_e32 vcc_lo, 0xc23369f4, v11
	v_fma_f32 v8, 0x40549a78, v11, -v7
	v_rndne_f32_e32 v13, v7
	s_delay_alu instid0(VALU_DEP_1) | instskip(NEXT) | instid1(VALU_DEP_1)
	v_dual_fmac_f32 v8, 0x33979a37, v11 :: v_dual_sub_f32 v7, v7, v13
	v_add_f32_e32 v7, v8, v7
	v_cvt_i32_f32_e32 v8, v13
	s_delay_alu instid0(VALU_DEP_2) | instskip(SKIP_2) | instid1(VALU_DEP_1)
	v_exp_f32_e32 v7, v7
	s_waitcnt_depctr 0xfff
	v_ldexp_f32 v7, v7, v8
	v_cndmask_b32_e32 v12, 0, v7, vcc_lo
	v_cmp_nlt_f32_e32 vcc_lo, 0x421a209b, v11
	v_mad_u64_u32 v[7:8], null, s12, 21, v[1:2]
	s_delay_alu instid0(VALU_DEP_3) | instskip(NEXT) | instid1(VALU_DEP_1)
	v_dual_mov_b32 v8, v2 :: v_dual_cndmask_b32 v1, 0x7f800000, v12
	v_mul_f32_e32 v13, v0, v1
	s_delay_alu instid0(VALU_DEP_2) | instskip(NEXT) | instid1(VALU_DEP_2)
	v_lshlrev_b64 v[0:1], 2, v[7:8]
	v_mul_f32_e32 v8, v23, v13
	s_delay_alu instid0(VALU_DEP_2) | instskip(NEXT) | instid1(VALU_DEP_3)
	v_add_co_u32 v11, vcc_lo, s8, v0
	v_add_co_ci_u32_e32 v12, vcc_lo, s9, v1, vcc_lo
	global_store_b32 v[20:21], v8, off
	v_add_co_u32 v5, vcc_lo, s2, v5
	global_load_b32 v14, v[11:12], off
	v_add_co_ci_u32_e32 v6, vcc_lo, s3, v6, vcc_lo
	global_load_b32 v15, v[5:6], off
	v_add_co_u32 v5, vcc_lo, s10, v16
	v_add_co_ci_u32_e32 v6, vcc_lo, s11, v17, vcc_lo
	s_waitcnt vmcnt(2)
	v_mul_f32_e32 v8, v19, v22
	global_store_b32 v[9:10], v8, off
	global_load_b32 v10, v[5:6], off
	s_waitcnt vmcnt(2)
	v_div_scale_f32 v8, null, v14, v14, 1.0
	v_div_scale_f32 v17, vcc_lo, 1.0, v14, 1.0
	s_delay_alu instid0(VALU_DEP_2) | instskip(SKIP_2) | instid1(VALU_DEP_1)
	v_rcp_f32_e32 v9, v8
	s_waitcnt_depctr 0xfff
	v_fma_f32 v16, -v8, v9, 1.0
	v_fmac_f32_e32 v9, v16, v9
	s_delay_alu instid0(VALU_DEP_1) | instskip(NEXT) | instid1(VALU_DEP_1)
	v_mul_f32_e32 v16, v17, v9
	v_fma_f32 v18, -v8, v16, v17
	s_delay_alu instid0(VALU_DEP_1) | instskip(NEXT) | instid1(VALU_DEP_1)
	v_fmac_f32_e32 v16, v18, v9
	v_fma_f32 v8, -v8, v16, v17
	s_delay_alu instid0(VALU_DEP_1) | instskip(NEXT) | instid1(VALU_DEP_1)
	v_div_fmas_f32 v8, v8, v9, v16
	v_div_fixup_f32 v8, v8, v14, 1.0
	s_delay_alu instid0(VALU_DEP_1) | instskip(SKIP_1) | instid1(VALU_DEP_1)
	v_mul_f32_e32 v16, v32, v8
	s_waitcnt vmcnt(1)
	v_fma_f32 v17, v15, v16, 1.0
	s_delay_alu instid0(VALU_DEP_1) | instskip(SKIP_1) | instid1(VALU_DEP_2)
	v_div_scale_f32 v8, null, v17, v17, 1.0
	v_div_scale_f32 v19, vcc_lo, 1.0, v17, 1.0
	v_rcp_f32_e32 v9, v8
	s_waitcnt_depctr 0xfff
	v_fma_f32 v18, -v8, v9, 1.0
	s_delay_alu instid0(VALU_DEP_1) | instskip(NEXT) | instid1(VALU_DEP_1)
	v_fmac_f32_e32 v9, v18, v9
	v_mul_f32_e32 v18, v19, v9
	s_delay_alu instid0(VALU_DEP_1) | instskip(NEXT) | instid1(VALU_DEP_1)
	v_fma_f32 v20, -v8, v18, v19
	v_fmac_f32_e32 v18, v20, v9
	s_delay_alu instid0(VALU_DEP_1) | instskip(NEXT) | instid1(VALU_DEP_1)
	v_fma_f32 v8, -v8, v18, v19
	v_div_fmas_f32 v18, v8, v9, v18
	v_add_co_u32 v8, vcc_lo, s10, v0
	s_waitcnt vmcnt(0)
	v_mul_f32_e32 v0, v10, v13
	v_add_co_ci_u32_e32 v9, vcc_lo, s11, v1, vcc_lo
	v_dual_mul_f32 v10, v15, v16 :: v_dual_add_nc_u32 v1, s12, v7
	v_div_fixup_f32 v13, v18, v17, 1.0
	global_store_b32 v[5:6], v0, off
	global_load_b32 v7, v[8:9], off
	v_lshlrev_b64 v[0:1], 2, v[1:2]
	v_mul_f32_e32 v10, v10, v13
	s_delay_alu instid0(VALU_DEP_2) | instskip(NEXT) | instid1(VALU_DEP_2)
	v_add_co_u32 v5, vcc_lo, s8, v0
	v_mul_f32_e32 v2, v14, v10
	s_delay_alu instid0(VALU_DEP_4)
	v_add_co_ci_u32_e32 v6, vcc_lo, s9, v1, vcc_lo
	global_store_b32 v[11:12], v2, off
	global_load_b32 v11, v[5:6], off
	v_add_co_u32 v2, vcc_lo, s2, v3
	v_add_co_ci_u32_e32 v3, vcc_lo, s3, v4, vcc_lo
	v_add_co_u32 v0, vcc_lo, s10, v0
	v_mul_f32_e32 v4, 0xbe6e8448, v31
	global_load_b32 v2, v[2:3], off
	v_mul_f32_e32 v3, 0xb942c4c6, v31
	v_add_co_ci_u32_e32 v1, vcc_lo, s11, v1, vcc_lo
	s_delay_alu instid0(VALU_DEP_2) | instskip(SKIP_1) | instid1(VALU_DEP_2)
	v_dual_mul_f32 v13, 0x3fb8aa3b, v4 :: v_dual_mul_f32 v12, 0x3fb8aa3b, v3
	v_cmp_ngt_f32_e64 s0, 0xc2ce8ed0, v3
	v_fma_f32 v15, 0x3fb8aa3b, v4, -v13
	v_rndne_f32_e32 v16, v13
	s_delay_alu instid0(VALU_DEP_4) | instskip(NEXT) | instid1(VALU_DEP_3)
	v_rndne_f32_e32 v14, v12
	v_fmac_f32_e32 v15, 0x32a5705f, v4
	s_waitcnt vmcnt(2)
	v_mul_f32_e32 v7, v7, v10
	v_fma_f32 v10, 0x3fb8aa3b, v3, -v12
	global_store_b32 v[8:9], v7, off
	global_load_b32 v7, v[0:1], off
	v_fmac_f32_e32 v10, 0x32a5705f, v3
	v_dual_sub_f32 v8, v12, v14 :: v_dual_sub_f32 v9, v13, v16
	v_mul_f32_e32 v12, 0x3da2d0e5, v28
	v_cvt_i32_f32_e32 v14, v14
	v_cvt_i32_f32_e32 v16, v16
	s_delay_alu instid0(VALU_DEP_4) | instskip(SKIP_3) | instid1(VALU_DEP_3)
	v_dual_add_f32 v8, v8, v10 :: v_dual_add_f32 v9, v9, v15
	s_waitcnt vmcnt(2)
	v_div_scale_f32 v10, null, v11, v11, 1.0
	v_mul_f32_e32 v15, 0x3fb8aa3b, v12
	v_exp_f32_e32 v8, v8
	v_exp_f32_e32 v9, v9
	s_delay_alu instid0(VALU_DEP_2) | instskip(SKIP_3) | instid1(TRANS32_DEP_3)
	v_rcp_f32_e32 v13, v10
	v_div_scale_f32 v19, vcc_lo, 1.0, v11, 1.0
	v_fma_f32 v17, 0x3fb8aa3b, v12, -v15
	v_rndne_f32_e32 v18, v15
	v_ldexp_f32 v8, v8, v14
	s_delay_alu instid0(VALU_DEP_3)
	v_fmac_f32_e32 v17, 0x32a5705f, v12
	s_waitcnt_depctr 0xfff
	v_fma_f32 v14, -v10, v13, 1.0
	v_sub_f32_e32 v15, v15, v18
	v_ldexp_f32 v9, v9, v16
	v_cndmask_b32_e64 v8, 0, v8, s0
	v_cmp_ngt_f32_e64 s0, 0xc2ce8ed0, v4
	v_fmac_f32_e32 v13, v14, v13
	v_add_f32_e32 v14, v15, v17
	v_cvt_i32_f32_e32 v16, v18
	s_delay_alu instid0(VALU_DEP_4) | instskip(NEXT) | instid1(VALU_DEP_4)
	v_cndmask_b32_e64 v9, 0, v9, s0
	v_mul_f32_e32 v15, v19, v13
	v_cmp_nlt_f32_e64 s0, 0x42b17218, v3
	v_exp_f32_e32 v14, v14
	s_delay_alu instid0(VALU_DEP_1) | instskip(NEXT) | instid1(VALU_DEP_3)
	v_cndmask_b32_e64 v3, 0x7f800000, v8, s0
	v_fma_f32 v8, -v10, v15, v19
	v_cmp_nlt_f32_e64 s0, 0x42b17218, v4
	s_delay_alu instid0(VALU_DEP_3) | instskip(NEXT) | instid1(VALU_DEP_3)
	v_mul_f32_e32 v3, 0xbf7b4a23, v3
	v_fmac_f32_e32 v15, v8, v13
	s_delay_alu instid0(VALU_DEP_3) | instskip(NEXT) | instid1(TRANS32_DEP_1)
	v_cndmask_b32_e64 v4, 0x7f800000, v9, s0
	v_ldexp_f32 v8, v14, v16
	v_cmp_ngt_f32_e64 s0, 0xc2ce8ed0, v12
	s_delay_alu instid0(VALU_DEP_3) | instskip(SKIP_1) | instid1(VALU_DEP_3)
	v_fmamk_f32 v3, v4, 0x3ffda512, v3
	v_fma_f32 v4, -v10, v15, v19
	v_cndmask_b32_e64 v8, 0, v8, s0
	s_delay_alu instid0(VALU_DEP_2) | instskip(SKIP_1) | instid1(VALU_DEP_2)
	v_div_fmas_f32 v4, v4, v13, v15
	v_cmp_nlt_f32_e32 vcc_lo, 0x42b17218, v12
	v_div_fixup_f32 v4, v4, v11, 1.0
	s_delay_alu instid0(VALU_DEP_4) | instskip(NEXT) | instid1(VALU_DEP_1)
	v_cndmask_b32_e32 v8, 0x7f800000, v8, vcc_lo
	v_dual_mul_f32 v4, v27, v4 :: v_dual_add_f32 v3, v8, v3
	s_waitcnt vmcnt(1)
	s_delay_alu instid0(VALU_DEP_1) | instskip(SKIP_1) | instid1(VALU_DEP_2)
	v_dual_mul_f32 v8, v2, v4 :: v_dual_max_f32 v3, 0x800000, v3
	v_fma_f32 v2, v2, v4, 1.0
	v_max_f32_e32 v10, 0x800000, v8
	s_delay_alu instid0(VALU_DEP_3) | instskip(NEXT) | instid1(VALU_DEP_3)
	v_cmp_gt_f32_e32 vcc_lo, 0x800000, v3
	v_div_scale_f32 v4, null, v2, v2, 1.0
	s_delay_alu instid0(VALU_DEP_3) | instskip(SKIP_2) | instid1(VALU_DEP_2)
	v_cmp_gt_f32_e64 s0, 0x800000, v10
	v_cndmask_b32_e64 v9, 1.0, 0x4f800000, vcc_lo
	v_cndmask_b32_e64 v13, 0, 0x411a209b, vcc_lo
	v_mul_f32_e32 v3, v3, v9
	s_delay_alu instid0(VALU_DEP_4) | instskip(NEXT) | instid1(VALU_DEP_2)
	v_cndmask_b32_e64 v9, 1.0, 0x4f800000, s0
	v_log_f32_e32 v3, v3
	s_delay_alu instid0(VALU_DEP_1) | instskip(NEXT) | instid1(VALU_DEP_1)
	v_mul_f32_e32 v9, v10, v9
	v_log_f32_e32 v9, v9
	s_waitcnt_depctr 0xfff
	v_mul_f32_e32 v10, 0x3e9a209a, v3
	v_cmp_gt_f32_e64 vcc_lo, 0x7f800000, |v3|
	s_delay_alu instid0(VALU_DEP_2) | instskip(SKIP_1) | instid1(VALU_DEP_2)
	v_fma_f32 v10, 0x3e9a209a, v3, -v10
	v_mul_f32_e32 v12, 0x3e9a209a, v9
	v_fmac_f32_e32 v10, 0x3284fbcf, v3
	s_delay_alu instid0(VALU_DEP_2) | instskip(NEXT) | instid1(VALU_DEP_2)
	v_fma_f32 v12, 0x3e9a209a, v9, -v12
	v_fmac_f32_e32 v10, 0x3e9a209a, v3
	s_delay_alu instid0(VALU_DEP_1) | instskip(NEXT) | instid1(VALU_DEP_1)
	v_dual_fmac_f32 v12, 0x3284fbcf, v9 :: v_dual_cndmask_b32 v3, v3, v10
	v_fmac_f32_e32 v12, 0x3e9a209a, v9
	v_cmp_gt_f32_e64 vcc_lo, 0x7f800000, |v9|
	v_cndmask_b32_e64 v10, 0, 0x411a209b, s0
	s_delay_alu instid0(VALU_DEP_4) | instskip(SKIP_3) | instid1(VALU_DEP_2)
	v_sub_f32_e32 v3, v3, v13
	v_rcp_f32_e32 v13, v4
	v_cndmask_b32_e32 v9, v9, v12, vcc_lo
	v_div_scale_f32 v17, vcc_lo, 1.0, v2, 1.0
	v_dual_fmaak_f32 v12, s4, v3, 0x3ecccccd :: v_dual_sub_f32 v9, v9, v10
	v_fmaak_f32 v10, s5, v3, 0x3f400000
	s_waitcnt_depctr 0xfff
	v_fma_f32 v15, -v4, v13, 1.0
	v_sub_f32_e32 v9, v9, v12
	s_delay_alu instid0(VALU_DEP_2) | instskip(NEXT) | instid1(VALU_DEP_2)
	v_fmac_f32_e32 v13, v15, v13
	v_fmac_f32_e32 v10, 0xbe0f5c29, v9
	s_delay_alu instid0(VALU_DEP_1) | instskip(SKIP_1) | instid1(VALU_DEP_2)
	v_div_scale_f32 v12, null, v10, v10, 1.0
	v_div_scale_f32 v15, s0, 1.0, v10, 1.0
	v_rcp_f32_e32 v14, v12
	s_waitcnt_depctr 0xfff
	v_fma_f32 v16, -v12, v14, 1.0
	s_delay_alu instid0(VALU_DEP_1) | instskip(SKIP_1) | instid1(VALU_DEP_2)
	v_fmac_f32_e32 v14, v16, v14
	v_mul_f32_e32 v16, v17, v13
	v_mul_f32_e32 v18, v15, v14
	s_delay_alu instid0(VALU_DEP_2) | instskip(NEXT) | instid1(VALU_DEP_2)
	v_fma_f32 v19, -v4, v16, v17
	v_fma_f32 v20, -v12, v18, v15
	s_delay_alu instid0(VALU_DEP_2) | instskip(NEXT) | instid1(VALU_DEP_2)
	v_fmac_f32_e32 v16, v19, v13
	v_fmac_f32_e32 v18, v20, v14
	s_delay_alu instid0(VALU_DEP_2) | instskip(NEXT) | instid1(VALU_DEP_2)
	v_fma_f32 v4, -v4, v16, v17
	v_fma_f32 v12, -v12, v18, v15
	s_delay_alu instid0(VALU_DEP_2) | instskip(SKIP_1) | instid1(VALU_DEP_2)
	v_div_fmas_f32 v4, v4, v13, v16
	s_mov_b32 vcc_lo, s0
	v_div_fmas_f32 v12, v12, v14, v18
	s_delay_alu instid0(VALU_DEP_2) | instskip(NEXT) | instid1(VALU_DEP_2)
	v_div_fixup_f32 v2, v4, v2, 1.0
	v_div_fixup_f32 v10, v12, v10, 1.0
	s_delay_alu instid0(VALU_DEP_2) | instskip(NEXT) | instid1(VALU_DEP_2)
	v_mul_f32_e32 v2, v8, v2
	v_mul_f32_e32 v9, v9, v10
	s_delay_alu instid0(VALU_DEP_1) | instskip(NEXT) | instid1(VALU_DEP_1)
	v_fma_f32 v9, v9, v9, 1.0
	v_div_scale_f32 v10, null, v9, v9, 1.0
	v_div_scale_f32 v14, vcc_lo, 1.0, v9, 1.0
	s_delay_alu instid0(VALU_DEP_2) | instskip(SKIP_2) | instid1(VALU_DEP_1)
	v_rcp_f32_e32 v12, v10
	s_waitcnt_depctr 0xfff
	v_fma_f32 v13, -v10, v12, 1.0
	v_fmac_f32_e32 v12, v13, v12
	s_delay_alu instid0(VALU_DEP_1) | instskip(NEXT) | instid1(VALU_DEP_1)
	v_mul_f32_e32 v13, v14, v12
	v_fma_f32 v15, -v10, v13, v14
	s_delay_alu instid0(VALU_DEP_1) | instskip(NEXT) | instid1(VALU_DEP_1)
	v_fmac_f32_e32 v13, v15, v12
	v_fma_f32 v10, -v10, v13, v14
	s_delay_alu instid0(VALU_DEP_1) | instskip(NEXT) | instid1(VALU_DEP_1)
	v_div_fmas_f32 v10, v10, v12, v13
	v_div_fixup_f32 v9, v10, v9, 1.0
	s_delay_alu instid0(VALU_DEP_1) | instskip(NEXT) | instid1(VALU_DEP_1)
	v_mul_f32_e32 v3, v3, v9
	v_mul_f32_e32 v9, 0x40549a78, v3
	v_cmp_ngt_f32_e32 vcc_lo, 0xc23369f4, v3
	s_delay_alu instid0(VALU_DEP_2) | instskip(SKIP_1) | instid1(VALU_DEP_1)
	v_fma_f32 v10, 0x40549a78, v3, -v9
	v_rndne_f32_e32 v12, v9
	v_dual_fmac_f32 v10, 0x33979a37, v3 :: v_dual_sub_f32 v9, v9, v12
	s_delay_alu instid0(VALU_DEP_1) | instskip(SKIP_1) | instid1(VALU_DEP_2)
	v_add_f32_e32 v9, v10, v9
	v_cvt_i32_f32_e32 v10, v12
	v_exp_f32_e32 v9, v9
	s_waitcnt_depctr 0xfff
	v_ldexp_f32 v9, v9, v10
	s_delay_alu instid0(VALU_DEP_1) | instskip(SKIP_1) | instid1(VALU_DEP_2)
	v_cndmask_b32_e32 v4, 0, v9, vcc_lo
	v_cmp_nlt_f32_e32 vcc_lo, 0x421a209b, v3
	v_cndmask_b32_e32 v3, 0x7f800000, v4, vcc_lo
	s_delay_alu instid0(VALU_DEP_1) | instskip(NEXT) | instid1(VALU_DEP_1)
	v_mul_f32_e32 v2, v2, v3
	v_mul_f32_e32 v3, v11, v2
	s_waitcnt vmcnt(0)
	v_mul_f32_e32 v2, v7, v2
	global_store_b32 v[5:6], v3, off
	global_store_b32 v[0:1], v2, off
	s_nop 0
	s_sendmsg sendmsg(MSG_DEALLOC_VGPRS)
	s_endpgm
	.section	.rodata,"a",@progbits
	.p2align	6, 0x0
	.amdhsa_kernel _Z11ratx_kernelIfEvPKT_S2_PS0_S3_S2_S0_
		.amdhsa_group_segment_fixed_size 0
		.amdhsa_private_segment_fixed_size 0
		.amdhsa_kernarg_size 304
		.amdhsa_user_sgpr_count 15
		.amdhsa_user_sgpr_dispatch_ptr 0
		.amdhsa_user_sgpr_queue_ptr 0
		.amdhsa_user_sgpr_kernarg_segment_ptr 1
		.amdhsa_user_sgpr_dispatch_id 0
		.amdhsa_user_sgpr_private_segment_size 0
		.amdhsa_wavefront_size32 1
		.amdhsa_uses_dynamic_stack 0
		.amdhsa_enable_private_segment 0
		.amdhsa_system_sgpr_workgroup_id_x 1
		.amdhsa_system_sgpr_workgroup_id_y 0
		.amdhsa_system_sgpr_workgroup_id_z 0
		.amdhsa_system_sgpr_workgroup_info 0
		.amdhsa_system_vgpr_workitem_id 0
		.amdhsa_next_free_vgpr 55
		.amdhsa_next_free_sgpr 16
		.amdhsa_reserve_vcc 1
		.amdhsa_float_round_mode_32 0
		.amdhsa_float_round_mode_16_64 0
		.amdhsa_float_denorm_mode_32 3
		.amdhsa_float_denorm_mode_16_64 3
		.amdhsa_dx10_clamp 1
		.amdhsa_ieee_mode 1
		.amdhsa_fp16_overflow 0
		.amdhsa_workgroup_processor_mode 1
		.amdhsa_memory_ordered 1
		.amdhsa_forward_progress 0
		.amdhsa_shared_vgpr_count 0
		.amdhsa_exception_fp_ieee_invalid_op 0
		.amdhsa_exception_fp_denorm_src 0
		.amdhsa_exception_fp_ieee_div_zero 0
		.amdhsa_exception_fp_ieee_overflow 0
		.amdhsa_exception_fp_ieee_underflow 0
		.amdhsa_exception_fp_ieee_inexact 0
		.amdhsa_exception_int_div_zero 0
	.end_amdhsa_kernel
	.section	.text._Z11ratx_kernelIfEvPKT_S2_PS0_S3_S2_S0_,"axG",@progbits,_Z11ratx_kernelIfEvPKT_S2_PS0_S3_S2_S0_,comdat
.Lfunc_end12:
	.size	_Z11ratx_kernelIfEvPKT_S2_PS0_S3_S2_S0_, .Lfunc_end12-_Z11ratx_kernelIfEvPKT_S2_PS0_S3_S2_S0_
                                        ; -- End function
	.section	.AMDGPU.csdata,"",@progbits
; Kernel info:
; codeLenInByte = 15868
; NumSgprs: 18
; NumVgprs: 55
; ScratchSize: 0
; MemoryBound: 0
; FloatMode: 240
; IeeeMode: 1
; LDSByteSize: 0 bytes/workgroup (compile time only)
; SGPRBlocks: 2
; VGPRBlocks: 6
; NumSGPRsForWavesPerEU: 18
; NumVGPRsForWavesPerEU: 55
; Occupancy: 16
; WaveLimiterHint : 0
; COMPUTE_PGM_RSRC2:SCRATCH_EN: 0
; COMPUTE_PGM_RSRC2:USER_SGPR: 15
; COMPUTE_PGM_RSRC2:TRAP_HANDLER: 0
; COMPUTE_PGM_RSRC2:TGID_X_EN: 1
; COMPUTE_PGM_RSRC2:TGID_Y_EN: 0
; COMPUTE_PGM_RSRC2:TGID_Z_EN: 0
; COMPUTE_PGM_RSRC2:TIDIG_COMP_CNT: 0
	.section	.text._Z12ratxb_kernelIfEvPKT_S2_PS0_S3_S2_S0_,"axG",@progbits,_Z12ratxb_kernelIfEvPKT_S2_PS0_S3_S2_S0_,comdat
	.protected	_Z12ratxb_kernelIfEvPKT_S2_PS0_S3_S2_S0_ ; -- Begin function _Z12ratxb_kernelIfEvPKT_S2_PS0_S3_S2_S0_
	.globl	_Z12ratxb_kernelIfEvPKT_S2_PS0_S3_S2_S0_
	.p2align	8
	.type	_Z12ratxb_kernelIfEvPKT_S2_PS0_S3_S2_S0_,@function
_Z12ratxb_kernelIfEvPKT_S2_PS0_S3_S2_S0_: ; @_Z12ratxb_kernelIfEvPKT_S2_PS0_S3_S2_S0_
; %bb.0:
	s_clause 0x2
	s_load_b32 s2, s[0:1], 0x3c
	s_load_b32 s12, s[0:1], 0x30
	s_load_b256 s[4:11], s[0:1], 0x0
	s_waitcnt lgkmcnt(0)
	s_and_b32 s2, s2, 0xffff
	s_delay_alu instid0(SALU_CYCLE_1) | instskip(SKIP_2) | instid1(VALU_DEP_1)
	v_mad_u64_u32 v[1:2], null, s15, s2, v[0:1]
	s_mul_i32 s12, s12, s2
	v_mov_b32_e32 v2, 0
	v_lshlrev_b64 v[31:32], 2, v[1:2]
	v_add_nc_u32_e32 v1, s12, v1
	s_delay_alu instid0(VALU_DEP_1) | instskip(SKIP_1) | instid1(VALU_DEP_4)
	v_lshlrev_b64 v[3:4], 2, v[1:2]
	v_add_nc_u32_e32 v1, s12, v1
	v_add_co_u32 v5, vcc_lo, s6, v31
	v_add_co_ci_u32_e32 v6, vcc_lo, s7, v32, vcc_lo
	s_delay_alu instid0(VALU_DEP_3) | instskip(SKIP_3) | instid1(VALU_DEP_3)
	v_lshlrev_b64 v[7:8], 2, v[1:2]
	v_add_nc_u32_e32 v1, s12, v1
	v_add_co_u32 v3, vcc_lo, s6, v3
	v_add_co_ci_u32_e32 v4, vcc_lo, s7, v4, vcc_lo
	v_lshlrev_b64 v[9:10], 2, v[1:2]
	v_add_nc_u32_e32 v1, s12, v1
	v_add_co_u32 v7, vcc_lo, s6, v7
	v_add_co_ci_u32_e32 v8, vcc_lo, s7, v8, vcc_lo
	s_delay_alu instid0(VALU_DEP_3) | instskip(SKIP_3) | instid1(VALU_DEP_3)
	v_lshlrev_b64 v[11:12], 2, v[1:2]
	v_add_nc_u32_e32 v1, s12, v1
	v_add_co_u32 v9, vcc_lo, s6, v9
	v_add_co_ci_u32_e32 v10, vcc_lo, s7, v10, vcc_lo
	v_lshlrev_b64 v[13:14], 2, v[1:2]
	v_add_nc_u32_e32 v1, s12, v1
	v_add_co_u32 v11, vcc_lo, s6, v11
	v_add_co_ci_u32_e32 v12, vcc_lo, s7, v12, vcc_lo
	s_delay_alu instid0(VALU_DEP_3) | instskip(SKIP_3) | instid1(VALU_DEP_4)
	v_lshlrev_b64 v[15:16], 2, v[1:2]
	v_add_nc_u32_e32 v1, s12, v1
	v_add_co_u32 v13, vcc_lo, s6, v13
	v_add_co_ci_u32_e32 v14, vcc_lo, s7, v14, vcc_lo
	v_add_co_u32 v23, vcc_lo, s6, v15
	s_delay_alu instid0(VALU_DEP_4)
	v_lshlrev_b64 v[17:18], 2, v[1:2]
	v_add_nc_u32_e32 v1, s12, v1
	v_add_co_ci_u32_e32 v24, vcc_lo, s7, v16, vcc_lo
	s_clause 0x6
	global_load_b32 v0, v[5:6], off
	global_load_b32 v37, v[3:4], off
	;; [unrolled: 1-line block ×7, first 2 shown]
	v_lshlrev_b64 v[15:16], 2, v[1:2]
	v_add_nc_u32_e32 v1, s12, v1
	v_add_co_u32 v3, vcc_lo, s6, v17
	v_add_co_ci_u32_e32 v4, vcc_lo, s7, v18, vcc_lo
	s_delay_alu instid0(VALU_DEP_3) | instskip(SKIP_3) | instid1(VALU_DEP_3)
	v_lshlrev_b64 v[25:26], 2, v[1:2]
	v_add_nc_u32_e32 v1, s12, v1
	v_add_co_u32 v5, vcc_lo, s6, v15
	v_add_co_ci_u32_e32 v6, vcc_lo, s7, v16, vcc_lo
	v_lshlrev_b64 v[21:22], 2, v[1:2]
	v_add_nc_u32_e32 v1, s12, v1
	v_add_co_u32 v7, vcc_lo, s6, v25
	v_add_co_ci_u32_e32 v8, vcc_lo, s7, v26, vcc_lo
	s_delay_alu instid0(VALU_DEP_3) | instskip(SKIP_3) | instid1(VALU_DEP_3)
	v_lshlrev_b64 v[15:16], 2, v[1:2]
	v_add_nc_u32_e32 v1, s12, v1
	v_add_co_u32 v9, vcc_lo, s6, v21
	v_add_co_ci_u32_e32 v10, vcc_lo, s7, v22, vcc_lo
	v_lshlrev_b64 v[33:34], 2, v[1:2]
	v_add_co_u32 v11, vcc_lo, s6, v15
	v_add_co_ci_u32_e32 v12, vcc_lo, s7, v16, vcc_lo
	s_delay_alu instid0(VALU_DEP_3) | instskip(NEXT) | instid1(VALU_DEP_4)
	v_add_co_u32 v17, vcc_lo, s6, v33
	v_add_co_ci_u32_e32 v18, vcc_lo, s7, v34, vcc_lo
	s_clause 0x5
	global_load_b32 v48, v[3:4], off
	global_load_b32 v49, v[5:6], off
	;; [unrolled: 1-line block ×6, first 2 shown]
	v_add_nc_u32_e32 v1, s12, v1
	s_delay_alu instid0(VALU_DEP_1) | instskip(SKIP_1) | instid1(VALU_DEP_1)
	v_lshlrev_b64 v[29:30], 2, v[1:2]
	v_add_nc_u32_e32 v1, s12, v1
	v_lshlrev_b64 v[19:20], 2, v[1:2]
	v_add_nc_u32_e32 v1, s12, v1
	s_delay_alu instid0(VALU_DEP_4) | instskip(SKIP_1) | instid1(VALU_DEP_3)
	v_add_co_u32 v3, vcc_lo, s6, v29
	v_add_co_ci_u32_e32 v4, vcc_lo, s7, v30, vcc_lo
	v_lshlrev_b64 v[11:12], 2, v[1:2]
	v_add_nc_u32_e32 v1, s12, v1
	v_add_co_u32 v5, vcc_lo, s6, v19
	v_add_co_ci_u32_e32 v6, vcc_lo, s7, v20, vcc_lo
	s_delay_alu instid0(VALU_DEP_3) | instskip(SKIP_3) | instid1(VALU_DEP_4)
	v_lshlrev_b64 v[7:8], 2, v[1:2]
	v_add_co_u32 v27, vcc_lo, s6, v11
	v_add_co_ci_u32_e32 v28, vcc_lo, s7, v12, vcc_lo
	v_add_nc_u32_e32 v1, s12, v1
	v_add_co_u32 v7, vcc_lo, s6, v7
	v_add_co_ci_u32_e32 v8, vcc_lo, s7, v8, vcc_lo
	s_clause 0x3
	global_load_b32 v14, v[3:4], off
	global_load_b32 v17, v[5:6], off
	;; [unrolled: 1-line block ×4, first 2 shown]
	v_lshlrev_b64 v[9:10], 2, v[1:2]
	v_add_nc_u32_e32 v1, s12, v1
	s_delay_alu instid0(VALU_DEP_1) | instskip(SKIP_1) | instid1(VALU_DEP_4)
	v_lshlrev_b64 v[7:8], 2, v[1:2]
	v_add_nc_u32_e32 v1, s12, v1
	v_add_co_u32 v27, vcc_lo, s6, v9
	v_add_co_ci_u32_e32 v28, vcc_lo, s7, v10, vcc_lo
	s_delay_alu instid0(VALU_DEP_3) | instskip(SKIP_3) | instid1(VALU_DEP_3)
	v_lshlrev_b64 v[5:6], 2, v[1:2]
	v_add_nc_u32_e32 v1, s12, v1
	v_add_co_u32 v35, vcc_lo, s6, v7
	v_add_co_ci_u32_e32 v36, vcc_lo, s7, v8, vcc_lo
	v_lshlrev_b64 v[3:4], 2, v[1:2]
	v_add_nc_u32_e32 v1, s12, v1
	v_add_co_u32 v40, vcc_lo, s6, v5
	global_load_b32 v54, v[27:28], off
	v_add_co_ci_u32_e32 v41, vcc_lo, s7, v6, vcc_lo
	v_lshlrev_b64 v[27:28], 2, v[1:2]
	s_clause 0x1
	global_load_b32 v55, v[35:36], off
	global_load_b32 v56, v[40:41], off
	v_add_co_u32 v35, vcc_lo, s6, v3
	v_add_co_ci_u32_e32 v36, vcc_lo, s7, v4, vcc_lo
	v_add_co_u32 v27, vcc_lo, s6, v27
	v_add_co_ci_u32_e32 v28, vcc_lo, s7, v28, vcc_lo
	s_clause 0x1
	global_load_b32 v57, v[35:36], off
	global_load_b32 v58, v[27:28], off
	v_mad_u64_u32 v[27:28], null, 0xffffffef, s12, v[1:2]
	v_mov_b32_e32 v28, v2
	s_delay_alu instid0(VALU_DEP_1) | instskip(NEXT) | instid1(VALU_DEP_1)
	v_lshlrev_b64 v[50:51], 2, v[27:28]
	v_add_co_u32 v35, vcc_lo, s8, v50
	s_delay_alu instid0(VALU_DEP_2)
	v_add_co_ci_u32_e32 v36, vcc_lo, s9, v51, vcc_lo
	global_load_b32 v1, v[35:36], off
	s_clause 0x1
	global_load_b32 v43, v[23:24], off
	global_load_b32 v40, v[40:41], off
	s_waitcnt vmcnt(24)
	v_add_f32_e32 v23, 0, v0
	s_waitcnt vmcnt(23)
	s_delay_alu instid0(VALU_DEP_1) | instskip(SKIP_1) | instid1(VALU_DEP_1)
	v_add_f32_e32 v23, v23, v37
	s_waitcnt vmcnt(22)
	v_add_f32_e32 v23, v23, v44
	s_waitcnt vmcnt(21)
	s_delay_alu instid0(VALU_DEP_1) | instskip(SKIP_1) | instid1(VALU_DEP_1)
	v_add_f32_e32 v23, v23, v42
	;; [unrolled: 5-line block ×10, first 2 shown]
	s_waitcnt vmcnt(4)
	v_add_f32_e32 v23, v23, v57
	s_waitcnt vmcnt(3)
	s_delay_alu instid0(VALU_DEP_1) | instskip(NEXT) | instid1(VALU_DEP_1)
	v_add_f32_e32 v41, v23, v58
	v_sub_f32_e32 v23, v41, v0
	s_delay_alu instid0(VALU_DEP_1) | instskip(NEXT) | instid1(VALU_DEP_1)
	v_dual_add_f32 v44, v41, v0 :: v_dual_sub_f32 v23, v23, v45
	v_add_f32_e32 v23, v23, v13
	s_delay_alu instid0(VALU_DEP_1) | instskip(NEXT) | instid1(VALU_DEP_1)
	v_sub_f32_e32 v59, v23, v39
	v_fmac_f32_e32 v59, 2.0, v18
	s_delay_alu instid0(VALU_DEP_1) | instskip(NEXT) | instid1(VALU_DEP_1)
	v_fmac_f32_e32 v59, 2.0, v14
	v_fmac_f32_e32 v59, 2.0, v17
	s_waitcnt vmcnt(2)
	s_delay_alu instid0(VALU_DEP_1) | instskip(SKIP_1) | instid1(VALU_DEP_2)
	v_mul_f32_e32 v23, v59, v1
	v_lshl_add_u32 v1, s12, 2, v27
	v_mul_f32_e32 v23, v23, v37
	s_delay_alu instid0(VALU_DEP_2) | instskip(NEXT) | instid1(VALU_DEP_2)
	v_lshlrev_b64 v[52:53], 2, v[1:2]
	v_mul_f32_e32 v27, v37, v23
	s_delay_alu instid0(VALU_DEP_2) | instskip(NEXT) | instid1(VALU_DEP_3)
	v_add_co_u32 v23, vcc_lo, s8, v52
	v_add_co_ci_u32_e32 v24, vcc_lo, s9, v53, vcc_lo
	global_store_b32 v[35:36], v27, off
	v_add_co_u32 v27, vcc_lo, s6, v50
	global_load_b32 v35, v[23:24], off
	v_add_co_ci_u32_e32 v28, vcc_lo, s7, v51, vcc_lo
	v_add_co_u32 v46, vcc_lo, s8, v25
	v_add_co_ci_u32_e32 v47, vcc_lo, s9, v26, vcc_lo
	global_load_b32 v48, v[27:28], off
	v_fmamk_f32 v27, v0, 0xbe8a3d71, v41
	s_delay_alu instid0(VALU_DEP_1) | instskip(NEXT) | instid1(VALU_DEP_1)
	v_fmamk_f32 v27, v45, 0x4029999a, v27
	v_add_f32_e32 v49, v13, v27
	v_mad_u64_u32 v[27:28], null, s12, -6, v[1:2]
	s_delay_alu instid0(VALU_DEP_2) | instskip(NEXT) | instid1(VALU_DEP_1)
	v_dual_mov_b32 v28, v2 :: v_dual_fmac_f32 v49, 2.0, v18
	v_fmac_f32_e32 v49, 2.0, v14
	s_delay_alu instid0(VALU_DEP_1) | instskip(SKIP_1) | instid1(VALU_DEP_1)
	v_fmac_f32_e32 v49, 2.0, v17
	s_waitcnt vmcnt(1)
	v_mul_f32_e32 v1, v49, v35
	v_lshlrev_b64 v[35:36], 2, v[27:28]
	s_delay_alu instid0(VALU_DEP_2) | instskip(NEXT) | instid1(VALU_DEP_2)
	v_dual_fmamk_f32 v28, v0, 0x3fb33333, v41 :: v_dual_mul_f32 v1, v37, v1
	v_add_co_u32 v35, vcc_lo, s6, v35
	s_delay_alu instid0(VALU_DEP_3) | instskip(SKIP_1) | instid1(VALU_DEP_3)
	v_add_co_ci_u32_e32 v36, vcc_lo, s7, v36, vcc_lo
	s_waitcnt vmcnt(0)
	v_dual_mul_f32 v1, v48, v1 :: v_dual_fmamk_f32 v28, v45, 0x41666666, v28
	global_store_b32 v[23:24], v1, off
	global_load_b32 v1, v[46:47], off
	global_load_b32 v60, v[35:36], off
	v_fmamk_f32 v23, v45, 0x40a00000, v44
	v_add_f32_e32 v28, v13, v28
	s_delay_alu instid0(VALU_DEP_2) | instskip(NEXT) | instid1(VALU_DEP_2)
	v_dual_fmac_f32 v44, 0x40a00000, v42 :: v_dual_add_f32 v23, v13, v23
	v_fmac_f32_e32 v28, 0x3f400000, v38
	s_delay_alu instid0(VALU_DEP_2) | instskip(NEXT) | instid1(VALU_DEP_1)
	v_dual_fmac_f32 v44, 0x40a00000, v45 :: v_dual_fmac_f32 v23, 0.5, v38
	v_add_f32_e32 v13, v13, v44
	s_delay_alu instid0(VALU_DEP_2) | instskip(SKIP_2) | instid1(VALU_DEP_3)
	v_add_f32_e32 v35, v39, v23
	v_add_co_u32 v23, vcc_lo, s8, v21
	v_add_co_ci_u32_e32 v24, vcc_lo, s9, v22, vcc_lo
	v_fmac_f32_e32 v35, 2.0, v18
	v_add_co_u32 v54, vcc_lo, s8, v15
	v_add_co_ci_u32_e32 v55, vcc_lo, s9, v16, vcc_lo
	s_delay_alu instid0(VALU_DEP_3) | instskip(NEXT) | instid1(VALU_DEP_1)
	v_fma_f32 v36, 2.0, v14, v35
	v_dual_fmac_f32 v13, 0.5, v38 :: v_dual_fmac_f32 v36, 2.0, v17
	s_delay_alu instid0(VALU_DEP_1) | instskip(NEXT) | instid1(VALU_DEP_1)
	v_fmamk_f32 v44, v39, 0x40200000, v13
	v_fmac_f32_e32 v44, 2.0, v18
	s_delay_alu instid0(VALU_DEP_1) | instskip(NEXT) | instid1(VALU_DEP_1)
	v_fmac_f32_e32 v44, 2.0, v14
	v_fmac_f32_e32 v44, 2.0, v17
	s_waitcnt vmcnt(1)
	v_mul_f32_e32 v1, v36, v1
	s_waitcnt vmcnt(0)
	s_delay_alu instid0(VALU_DEP_1) | instskip(NEXT) | instid1(VALU_DEP_1)
	v_mul_f32_e32 v1, v1, v60
	v_mul_f32_e32 v1, v37, v1
	global_store_b32 v[46:47], v1, off
	global_load_b32 v1, v[23:24], off
	v_fmamk_f32 v47, v39, 0x40266666, v28
	s_delay_alu instid0(VALU_DEP_1) | instskip(NEXT) | instid1(VALU_DEP_1)
	v_fmac_f32_e32 v47, 2.0, v18
	v_fmac_f32_e32 v47, 2.0, v14
	s_delay_alu instid0(VALU_DEP_1) | instskip(SKIP_1) | instid1(VALU_DEP_1)
	v_fmac_f32_e32 v47, 2.0, v17
	s_waitcnt vmcnt(0)
	v_mul_f32_e32 v1, v47, v1
	s_delay_alu instid0(VALU_DEP_1) | instskip(NEXT) | instid1(VALU_DEP_1)
	v_mul_f32_e32 v1, v60, v1
	v_mul_f32_e32 v1, v60, v1
	global_store_b32 v[23:24], v1, off
	global_load_b32 v1, v[54:55], off
	v_sub_f32_e32 v23, v41, v42
	s_delay_alu instid0(VALU_DEP_1) | instskip(NEXT) | instid1(VALU_DEP_1)
	v_sub_f32_e32 v23, v23, v45
	v_fmamk_f32 v23, v38, 0xbe800000, v23
	s_delay_alu instid0(VALU_DEP_1) | instskip(NEXT) | instid1(VALU_DEP_1)
	v_fmac_f32_e32 v23, 0.5, v39
	v_fmac_f32_e32 v23, 0.5, v18
	s_delay_alu instid0(VALU_DEP_1) | instskip(SKIP_2) | instid1(VALU_DEP_3)
	v_sub_f32_e32 v46, v23, v58
	v_mad_u64_u32 v[23:24], null, s12, 26, v[27:28]
	v_mov_b32_e32 v24, v2
	v_fmac_f32_e32 v46, 2.0, v14
	s_delay_alu instid0(VALU_DEP_2) | instskip(NEXT) | instid1(VALU_DEP_2)
	v_lshlrev_b64 v[27:28], 2, v[23:24]
	v_fmac_f32_e32 v46, 2.0, v17
	v_mad_u64_u32 v[17:18], null, s12, 17, v[23:24]
	v_mov_b32_e32 v18, v2
	s_delay_alu instid0(VALU_DEP_4) | instskip(SKIP_1) | instid1(VALU_DEP_3)
	v_add_co_u32 v56, vcc_lo, s8, v27
	v_add_co_ci_u32_e32 v57, vcc_lo, s9, v28, vcc_lo
	v_lshlrev_b64 v[23:24], 2, v[17:18]
	s_waitcnt vmcnt(0)
	v_mul_f32_e32 v1, v46, v1
	s_delay_alu instid0(VALU_DEP_1) | instskip(NEXT) | instid1(VALU_DEP_1)
	v_mul_f32_e32 v1, v37, v1
	v_mul_f32_e32 v1, v42, v1
	global_store_b32 v[54:55], v1, off
	global_load_b32 v1, v[56:57], off
	v_add_co_u32 v54, vcc_lo, s8, v23
	v_add_co_ci_u32_e32 v55, vcc_lo, s9, v24, vcc_lo
	s_waitcnt vmcnt(0)
	v_mul_f32_e32 v1, v44, v1
	s_delay_alu instid0(VALU_DEP_1) | instskip(NEXT) | instid1(VALU_DEP_1)
	v_mul_f32_e32 v1, v38, v1
	v_mul_f32_e32 v1, v60, v1
	global_store_b32 v[56:57], v1, off
	global_load_b32 v1, v[54:55], off
	v_mad_u64_u32 v[56:57], null, 0x4b, s12, v[17:18]
	v_mov_b32_e32 v57, v2
	s_delay_alu instid0(VALU_DEP_1) | instskip(NEXT) | instid1(VALU_DEP_1)
	v_lshlrev_b64 v[17:18], 2, v[56:57]
	v_add_co_u32 v57, vcc_lo, s8, v17
	s_delay_alu instid0(VALU_DEP_2)
	v_add_co_ci_u32_e32 v58, vcc_lo, s9, v18, vcc_lo
	s_waitcnt vmcnt(0)
	v_mul_f32_e32 v1, v36, v1
	global_store_b32 v[54:55], v1, off
	global_load_b32 v1, v[57:58], off
	v_add_co_u32 v54, vcc_lo, s6, v52
	v_add_co_ci_u32_e32 v55, vcc_lo, s7, v53, vcc_lo
	s_mul_i32 s6, s12, 5
	global_load_b32 v54, v[54:55], off
	s_waitcnt vmcnt(1)
	v_mul_f32_e32 v13, v41, v1
	v_add_nc_u32_e32 v1, s6, v56
	s_delay_alu instid0(VALU_DEP_2) | instskip(NEXT) | instid1(VALU_DEP_2)
	v_mul_f32_e32 v55, v14, v13
	v_lshlrev_b64 v[13:14], 2, v[1:2]
	s_waitcnt vmcnt(0)
	s_delay_alu instid0(VALU_DEP_2) | instskip(NEXT) | instid1(VALU_DEP_2)
	v_mul_f32_e32 v56, v54, v55
	v_add_co_u32 v54, vcc_lo, s8, v13
	s_delay_alu instid0(VALU_DEP_3)
	v_add_co_ci_u32_e32 v55, vcc_lo, s9, v14, vcc_lo
	global_store_b32 v[57:58], v56, off
	global_load_b32 v56, v[54:55], off
	s_clause 0x1
	s_load_b64 s[2:3], s[0:1], 0x20
	s_load_b32 s0, s[0:1], 0x28
	s_waitcnt lgkmcnt(0)
	v_add_co_u32 v33, vcc_lo, s2, v33
	v_add_co_ci_u32_e32 v34, vcc_lo, s3, v34, vcc_lo
	v_add_co_u32 v31, vcc_lo, s4, v31
	v_add_co_ci_u32_e32 v32, vcc_lo, s5, v32, vcc_lo
	global_load_b32 v57, v[33:34], off
	global_load_b32 v31, v[31:32], off
	v_add_co_u32 v33, vcc_lo, s10, v50
	v_add_co_ci_u32_e32 v34, vcc_lo, s11, v51, vcc_lo
	s_mov_b32 s4, 0x3f2b851f
	s_mov_b32 s5, 0xbfa28f5c
	global_load_b32 v50, v[33:34], off
	s_waitcnt vmcnt(3)
	v_div_scale_f32 v32, null, v56, v56, 1.0
	v_div_scale_f32 v60, vcc_lo, 1.0, v56, 1.0
	s_delay_alu instid0(VALU_DEP_2) | instskip(SKIP_2) | instid1(VALU_DEP_1)
	v_rcp_f32_e32 v51, v32
	s_waitcnt_depctr 0xfff
	v_fma_f32 v58, -v32, v51, 1.0
	v_fmac_f32_e32 v51, v58, v51
	s_delay_alu instid0(VALU_DEP_1) | instskip(NEXT) | instid1(VALU_DEP_1)
	v_mul_f32_e32 v58, v60, v51
	v_fma_f32 v61, -v32, v58, v60
	s_delay_alu instid0(VALU_DEP_1) | instskip(SKIP_2) | instid1(VALU_DEP_2)
	v_fmac_f32_e32 v58, v61, v51
	s_waitcnt vmcnt(0)
	v_mul_f32_e32 v50, v59, v50
	v_fma_f32 v32, -v32, v58, v60
	s_delay_alu instid0(VALU_DEP_2) | instskip(SKIP_1) | instid1(VALU_DEP_3)
	v_mul_f32_e32 v0, v0, v50
	v_add_co_u32 v50, s1, s10, v52
	v_div_fmas_f32 v32, v32, v51, v58
	global_store_b32 v[33:34], v0, off
	v_div_fixup_f32 v32, v32, v56, 1.0
	s_delay_alu instid0(VALU_DEP_1) | instskip(NEXT) | instid1(VALU_DEP_1)
	v_dual_mul_f32 v51, v36, v32 :: v_dual_mul_f32 v32, s0, v31
	v_fma_f32 v58, v57, v51, 1.0
	s_delay_alu instid0(VALU_DEP_2) | instskip(SKIP_1) | instid1(VALU_DEP_3)
	v_div_scale_f32 v60, null, v32, v32, 1.0
	v_mul_f32_e32 v57, v57, v51
	v_div_scale_f32 v31, null, v58, v58, 1.0
	s_delay_alu instid0(VALU_DEP_3) | instskip(SKIP_1) | instid1(VALU_DEP_2)
	v_rcp_f32_e32 v62, v60
	v_div_scale_f32 v65, vcc_lo, 1.0, v58, 1.0
	v_rcp_f32_e32 v61, v31
	s_waitcnt_depctr 0xfff
	v_fma_f32 v64, -v60, v62, 1.0
	v_fma_f32 v63, -v31, v61, 1.0
	s_delay_alu instid0(VALU_DEP_1) | instskip(SKIP_1) | instid1(VALU_DEP_2)
	v_dual_fmac_f32 v62, v64, v62 :: v_dual_fmac_f32 v61, v63, v61
	v_div_scale_f32 v63, s0, 1.0, v32, 1.0
	v_mul_f32_e32 v64, v65, v61
	s_delay_alu instid0(VALU_DEP_2) | instskip(NEXT) | instid1(VALU_DEP_2)
	v_mul_f32_e32 v66, v63, v62
	v_fma_f32 v67, -v31, v64, v65
	s_delay_alu instid0(VALU_DEP_2) | instskip(NEXT) | instid1(VALU_DEP_2)
	v_fma_f32 v68, -v60, v66, v63
	v_fmac_f32_e32 v64, v67, v61
	s_delay_alu instid0(VALU_DEP_2) | instskip(NEXT) | instid1(VALU_DEP_2)
	v_fmac_f32_e32 v66, v68, v62
	v_fma_f32 v31, -v31, v64, v65
	v_mul_f32_e32 v65, 0xb9a3d70a, v32
	s_delay_alu instid0(VALU_DEP_3) | instskip(NEXT) | instid1(VALU_DEP_3)
	v_fma_f32 v60, -v60, v66, v63
	v_div_fmas_f32 v61, v31, v61, v64
	s_mov_b32 vcc_lo, s0
	s_delay_alu instid0(VALU_DEP_2)
	v_div_fmas_f32 v31, v60, v62, v66
	v_mul_f32_e32 v60, 0xba1991ec, v32
	v_mul_f32_e32 v62, 0x3fb8aa3b, v65
	v_cmp_ngt_f32_e32 vcc_lo, 0xc2ce8ed0, v65
	v_div_fixup_f32 v58, v61, v58, 1.0
	v_div_fixup_f32 v31, v31, v32, 1.0
	v_mul_f32_e32 v63, 0x3fb8aa3b, v60
	v_fma_f32 v64, 0x3fb8aa3b, v65, -v62
	v_rndne_f32_e32 v66, v62
	s_delay_alu instid0(VALU_DEP_4) | instskip(NEXT) | instid1(VALU_DEP_4)
	v_mul_f32_e32 v67, 0xc5811800, v31
	v_fma_f32 v68, 0x3fb8aa3b, v60, -v63
	v_rndne_f32_e32 v69, v63
	v_fmac_f32_e32 v64, 0x32a5705f, v65
	v_sub_f32_e32 v62, v62, v66
	v_mul_f32_e32 v70, 0x3fb8aa3b, v67
	s_delay_alu instid0(VALU_DEP_4) | instskip(SKIP_1) | instid1(VALU_DEP_4)
	v_dual_fmac_f32 v68, 0x32a5705f, v60 :: v_dual_sub_f32 v63, v63, v69
	v_cvt_i32_f32_e32 v66, v66
	v_add_f32_e32 v62, v62, v64
	s_delay_alu instid0(VALU_DEP_4) | instskip(SKIP_2) | instid1(VALU_DEP_4)
	v_fma_f32 v64, 0x3fb8aa3b, v67, -v70
	v_rndne_f32_e32 v71, v70
	v_add_f32_e32 v63, v63, v68
	v_exp_f32_e32 v62, v62
	s_delay_alu instid0(VALU_DEP_3) | instskip(NEXT) | instid1(VALU_DEP_3)
	v_fmac_f32_e32 v64, 0x32a5705f, v67
	v_sub_f32_e32 v68, v70, v71
	s_delay_alu instid0(VALU_DEP_3) | instskip(NEXT) | instid1(VALU_DEP_1)
	v_exp_f32_e32 v63, v63
	v_add_f32_e32 v64, v68, v64
	v_cvt_i32_f32_e32 v68, v69
	s_waitcnt_depctr 0xfff
	v_ldexp_f32 v62, v62, v66
	v_cvt_i32_f32_e32 v66, v71
	v_exp_f32_e32 v64, v64
	v_ldexp_f32 v63, v63, v68
	s_delay_alu instid0(VALU_DEP_3) | instskip(SKIP_1) | instid1(VALU_DEP_3)
	v_cndmask_b32_e32 v62, 0, v62, vcc_lo
	v_cmp_ngt_f32_e32 vcc_lo, 0xc2ce8ed0, v60
	v_cndmask_b32_e32 v63, 0, v63, vcc_lo
	v_cmp_nlt_f32_e32 vcc_lo, 0x42b17218, v65
	s_waitcnt_depctr 0xfff
	v_ldexp_f32 v64, v64, v66
	v_cndmask_b32_e32 v62, 0x7f800000, v62, vcc_lo
	v_cmp_nlt_f32_e32 vcc_lo, 0x42b17218, v60
	s_delay_alu instid0(VALU_DEP_2) | instskip(SKIP_2) | instid1(VALU_DEP_2)
	v_mul_f32_e32 v62, 0x3eac8b44, v62
	v_cndmask_b32_e32 v60, 0x7f800000, v63, vcc_lo
	v_cmp_ngt_f32_e32 vcc_lo, 0xc2ce8ed0, v67
	v_dual_fmamk_f32 v60, v60, 0x3f29ba5e, v62 :: v_dual_cndmask_b32 v63, 0, v64
	v_cmp_nlt_f32_e32 vcc_lo, 0x42b17218, v67
	s_delay_alu instid0(VALU_DEP_2) | instskip(NEXT) | instid1(VALU_DEP_1)
	v_cndmask_b32_e32 v62, 0x7f800000, v63, vcc_lo
	v_dual_add_f32 v51, v62, v60 :: v_dual_max_f32 v60, 0x800000, v57
	s_delay_alu instid0(VALU_DEP_1) | instskip(NEXT) | instid1(VALU_DEP_2)
	v_max_f32_e32 v51, 0x800000, v51
	v_cmp_gt_f32_e32 vcc_lo, 0x800000, v60
	s_delay_alu instid0(VALU_DEP_2) | instskip(SKIP_2) | instid1(VALU_DEP_3)
	v_cmp_gt_f32_e64 s0, 0x800000, v51
	v_cndmask_b32_e64 v62, 1.0, 0x4f800000, vcc_lo
	v_cndmask_b32_e64 v52, 0, 0x411a209b, vcc_lo
	v_cndmask_b32_e64 v63, 1.0, 0x4f800000, s0
	s_delay_alu instid0(VALU_DEP_3) | instskip(SKIP_1) | instid1(VALU_DEP_3)
	v_mul_f32_e32 v60, v60, v62
	v_cndmask_b32_e64 v0, 0, 0x411a209b, s0
	v_mul_f32_e32 v51, v51, v63
	s_delay_alu instid0(VALU_DEP_3) | instskip(NEXT) | instid1(VALU_DEP_1)
	v_log_f32_e32 v60, v60
	v_log_f32_e32 v62, v51
	s_waitcnt_depctr 0xfff
	v_mul_f32_e32 v51, 0x3e9a209a, v60
	v_cmp_gt_f32_e64 vcc_lo, 0x7f800000, |v60|
	v_mul_f32_e32 v63, 0x3e9a209a, v62
	s_delay_alu instid0(VALU_DEP_3) | instskip(SKIP_2) | instid1(VALU_DEP_4)
	v_fma_f32 v59, 0x3e9a209a, v60, -v51
	v_cmp_gt_f32_e64 s0, 0x7f800000, |v62|
	v_add_co_ci_u32_e64 v51, s1, s11, v53, s1
	v_fma_f32 v63, 0x3e9a209a, v62, -v63
	s_delay_alu instid0(VALU_DEP_4) | instskip(SKIP_3) | instid1(VALU_DEP_2)
	v_fmac_f32_e32 v59, 0x3284fbcf, v60
	global_load_b32 v34, v[50:51], off
	v_fmac_f32_e32 v63, 0x3284fbcf, v62
	v_fmac_f32_e32 v59, 0x3e9a209a, v60
	;; [unrolled: 1-line block ×3, first 2 shown]
	s_delay_alu instid0(VALU_DEP_2) | instskip(NEXT) | instid1(VALU_DEP_2)
	v_cndmask_b32_e32 v53, v60, v59, vcc_lo
	v_cndmask_b32_e64 v33, v62, v63, s0
	s_delay_alu instid0(VALU_DEP_1) | instskip(NEXT) | instid1(VALU_DEP_3)
	v_sub_f32_e32 v0, v33, v0
	v_sub_f32_e32 v33, v53, v52
	s_delay_alu instid0(VALU_DEP_2) | instskip(SKIP_1) | instid1(VALU_DEP_2)
	v_fmaak_f32 v52, s4, v0, 0x3ecccccd
	v_fmaak_f32 v53, s5, v0, 0x3f400000
	v_sub_f32_e32 v33, v33, v52
	s_delay_alu instid0(VALU_DEP_1) | instskip(NEXT) | instid1(VALU_DEP_1)
	v_fmac_f32_e32 v53, 0xbe0f5c29, v33
	v_div_scale_f32 v52, null, v53, v53, 1.0
	v_div_scale_f32 v62, vcc_lo, 1.0, v53, 1.0
	s_delay_alu instid0(VALU_DEP_2) | instskip(SKIP_2) | instid1(VALU_DEP_1)
	v_rcp_f32_e32 v59, v52
	s_waitcnt_depctr 0xfff
	v_fma_f32 v60, -v52, v59, 1.0
	v_fmac_f32_e32 v59, v60, v59
	s_delay_alu instid0(VALU_DEP_1) | instskip(NEXT) | instid1(VALU_DEP_1)
	v_mul_f32_e32 v60, v62, v59
	v_fma_f32 v63, -v52, v60, v62
	s_delay_alu instid0(VALU_DEP_1) | instskip(NEXT) | instid1(VALU_DEP_1)
	v_fmac_f32_e32 v60, v63, v59
	v_fma_f32 v52, -v52, v60, v62
	s_delay_alu instid0(VALU_DEP_1) | instskip(NEXT) | instid1(VALU_DEP_1)
	v_div_fmas_f32 v52, v52, v59, v60
	v_div_fixup_f32 v52, v52, v53, 1.0
	s_delay_alu instid0(VALU_DEP_1) | instskip(NEXT) | instid1(VALU_DEP_1)
	v_mul_f32_e32 v33, v33, v52
	v_fma_f32 v33, v33, v33, 1.0
	s_delay_alu instid0(VALU_DEP_1) | instskip(SKIP_1) | instid1(VALU_DEP_2)
	v_div_scale_f32 v52, null, v33, v33, 1.0
	v_div_scale_f32 v60, vcc_lo, 1.0, v33, 1.0
	v_rcp_f32_e32 v53, v52
	s_waitcnt_depctr 0xfff
	v_fma_f32 v59, -v52, v53, 1.0
	s_delay_alu instid0(VALU_DEP_1) | instskip(NEXT) | instid1(VALU_DEP_1)
	v_fmac_f32_e32 v53, v59, v53
	v_mul_f32_e32 v59, v60, v53
	s_delay_alu instid0(VALU_DEP_1) | instskip(NEXT) | instid1(VALU_DEP_1)
	v_fma_f32 v62, -v52, v59, v60
	v_fmac_f32_e32 v59, v62, v53
	s_delay_alu instid0(VALU_DEP_1) | instskip(NEXT) | instid1(VALU_DEP_1)
	v_fma_f32 v52, -v52, v59, v60
	v_div_fmas_f32 v52, v52, v53, v59
	v_mul_f32_e32 v59, 0xc5be7800, v31
	s_delay_alu instid0(VALU_DEP_2) | instskip(NEXT) | instid1(VALU_DEP_2)
	v_div_fixup_f32 v33, v52, v33, 1.0
	v_mul_f32_e32 v60, 0x3fb8aa3b, v59
	s_delay_alu instid0(VALU_DEP_2) | instskip(NEXT) | instid1(VALU_DEP_2)
	v_mul_f32_e32 v0, v0, v33
	v_fma_f32 v61, 0x3fb8aa3b, v59, -v60
	v_rndne_f32_e32 v62, v60
	s_delay_alu instid0(VALU_DEP_3) | instskip(SKIP_1) | instid1(VALU_DEP_3)
	v_mul_f32_e32 v33, 0x40549a78, v0
	v_cmp_ngt_f32_e32 vcc_lo, 0xc23369f4, v0
	v_dual_fmac_f32 v61, 0x32a5705f, v59 :: v_dual_sub_f32 v60, v60, v62
	s_delay_alu instid0(VALU_DEP_3) | instskip(SKIP_1) | instid1(VALU_DEP_1)
	v_fma_f32 v52, 0x40549a78, v0, -v33
	v_rndne_f32_e32 v53, v33
	v_dual_fmac_f32 v52, 0x33979a37, v0 :: v_dual_sub_f32 v33, v33, v53
	s_delay_alu instid0(VALU_DEP_1) | instskip(SKIP_1) | instid1(VALU_DEP_2)
	v_add_f32_e32 v33, v52, v33
	v_cvt_i32_f32_e32 v52, v53
	v_exp_f32_e32 v33, v33
	s_waitcnt_depctr 0xfff
	v_ldexp_f32 v33, v33, v52
	v_mad_u64_u32 v[52:53], null, s12, 6, v[1:2]
	v_mul_f32_e32 v1, v57, v58
	v_mov_b32_e32 v53, v2
	s_delay_alu instid0(VALU_DEP_4) | instskip(SKIP_1) | instid1(VALU_DEP_2)
	v_cndmask_b32_e32 v33, 0, v33, vcc_lo
	v_cmp_nlt_f32_e32 vcc_lo, 0x421a209b, v0
	v_cndmask_b32_e32 v0, 0x7f800000, v33, vcc_lo
	s_delay_alu instid0(VALU_DEP_1) | instskip(SKIP_1) | instid1(VALU_DEP_2)
	v_mul_f32_e32 v33, v1, v0
	v_lshlrev_b64 v[0:1], 2, v[52:53]
	v_mul_f32_e32 v53, v56, v33
	s_delay_alu instid0(VALU_DEP_2) | instskip(NEXT) | instid1(VALU_DEP_3)
	v_add_co_u32 v56, vcc_lo, s8, v0
	v_add_co_ci_u32_e32 v57, vcc_lo, s9, v1, vcc_lo
	global_store_b32 v[54:55], v53, off
	v_add_co_u32 v29, vcc_lo, s2, v29
	global_load_b32 v53, v[56:57], off
	v_add_co_ci_u32_e32 v30, vcc_lo, s3, v30, vcc_lo
	v_add_co_u32 v25, vcc_lo, s10, v25
	v_add_co_ci_u32_e32 v26, vcc_lo, s11, v26, vcc_lo
	global_load_b32 v29, v[29:30], off
	s_waitcnt vmcnt(2)
	v_mul_f32_e32 v30, v49, v34
	v_mul_f32_e32 v34, 0xb9c4e0f3, v32
	s_delay_alu instid0(VALU_DEP_2) | instskip(NEXT) | instid1(VALU_DEP_2)
	v_dual_mul_f32 v30, v45, v30 :: v_dual_mul_f32 v45, 0xbb9deb07, v32
	v_mul_f32_e32 v49, 0x3fb8aa3b, v34
	v_cmp_ngt_f32_e64 s0, 0xc2ce8ed0, v34
	global_store_b32 v[50:51], v30, off
	global_load_b32 v30, v[25:26], off
	v_mul_f32_e32 v50, 0x3fb8aa3b, v45
	v_fma_f32 v51, 0x3fb8aa3b, v34, -v49
	v_rndne_f32_e32 v54, v49
	s_delay_alu instid0(VALU_DEP_3) | instskip(SKIP_1) | instid1(VALU_DEP_4)
	v_fma_f32 v55, 0x3fb8aa3b, v45, -v50
	v_rndne_f32_e32 v58, v50
	v_fmac_f32_e32 v51, 0x32a5705f, v34
	s_delay_alu instid0(VALU_DEP_4) | instskip(SKIP_1) | instid1(VALU_DEP_4)
	v_sub_f32_e32 v49, v49, v54
	v_cvt_i32_f32_e32 v54, v54
	v_dual_fmac_f32 v55, 0x32a5705f, v45 :: v_dual_sub_f32 v50, v50, v58
	v_cvt_i32_f32_e32 v58, v58
	s_delay_alu instid0(VALU_DEP_4) | instskip(NEXT) | instid1(VALU_DEP_3)
	v_add_f32_e32 v49, v49, v51
	v_add_f32_e32 v50, v50, v55
	s_delay_alu instid0(VALU_DEP_2) | instskip(NEXT) | instid1(VALU_DEP_1)
	v_exp_f32_e32 v49, v49
	v_exp_f32_e32 v50, v50
	s_waitcnt_depctr 0xfff
	v_ldexp_f32 v49, v49, v54
	v_ldexp_f32 v50, v50, v58
	s_delay_alu instid0(VALU_DEP_2) | instskip(SKIP_1) | instid1(VALU_DEP_1)
	v_cndmask_b32_e64 v49, 0, v49, s0
	v_cmp_ngt_f32_e64 s0, 0xc2ce8ed0, v45
	v_cndmask_b32_e64 v50, 0, v50, s0
	v_cmp_nlt_f32_e64 s0, 0x42b17218, v34
	s_delay_alu instid0(VALU_DEP_1) | instskip(SKIP_1) | instid1(VALU_DEP_2)
	v_cndmask_b32_e64 v34, 0x7f800000, v49, s0
	v_cmp_nlt_f32_e64 s0, 0x42b17218, v45
	v_mul_f32_e32 v34, 0x3f483127, v34
	s_delay_alu instid0(VALU_DEP_2) | instskip(SKIP_1) | instid1(VALU_DEP_2)
	v_cndmask_b32_e64 v45, 0x7f800000, v50, s0
	v_cmp_ngt_f32_e64 s0, 0xc2ce8ed0, v59
	v_fmamk_f32 v34, v45, 0x3e5f3b64, v34
	s_waitcnt vmcnt(2)
	v_div_scale_f32 v51, null, v53, v53, 1.0
	v_div_scale_f32 v63, vcc_lo, 1.0, v53, 1.0
	s_delay_alu instid0(VALU_DEP_2) | instskip(SKIP_2) | instid1(VALU_DEP_1)
	v_rcp_f32_e32 v55, v51
	s_waitcnt_depctr 0xfff
	v_fma_f32 v54, -v51, v55, 1.0
	v_dual_fmac_f32 v55, v54, v55 :: v_dual_add_f32 v54, v60, v61
	v_cvt_i32_f32_e32 v60, v62
	s_delay_alu instid0(VALU_DEP_2) | instskip(NEXT) | instid1(VALU_DEP_3)
	v_mul_f32_e32 v58, v63, v55
	v_exp_f32_e32 v54, v54
	s_delay_alu instid0(VALU_DEP_1) | instskip(NEXT) | instid1(VALU_DEP_1)
	v_fma_f32 v49, -v51, v58, v63
	v_fmac_f32_e32 v58, v49, v55
	s_waitcnt_depctr 0xfff
	v_ldexp_f32 v49, v54, v60
	v_fma_f32 v45, -v51, v58, v63
	s_delay_alu instid0(VALU_DEP_2) | instskip(NEXT) | instid1(VALU_DEP_2)
	v_cndmask_b32_e64 v49, 0, v49, s0
	v_div_fmas_f32 v45, v45, v55, v58
	v_cmp_nlt_f32_e32 vcc_lo, 0x42b17218, v59
	s_delay_alu instid0(VALU_DEP_2) | instskip(NEXT) | instid1(VALU_DEP_4)
	v_div_fixup_f32 v45, v45, v53, 1.0
	v_cndmask_b32_e32 v49, 0x7f800000, v49, vcc_lo
	s_delay_alu instid0(VALU_DEP_1) | instskip(SKIP_1) | instid1(VALU_DEP_1)
	v_dual_mul_f32 v45, v36, v45 :: v_dual_add_f32 v34, v49, v34
	s_waitcnt vmcnt(1)
	v_mul_f32_e32 v50, v29, v45
	s_delay_alu instid0(VALU_DEP_2) | instskip(SKIP_1) | instid1(VALU_DEP_3)
	v_max_f32_e32 v34, 0x800000, v34
	v_fma_f32 v45, v29, v45, 1.0
	v_max_f32_e32 v51, 0x800000, v50
	s_delay_alu instid0(VALU_DEP_3) | instskip(NEXT) | instid1(VALU_DEP_2)
	v_cmp_gt_f32_e32 vcc_lo, 0x800000, v34
	v_cmp_gt_f32_e64 s0, 0x800000, v51
	v_cndmask_b32_e64 v49, 1.0, 0x4f800000, vcc_lo
	v_cndmask_b32_e64 v55, 0, 0x411a209b, vcc_lo
	s_delay_alu instid0(VALU_DEP_2) | instskip(NEXT) | instid1(VALU_DEP_4)
	v_mul_f32_e32 v34, v34, v49
	v_cndmask_b32_e64 v49, 1.0, 0x4f800000, s0
	s_delay_alu instid0(VALU_DEP_2) | instskip(NEXT) | instid1(VALU_DEP_1)
	v_log_f32_e32 v34, v34
	v_mul_f32_e32 v49, v51, v49
	s_delay_alu instid0(VALU_DEP_1) | instskip(SKIP_3) | instid1(VALU_DEP_2)
	v_log_f32_e32 v49, v49
	s_waitcnt_depctr 0xfff
	v_mul_f32_e32 v51, 0x3e9a209a, v34
	v_cmp_gt_f32_e64 vcc_lo, 0x7f800000, |v34|
	v_fma_f32 v51, 0x3e9a209a, v34, -v51
	v_mul_f32_e32 v54, 0x3e9a209a, v49
	s_delay_alu instid0(VALU_DEP_2) | instskip(NEXT) | instid1(VALU_DEP_2)
	v_fmac_f32_e32 v51, 0x3284fbcf, v34
	v_fma_f32 v54, 0x3e9a209a, v49, -v54
	s_delay_alu instid0(VALU_DEP_2) | instskip(SKIP_1) | instid1(VALU_DEP_2)
	v_fmac_f32_e32 v51, 0x3e9a209a, v34
	s_waitcnt vmcnt(0)
	v_dual_fmac_f32 v54, 0x3284fbcf, v49 :: v_dual_mul_f32 v29, v36, v30
	s_delay_alu instid0(VALU_DEP_2) | instskip(NEXT) | instid1(VALU_DEP_2)
	v_cndmask_b32_e32 v34, v34, v51, vcc_lo
	v_fmac_f32_e32 v54, 0x3e9a209a, v49
	v_cmp_gt_f32_e64 vcc_lo, 0x7f800000, |v49|
	v_cndmask_b32_e64 v51, 0, 0x411a209b, s0
	v_mul_f32_e32 v48, v48, v29
	s_delay_alu instid0(VALU_DEP_4) | instskip(SKIP_1) | instid1(VALU_DEP_2)
	v_dual_sub_f32 v34, v34, v55 :: v_dual_cndmask_b32 v49, v49, v54
	v_add_co_u32 v29, vcc_lo, s10, v21
	v_fmaak_f32 v54, s4, v34, 0x3ecccccd
	v_add_co_ci_u32_e32 v30, vcc_lo, s11, v22, vcc_lo
	s_delay_alu instid0(VALU_DEP_4)
	v_sub_f32_e32 v49, v49, v51
	v_fmaak_f32 v51, s5, v34, 0x3f400000
	global_store_b32 v[25:26], v48, off
	v_div_scale_f32 v25, vcc_lo, 1.0, v45, 1.0
	v_sub_f32_e32 v49, v49, v54
	v_div_scale_f32 v54, null, v45, v45, 1.0
	global_load_b32 v26, v[29:30], off
	v_fmac_f32_e32 v51, 0xbe0f5c29, v49
	v_rcp_f32_e32 v58, v54
	s_delay_alu instid0(VALU_DEP_1) | instskip(NEXT) | instid1(VALU_DEP_1)
	v_div_scale_f32 v55, null, v51, v51, 1.0
	v_rcp_f32_e32 v59, v55
	s_waitcnt_depctr 0xfff
	v_fma_f32 v21, -v54, v58, 1.0
	s_delay_alu instid0(VALU_DEP_1) | instskip(SKIP_2) | instid1(VALU_DEP_1)
	v_fmac_f32_e32 v58, v21, v58
	v_div_scale_f32 v21, s0, 1.0, v51, 1.0
	v_fma_f32 v22, -v55, v59, 1.0
	v_dual_fmac_f32 v59, v22, v59 :: v_dual_mul_f32 v22, v25, v58
	s_delay_alu instid0(VALU_DEP_1) | instskip(NEXT) | instid1(VALU_DEP_2)
	v_mul_f32_e32 v48, v21, v59
	v_fma_f32 v60, -v54, v22, v25
	s_delay_alu instid0(VALU_DEP_2) | instskip(NEXT) | instid1(VALU_DEP_2)
	v_fma_f32 v61, -v55, v48, v21
	v_fmac_f32_e32 v22, v60, v58
	s_delay_alu instid0(VALU_DEP_2) | instskip(NEXT) | instid1(VALU_DEP_2)
	v_fmac_f32_e32 v48, v61, v59
	v_fma_f32 v25, -v54, v22, v25
	s_delay_alu instid0(VALU_DEP_2) | instskip(NEXT) | instid1(VALU_DEP_2)
	v_fma_f32 v21, -v55, v48, v21
	v_div_fmas_f32 v22, v25, v58, v22
	s_mov_b32 vcc_lo, s0
	s_delay_alu instid0(VALU_DEP_2) | instskip(NEXT) | instid1(VALU_DEP_2)
	v_div_fmas_f32 v21, v21, v59, v48
	v_div_fixup_f32 v22, v22, v45, 1.0
	s_delay_alu instid0(VALU_DEP_2) | instskip(NEXT) | instid1(VALU_DEP_1)
	v_div_fixup_f32 v21, v21, v51, 1.0
	v_dual_mul_f32 v22, v50, v22 :: v_dual_mul_f32 v21, v49, v21
	s_delay_alu instid0(VALU_DEP_1) | instskip(NEXT) | instid1(VALU_DEP_1)
	v_fma_f32 v21, v21, v21, 1.0
	v_div_scale_f32 v25, null, v21, v21, 1.0
	v_div_scale_f32 v51, vcc_lo, 1.0, v21, 1.0
	s_delay_alu instid0(VALU_DEP_2) | instskip(SKIP_2) | instid1(VALU_DEP_1)
	v_rcp_f32_e32 v48, v25
	s_waitcnt_depctr 0xfff
	v_fma_f32 v49, -v25, v48, 1.0
	v_fmac_f32_e32 v48, v49, v48
	s_delay_alu instid0(VALU_DEP_1) | instskip(NEXT) | instid1(VALU_DEP_1)
	v_mul_f32_e32 v49, v51, v48
	v_fma_f32 v54, -v25, v49, v51
	s_delay_alu instid0(VALU_DEP_1) | instskip(NEXT) | instid1(VALU_DEP_1)
	v_fmac_f32_e32 v49, v54, v48
	v_fma_f32 v25, -v25, v49, v51
	s_delay_alu instid0(VALU_DEP_1) | instskip(NEXT) | instid1(VALU_DEP_1)
	v_div_fmas_f32 v25, v25, v48, v49
	v_div_fixup_f32 v21, v25, v21, 1.0
	s_delay_alu instid0(VALU_DEP_1) | instskip(NEXT) | instid1(VALU_DEP_1)
	v_mul_f32_e32 v21, v34, v21
	v_mul_f32_e32 v25, 0x40549a78, v21
	v_cmp_ngt_f32_e32 vcc_lo, 0xc23369f4, v21
	s_delay_alu instid0(VALU_DEP_2) | instskip(SKIP_1) | instid1(VALU_DEP_1)
	v_fma_f32 v34, 0x40549a78, v21, -v25
	v_rndne_f32_e32 v48, v25
	v_dual_fmac_f32 v34, 0x33979a37, v21 :: v_dual_sub_f32 v25, v25, v48
	s_delay_alu instid0(VALU_DEP_1) | instskip(SKIP_3) | instid1(VALU_DEP_4)
	v_add_f32_e32 v25, v34, v25
	v_cvt_i32_f32_e32 v34, v48
	v_mad_u64_u32 v[48:49], null, s12, 13, v[52:53]
	v_mov_b32_e32 v49, v2
	v_exp_f32_e32 v25, v25
	s_waitcnt_depctr 0xfff
	v_ldexp_f32 v25, v25, v34
	s_delay_alu instid0(VALU_DEP_1) | instskip(SKIP_1) | instid1(VALU_DEP_2)
	v_cndmask_b32_e32 v25, 0, v25, vcc_lo
	v_cmp_nlt_f32_e32 vcc_lo, 0x421a209b, v21
	v_cndmask_b32_e32 v21, 0x7f800000, v25, vcc_lo
	s_delay_alu instid0(VALU_DEP_1) | instskip(SKIP_1) | instid1(VALU_DEP_2)
	v_mul_f32_e32 v25, v22, v21
	v_lshlrev_b64 v[21:22], 2, v[48:49]
	v_dual_mul_f32 v34, v53, v25 :: v_dual_mul_f32 v53, 0xc61e6f33, v31
	s_delay_alu instid0(VALU_DEP_2) | instskip(NEXT) | instid1(VALU_DEP_3)
	v_add_co_u32 v49, vcc_lo, s8, v21
	v_add_co_ci_u32_e32 v50, vcc_lo, s9, v22, vcc_lo
	global_store_b32 v[56:57], v34, off
	v_add_co_u32 v19, vcc_lo, s2, v19
	global_load_b32 v34, v[49:50], off
	v_add_co_ci_u32_e32 v20, vcc_lo, s3, v20, vcc_lo
	v_add_co_u32 v15, vcc_lo, s10, v15
	v_add_co_ci_u32_e32 v16, vcc_lo, s11, v16, vcc_lo
	global_load_b32 v19, v[19:20], off
	v_mul_f32_e32 v54, 0x3fb8aa3b, v53
	s_delay_alu instid0(VALU_DEP_1) | instskip(SKIP_1) | instid1(VALU_DEP_1)
	v_fma_f32 v55, 0x3fb8aa3b, v53, -v54
	v_rndne_f32_e32 v56, v54
	v_dual_fmac_f32 v55, 0x32a5705f, v53 :: v_dual_sub_f32 v54, v54, v56
	s_waitcnt vmcnt(2)
	v_mul_f32_e32 v20, v47, v26
	v_mul_f32_e32 v26, 0xb78bcf65, v32
	s_delay_alu instid0(VALU_DEP_2) | instskip(NEXT) | instid1(VALU_DEP_2)
	v_mul_f32_e32 v20, v42, v20
	v_cmp_ngt_f32_e64 s0, 0xc2ce8ed0, v26
	global_store_b32 v[29:30], v20, off
	global_load_b32 v20, v[15:16], off
	v_mul_f32_e32 v29, 0xba438ad4, v32
	v_mul_f32_e32 v30, 0x3fb8aa3b, v26
	s_delay_alu instid0(VALU_DEP_2) | instskip(NEXT) | instid1(VALU_DEP_2)
	v_mul_f32_e32 v42, 0x3fb8aa3b, v29
	v_fma_f32 v45, 0x3fb8aa3b, v26, -v30
	v_rndne_f32_e32 v47, v30
	s_delay_alu instid0(VALU_DEP_3) | instskip(SKIP_1) | instid1(VALU_DEP_3)
	v_fma_f32 v51, 0x3fb8aa3b, v29, -v42
	v_rndne_f32_e32 v52, v42
	v_dual_fmac_f32 v45, 0x32a5705f, v26 :: v_dual_sub_f32 v30, v30, v47
	v_cvt_i32_f32_e32 v47, v47
	s_delay_alu instid0(VALU_DEP_3) | instskip(SKIP_1) | instid1(VALU_DEP_4)
	v_dual_fmac_f32 v51, 0x32a5705f, v29 :: v_dual_sub_f32 v42, v42, v52
	v_cvt_i32_f32_e32 v52, v52
	v_add_f32_e32 v30, v30, v45
	s_delay_alu instid0(VALU_DEP_3) | instskip(NEXT) | instid1(VALU_DEP_2)
	v_add_f32_e32 v42, v42, v51
	v_exp_f32_e32 v30, v30
	s_delay_alu instid0(VALU_DEP_1) | instskip(SKIP_3) | instid1(VALU_DEP_2)
	v_exp_f32_e32 v42, v42
	s_waitcnt_depctr 0xfff
	v_ldexp_f32 v30, v30, v47
	v_ldexp_f32 v42, v42, v52
	v_cndmask_b32_e64 v30, 0, v30, s0
	v_cmp_ngt_f32_e64 s0, 0xc2ce8ed0, v29
	s_delay_alu instid0(VALU_DEP_1) | instskip(SKIP_1) | instid1(VALU_DEP_1)
	v_cndmask_b32_e64 v42, 0, v42, s0
	v_cmp_nlt_f32_e64 s0, 0x42b17218, v26
	v_cndmask_b32_e64 v26, 0x7f800000, v30, s0
	v_cmp_nlt_f32_e64 s0, 0x42b17218, v29
	s_delay_alu instid0(VALU_DEP_2) | instskip(NEXT) | instid1(VALU_DEP_2)
	v_mul_f32_e32 v26, 0x3e333333, v26
	v_cndmask_b32_e64 v29, 0x7f800000, v42, s0
	v_cmp_ngt_f32_e64 s0, 0xc2ce8ed0, v53
	s_delay_alu instid0(VALU_DEP_2) | instskip(SKIP_3) | instid1(VALU_DEP_2)
	v_fmamk_f32 v26, v29, 0x3f533333, v26
	s_waitcnt vmcnt(2)
	v_div_scale_f32 v45, null, v34, v34, 1.0
	v_div_scale_f32 v57, vcc_lo, 1.0, v34, 1.0
	v_rcp_f32_e32 v51, v45
	s_waitcnt_depctr 0xfff
	v_fma_f32 v47, -v45, v51, 1.0
	s_delay_alu instid0(VALU_DEP_1) | instskip(SKIP_2) | instid1(VALU_DEP_3)
	v_fmac_f32_e32 v51, v47, v51
	v_add_f32_e32 v47, v54, v55
	v_cvt_i32_f32_e32 v54, v56
	v_mul_f32_e32 v52, v57, v51
	s_delay_alu instid0(VALU_DEP_3) | instskip(NEXT) | instid1(VALU_DEP_1)
	v_exp_f32_e32 v47, v47
	v_fma_f32 v30, -v45, v52, v57
	s_delay_alu instid0(VALU_DEP_1) | instskip(SKIP_3) | instid1(VALU_DEP_2)
	v_fmac_f32_e32 v52, v30, v51
	s_waitcnt_depctr 0xfff
	v_ldexp_f32 v30, v47, v54
	v_fma_f32 v29, -v45, v52, v57
	v_cndmask_b32_e64 v30, 0, v30, s0
	s_delay_alu instid0(VALU_DEP_2) | instskip(SKIP_1) | instid1(VALU_DEP_2)
	v_div_fmas_f32 v29, v29, v51, v52
	v_cmp_nlt_f32_e32 vcc_lo, 0x42b17218, v53
	v_div_fixup_f32 v29, v29, v34, 1.0
	s_delay_alu instid0(VALU_DEP_1) | instskip(NEXT) | instid1(VALU_DEP_1)
	v_dual_cndmask_b32 v30, 0x7f800000, v30 :: v_dual_mul_f32 v29, v36, v29
	v_add_f32_e32 v26, v30, v26
	s_waitcnt vmcnt(1)
	s_delay_alu instid0(VALU_DEP_2) | instskip(NEXT) | instid1(VALU_DEP_2)
	v_mul_f32_e32 v30, v19, v29
	v_max_f32_e32 v26, 0x800000, v26
	v_fma_f32 v19, v19, v29, 1.0
	s_delay_alu instid0(VALU_DEP_3) | instskip(NEXT) | instid1(VALU_DEP_3)
	v_max_f32_e32 v45, 0x800000, v30
	v_cmp_gt_f32_e32 vcc_lo, 0x800000, v26
	s_delay_alu instid0(VALU_DEP_3) | instskip(NEXT) | instid1(VALU_DEP_3)
	v_div_scale_f32 v29, null, v19, v19, 1.0
	v_cmp_gt_f32_e64 s0, 0x800000, v45
	v_cndmask_b32_e64 v42, 1.0, 0x4f800000, vcc_lo
	v_cndmask_b32_e64 v51, 0, 0x411a209b, vcc_lo
	s_delay_alu instid0(VALU_DEP_4) | instskip(NEXT) | instid1(VALU_DEP_2)
	v_rcp_f32_e32 v52, v29
	v_mul_f32_e32 v26, v26, v42
	v_cndmask_b32_e64 v42, 1.0, 0x4f800000, s0
	s_delay_alu instid0(VALU_DEP_2) | instskip(NEXT) | instid1(VALU_DEP_1)
	v_log_f32_e32 v26, v26
	v_mul_f32_e32 v42, v45, v42
	s_delay_alu instid0(VALU_DEP_1) | instskip(SKIP_3) | instid1(VALU_DEP_2)
	v_log_f32_e32 v42, v42
	s_waitcnt_depctr 0xfff
	v_mul_f32_e32 v45, 0x3e9a209a, v26
	v_cmp_gt_f32_e64 vcc_lo, 0x7f800000, |v26|
	v_fma_f32 v45, 0x3e9a209a, v26, -v45
	v_mul_f32_e32 v47, 0x3e9a209a, v42
	s_delay_alu instid0(VALU_DEP_2) | instskip(NEXT) | instid1(VALU_DEP_2)
	v_fmac_f32_e32 v45, 0x3284fbcf, v26
	v_fma_f32 v47, 0x3e9a209a, v42, -v47
	s_delay_alu instid0(VALU_DEP_2) | instskip(NEXT) | instid1(VALU_DEP_1)
	v_fmac_f32_e32 v45, 0x3e9a209a, v26
	v_dual_fmac_f32 v47, 0x3284fbcf, v42 :: v_dual_cndmask_b32 v26, v26, v45
	s_delay_alu instid0(VALU_DEP_1) | instskip(SKIP_1) | instid1(VALU_DEP_3)
	v_fmac_f32_e32 v47, 0x3e9a209a, v42
	v_cmp_gt_f32_e64 vcc_lo, 0x7f800000, |v42|
	v_sub_f32_e32 v45, v26, v51
	v_cndmask_b32_e64 v26, 0, 0x411a209b, s0
	s_delay_alu instid0(VALU_DEP_4) | instskip(SKIP_1) | instid1(VALU_DEP_2)
	v_cndmask_b32_e32 v42, v42, v47, vcc_lo
	v_div_scale_f32 v55, vcc_lo, 1.0, v19, 1.0
	v_dual_fmaak_f32 v47, s4, v45, 0x3ecccccd :: v_dual_sub_f32 v26, v42, v26
	s_delay_alu instid0(VALU_DEP_1) | instskip(SKIP_1) | instid1(VALU_DEP_2)
	v_dual_fmaak_f32 v42, s5, v45, 0x3f400000 :: v_dual_sub_f32 v47, v26, v47
	v_fma_f32 v26, -v29, v52, 1.0
	v_fmac_f32_e32 v42, 0xbe0f5c29, v47
	s_delay_alu instid0(VALU_DEP_2) | instskip(NEXT) | instid1(VALU_DEP_2)
	v_fmac_f32_e32 v52, v26, v52
	v_div_scale_f32 v51, null, v42, v42, 1.0
	v_div_scale_f32 v56, s0, 1.0, v42, 1.0
	s_waitcnt vmcnt(0)
	v_mul_f32_e32 v20, v46, v20
	s_delay_alu instid0(VALU_DEP_3) | instskip(NEXT) | instid1(VALU_DEP_1)
	v_rcp_f32_e32 v53, v51
	v_mul_f32_e32 v20, v20, v43
	global_store_b32 v[15:16], v20, off
	v_fma_f32 v54, -v51, v53, 1.0
	s_delay_alu instid0(VALU_DEP_1) | instskip(NEXT) | instid1(VALU_DEP_1)
	v_dual_fmac_f32 v53, v54, v53 :: v_dual_mul_f32 v54, v55, v52
	v_mul_f32_e32 v57, v56, v53
	s_delay_alu instid0(VALU_DEP_2) | instskip(NEXT) | instid1(VALU_DEP_2)
	v_fma_f32 v26, -v29, v54, v55
	v_fma_f32 v58, -v51, v57, v56
	s_delay_alu instid0(VALU_DEP_2) | instskip(SKIP_1) | instid1(VALU_DEP_1)
	v_fmac_f32_e32 v54, v26, v52
	v_add_co_u32 v26, s1, s10, v27
	v_add_co_ci_u32_e64 v27, s1, s11, v28, s1
	s_delay_alu instid0(VALU_DEP_4) | instskip(NEXT) | instid1(VALU_DEP_4)
	v_fmac_f32_e32 v57, v58, v53
	v_fma_f32 v28, -v29, v54, v55
	global_load_b32 v20, v[26:27], off
	v_fma_f32 v29, -v51, v57, v56
	v_div_fmas_f32 v28, v28, v52, v54
	s_mov_b32 vcc_lo, s0
	s_delay_alu instid0(VALU_DEP_2) | instskip(NEXT) | instid1(VALU_DEP_2)
	v_div_fmas_f32 v29, v29, v53, v57
	v_div_fixup_f32 v19, v28, v19, 1.0
	s_delay_alu instid0(VALU_DEP_2) | instskip(NEXT) | instid1(VALU_DEP_2)
	v_div_fixup_f32 v15, v29, v42, 1.0
	v_mul_f32_e32 v19, v30, v19
	s_delay_alu instid0(VALU_DEP_2) | instskip(NEXT) | instid1(VALU_DEP_1)
	v_mul_f32_e32 v15, v47, v15
	v_fma_f32 v15, v15, v15, 1.0
	s_delay_alu instid0(VALU_DEP_1) | instskip(SKIP_1) | instid1(VALU_DEP_2)
	v_div_scale_f32 v16, null, v15, v15, 1.0
	v_div_scale_f32 v43, vcc_lo, 1.0, v15, 1.0
	v_rcp_f32_e32 v29, v16
	s_waitcnt_depctr 0xfff
	v_fma_f32 v42, -v16, v29, 1.0
	s_delay_alu instid0(VALU_DEP_1) | instskip(NEXT) | instid1(VALU_DEP_1)
	v_fmac_f32_e32 v29, v42, v29
	v_mul_f32_e32 v42, v43, v29
	s_delay_alu instid0(VALU_DEP_1) | instskip(NEXT) | instid1(VALU_DEP_1)
	v_fma_f32 v46, -v16, v42, v43
	v_fmac_f32_e32 v42, v46, v29
	v_mul_f32_e32 v46, 0xc5e26000, v31
	s_delay_alu instid0(VALU_DEP_2) | instskip(NEXT) | instid1(VALU_DEP_2)
	v_fma_f32 v16, -v16, v42, v43
	v_mul_f32_e32 v47, 0x3fb8aa3b, v46
	s_delay_alu instid0(VALU_DEP_2) | instskip(NEXT) | instid1(VALU_DEP_1)
	v_div_fmas_f32 v16, v16, v29, v42
	v_div_fixup_f32 v15, v16, v15, 1.0
	s_delay_alu instid0(VALU_DEP_1) | instskip(NEXT) | instid1(VALU_DEP_1)
	v_mul_f32_e32 v15, v45, v15
	v_mul_f32_e32 v16, 0x40549a78, v15
	v_cmp_ngt_f32_e32 vcc_lo, 0xc23369f4, v15
	s_delay_alu instid0(VALU_DEP_2) | instskip(SKIP_1) | instid1(VALU_DEP_1)
	v_fma_f32 v29, 0x40549a78, v15, -v16
	v_rndne_f32_e32 v42, v16
	v_dual_fmac_f32 v29, 0x33979a37, v15 :: v_dual_sub_f32 v16, v16, v42
	s_delay_alu instid0(VALU_DEP_1) | instskip(SKIP_1) | instid1(VALU_DEP_2)
	v_add_f32_e32 v16, v29, v16
	v_cvt_i32_f32_e32 v29, v42
	v_exp_f32_e32 v16, v16
	s_waitcnt_depctr 0xfff
	v_ldexp_f32 v16, v16, v29
	v_mad_u64_u32 v[28:29], null, s12, 3, v[48:49]
	v_mov_b32_e32 v29, v2
	v_fma_f32 v48, 0x3fb8aa3b, v46, -v47
	s_delay_alu instid0(VALU_DEP_4) | instskip(SKIP_1) | instid1(VALU_DEP_3)
	v_cndmask_b32_e32 v16, 0, v16, vcc_lo
	v_cmp_nlt_f32_e32 vcc_lo, 0x421a209b, v15
	v_fmac_f32_e32 v48, 0x32a5705f, v46
	s_delay_alu instid0(VALU_DEP_3) | instskip(NEXT) | instid1(VALU_DEP_1)
	v_cndmask_b32_e32 v15, 0x7f800000, v16, vcc_lo
	v_mul_f32_e32 v19, v19, v15
	v_lshlrev_b64 v[15:16], 2, v[28:29]
	s_delay_alu instid0(VALU_DEP_2) | instskip(NEXT) | instid1(VALU_DEP_2)
	v_mul_f32_e32 v34, v34, v19
	v_add_co_u32 v29, vcc_lo, s8, v15
	s_delay_alu instid0(VALU_DEP_3)
	v_add_co_ci_u32_e32 v30, vcc_lo, s9, v16, vcc_lo
	global_store_b32 v[49:50], v34, off
	v_add_co_u32 v11, vcc_lo, s2, v11
	global_load_b32 v34, v[29:30], off
	v_add_co_ci_u32_e32 v12, vcc_lo, s3, v12, vcc_lo
	v_rndne_f32_e32 v49, v47
	global_load_b32 v42, v[11:12], off
	v_sub_f32_e32 v47, v47, v49
	s_waitcnt vmcnt(2)
	v_mul_f32_e32 v11, v44, v20
	s_delay_alu instid0(VALU_DEP_1)
	v_mul_f32_e32 v20, v39, v11
	v_add_co_u32 v11, vcc_lo, s10, v23
	v_add_co_ci_u32_e32 v12, vcc_lo, s11, v24, vcc_lo
	global_store_b32 v[26:27], v20, off
	v_mul_f32_e32 v23, 0xb9710d4d, v32
	v_mul_f32_e32 v24, 0xb8eba293, v32
	global_load_b32 v20, v[11:12], off
	v_dual_mul_f32 v26, 0x3fb8aa3b, v23 :: v_dual_mul_f32 v27, 0x3fb8aa3b, v24
	v_cmp_ngt_f32_e64 s0, 0xc2ce8ed0, v23
	s_delay_alu instid0(VALU_DEP_2) | instskip(SKIP_1) | instid1(VALU_DEP_4)
	v_fma_f32 v39, 0x3fb8aa3b, v23, -v26
	v_rndne_f32_e32 v43, v26
	v_fma_f32 v44, 0x3fb8aa3b, v24, -v27
	v_rndne_f32_e32 v45, v27
	s_delay_alu instid0(VALU_DEP_4) | instskip(NEXT) | instid1(VALU_DEP_4)
	v_fmac_f32_e32 v39, 0x32a5705f, v23
	v_sub_f32_e32 v26, v26, v43
	s_delay_alu instid0(VALU_DEP_3) | instskip(SKIP_2) | instid1(VALU_DEP_3)
	v_dual_fmac_f32 v44, 0x32a5705f, v24 :: v_dual_sub_f32 v27, v27, v45
	v_cvt_i32_f32_e32 v43, v43
	v_cvt_i32_f32_e32 v45, v45
	v_dual_add_f32 v26, v26, v39 :: v_dual_add_f32 v27, v27, v44
	s_delay_alu instid0(VALU_DEP_1) | instskip(NEXT) | instid1(VALU_DEP_1)
	v_exp_f32_e32 v26, v26
	v_exp_f32_e32 v27, v27
	s_waitcnt_depctr 0xfff
	v_ldexp_f32 v26, v26, v43
	v_ldexp_f32 v27, v27, v45
	s_delay_alu instid0(VALU_DEP_2) | instskip(SKIP_1) | instid1(VALU_DEP_1)
	v_cndmask_b32_e64 v26, 0, v26, s0
	v_cmp_ngt_f32_e64 s0, 0xc2ce8ed0, v24
	v_cndmask_b32_e64 v27, 0, v27, s0
	v_cmp_nlt_f32_e64 s0, 0x42b17218, v23
	s_delay_alu instid0(VALU_DEP_1) | instskip(SKIP_1) | instid1(VALU_DEP_2)
	v_cndmask_b32_e64 v23, 0x7f800000, v26, s0
	v_cmp_nlt_f32_e64 s0, 0x42b17218, v24
	v_mul_f32_e32 v23, 0x3f0ccccd, v23
	s_delay_alu instid0(VALU_DEP_2) | instskip(SKIP_1) | instid1(VALU_DEP_2)
	v_cndmask_b32_e64 v24, 0x7f800000, v27, s0
	v_cmp_ngt_f32_e64 s0, 0xc2ce8ed0, v46
	v_fmamk_f32 v23, v24, 0x3ee66666, v23
	s_waitcnt vmcnt(2)
	v_div_scale_f32 v39, null, v34, v34, 1.0
	v_div_scale_f32 v50, vcc_lo, 1.0, v34, 1.0
	s_delay_alu instid0(VALU_DEP_2) | instskip(SKIP_2) | instid1(VALU_DEP_1)
	v_rcp_f32_e32 v44, v39
	s_waitcnt_depctr 0xfff
	v_fma_f32 v43, -v39, v44, 1.0
	v_fmac_f32_e32 v44, v43, v44
	v_add_f32_e32 v43, v47, v48
	v_cvt_i32_f32_e32 v47, v49
	s_delay_alu instid0(VALU_DEP_3) | instskip(NEXT) | instid1(VALU_DEP_3)
	v_mul_f32_e32 v45, v50, v44
	v_exp_f32_e32 v43, v43
	s_delay_alu instid0(VALU_DEP_1) | instskip(NEXT) | instid1(VALU_DEP_1)
	v_fma_f32 v26, -v39, v45, v50
	v_fmac_f32_e32 v45, v26, v44
	s_waitcnt_depctr 0xfff
	v_ldexp_f32 v26, v43, v47
	v_fma_f32 v24, -v39, v45, v50
	s_delay_alu instid0(VALU_DEP_2) | instskip(NEXT) | instid1(VALU_DEP_2)
	v_cndmask_b32_e64 v26, 0, v26, s0
	v_div_fmas_f32 v24, v24, v44, v45
	v_cmp_nlt_f32_e32 vcc_lo, 0x42b17218, v46
	s_delay_alu instid0(VALU_DEP_2) | instskip(NEXT) | instid1(VALU_DEP_4)
	v_div_fixup_f32 v24, v24, v34, 1.0
	v_cndmask_b32_e32 v26, 0x7f800000, v26, vcc_lo
	s_delay_alu instid0(VALU_DEP_1) | instskip(SKIP_1) | instid1(VALU_DEP_1)
	v_dual_mul_f32 v24, v36, v24 :: v_dual_add_f32 v23, v26, v23
	s_waitcnt vmcnt(1)
	v_mul_f32_e32 v39, v42, v24
	s_delay_alu instid0(VALU_DEP_2) | instskip(SKIP_1) | instid1(VALU_DEP_3)
	v_max_f32_e32 v23, 0x800000, v23
	v_fma_f32 v42, v42, v24, 1.0
	v_max_f32_e32 v27, 0x800000, v39
	s_delay_alu instid0(VALU_DEP_3) | instskip(NEXT) | instid1(VALU_DEP_3)
	v_cmp_gt_f32_e32 vcc_lo, 0x800000, v23
	v_div_scale_f32 v24, null, v42, v42, 1.0
	s_delay_alu instid0(VALU_DEP_3) | instskip(SKIP_2) | instid1(VALU_DEP_2)
	v_cmp_gt_f32_e64 s0, 0x800000, v27
	v_cndmask_b32_e64 v26, 1.0, 0x4f800000, vcc_lo
	v_cndmask_b32_e64 v44, 0, 0x411a209b, vcc_lo
	v_mul_f32_e32 v23, v23, v26
	s_delay_alu instid0(VALU_DEP_4) | instskip(NEXT) | instid1(VALU_DEP_2)
	v_cndmask_b32_e64 v26, 1.0, 0x4f800000, s0
	v_log_f32_e32 v23, v23
	s_delay_alu instid0(VALU_DEP_1) | instskip(NEXT) | instid1(VALU_DEP_1)
	v_mul_f32_e32 v26, v27, v26
	v_log_f32_e32 v26, v26
	s_waitcnt_depctr 0xfff
	v_mul_f32_e32 v27, 0x3e9a209a, v23
	v_cmp_gt_f32_e64 vcc_lo, 0x7f800000, |v23|
	s_delay_alu instid0(VALU_DEP_2) | instskip(SKIP_1) | instid1(VALU_DEP_2)
	v_fma_f32 v27, 0x3e9a209a, v23, -v27
	v_mul_f32_e32 v43, 0x3e9a209a, v26
	v_fmac_f32_e32 v27, 0x3284fbcf, v23
	s_delay_alu instid0(VALU_DEP_2) | instskip(NEXT) | instid1(VALU_DEP_2)
	v_fma_f32 v43, 0x3e9a209a, v26, -v43
	v_fmac_f32_e32 v27, 0x3e9a209a, v23
	s_delay_alu instid0(VALU_DEP_2) | instskip(NEXT) | instid1(VALU_DEP_2)
	v_fmac_f32_e32 v43, 0x3284fbcf, v26
	v_cndmask_b32_e32 v23, v23, v27, vcc_lo
	s_delay_alu instid0(VALU_DEP_2) | instskip(SKIP_1) | instid1(VALU_DEP_3)
	v_fmac_f32_e32 v43, 0x3e9a209a, v26
	v_cmp_gt_f32_e64 vcc_lo, 0x7f800000, |v26|
	v_sub_f32_e32 v27, v23, v44
	v_cndmask_b32_e64 v23, 0, 0x411a209b, s0
	s_delay_alu instid0(VALU_DEP_4) | instskip(SKIP_3) | instid1(VALU_DEP_3)
	v_cndmask_b32_e32 v26, v26, v43, vcc_lo
	v_rcp_f32_e32 v44, v24
	v_div_scale_f32 v48, vcc_lo, 1.0, v42, 1.0
	v_fmaak_f32 v43, s4, v27, 0x3ecccccd
	v_sub_f32_e32 v23, v26, v23
	v_fmaak_f32 v26, s5, v27, 0x3f400000
	s_delay_alu instid0(VALU_DEP_2) | instskip(SKIP_3) | instid1(VALU_DEP_2)
	v_sub_f32_e32 v23, v23, v43
	s_waitcnt_depctr 0xfff
	v_fma_f32 v46, -v24, v44, 1.0
	v_fmac_f32_e32 v26, 0xbe0f5c29, v23
	v_fmac_f32_e32 v44, v46, v44
	s_delay_alu instid0(VALU_DEP_2) | instskip(SKIP_1) | instid1(VALU_DEP_2)
	v_div_scale_f32 v43, null, v26, v26, 1.0
	v_div_scale_f32 v46, s0, 1.0, v26, 1.0
	v_rcp_f32_e32 v45, v43
	s_waitcnt_depctr 0xfff
	v_fma_f32 v47, -v43, v45, 1.0
	s_delay_alu instid0(VALU_DEP_1) | instskip(SKIP_1) | instid1(VALU_DEP_2)
	v_fmac_f32_e32 v45, v47, v45
	v_mul_f32_e32 v47, v48, v44
	v_mul_f32_e32 v49, v46, v45
	s_delay_alu instid0(VALU_DEP_2) | instskip(NEXT) | instid1(VALU_DEP_2)
	v_fma_f32 v50, -v24, v47, v48
	v_fma_f32 v51, -v43, v49, v46
	s_delay_alu instid0(VALU_DEP_2) | instskip(NEXT) | instid1(VALU_DEP_2)
	v_fmac_f32_e32 v47, v50, v44
	v_fmac_f32_e32 v49, v51, v45
	s_delay_alu instid0(VALU_DEP_2) | instskip(NEXT) | instid1(VALU_DEP_2)
	v_fma_f32 v24, -v24, v47, v48
	v_fma_f32 v43, -v43, v49, v46
	s_delay_alu instid0(VALU_DEP_2) | instskip(SKIP_1) | instid1(VALU_DEP_2)
	v_div_fmas_f32 v44, v24, v44, v47
	s_mov_b32 vcc_lo, s0
	v_div_fmas_f32 v24, v43, v45, v49
	s_waitcnt vmcnt(0)
	v_mul_f32_e32 v20, v36, v20
	s_delay_alu instid0(VALU_DEP_2) | instskip(NEXT) | instid1(VALU_DEP_2)
	v_div_fixup_f32 v24, v24, v26, 1.0
	v_mul_f32_e32 v20, v38, v20
	s_delay_alu instid0(VALU_DEP_2) | instskip(NEXT) | instid1(VALU_DEP_2)
	v_mul_f32_e32 v23, v23, v24
	v_mul_f32_e32 v20, v37, v20
	s_delay_alu instid0(VALU_DEP_2) | instskip(SKIP_2) | instid1(VALU_DEP_3)
	v_fma_f32 v26, v23, v23, 1.0
	v_add_co_u32 v23, vcc_lo, s10, v17
	v_add_co_ci_u32_e32 v24, vcc_lo, s11, v18, vcc_lo
	v_div_scale_f32 v43, null, v26, v26, 1.0
	global_store_b32 v[11:12], v20, off
	v_div_scale_f32 v11, vcc_lo, 1.0, v26, 1.0
	v_rcp_f32_e32 v38, v43
	global_load_b32 v18, v[23:24], off
	v_fma_f32 v17, -v43, v38, 1.0
	s_delay_alu instid0(VALU_DEP_1) | instskip(NEXT) | instid1(VALU_DEP_1)
	v_fmac_f32_e32 v38, v17, v38
	v_mul_f32_e32 v12, v11, v38
	s_delay_alu instid0(VALU_DEP_1) | instskip(NEXT) | instid1(VALU_DEP_1)
	v_fma_f32 v17, -v43, v12, v11
	v_fmac_f32_e32 v12, v17, v38
	s_delay_alu instid0(VALU_DEP_1) | instskip(NEXT) | instid1(VALU_DEP_1)
	v_fma_f32 v11, -v43, v12, v11
	v_div_fmas_f32 v11, v11, v38, v12
	s_delay_alu instid0(VALU_DEP_1) | instskip(NEXT) | instid1(VALU_DEP_1)
	v_div_fixup_f32 v11, v11, v26, 1.0
	v_mul_f32_e32 v11, v27, v11
	v_mad_u64_u32 v[26:27], null, 0xffffff7d, s12, v[28:29]
	s_delay_alu instid0(VALU_DEP_2) | instskip(SKIP_1) | instid1(VALU_DEP_2)
	v_dual_mov_b32 v27, v2 :: v_dual_mul_f32 v12, 0x40549a78, v11
	v_cmp_ngt_f32_e32 vcc_lo, 0xc23369f4, v11
	v_mad_u64_u32 v[37:38], null, 0x8a, s12, v[26:27]
	s_delay_alu instid0(VALU_DEP_3) | instskip(SKIP_3) | instid1(VALU_DEP_3)
	v_fma_f32 v17, 0x40549a78, v11, -v12
	v_rndne_f32_e32 v20, v12
	v_mov_b32_e32 v38, v2
	v_lshlrev_b64 v[26:27], 2, v[26:27]
	v_dual_fmac_f32 v17, 0x33979a37, v11 :: v_dual_sub_f32 v12, v12, v20
	s_delay_alu instid0(VALU_DEP_1) | instskip(SKIP_1) | instid1(VALU_DEP_2)
	v_add_f32_e32 v12, v17, v12
	v_cvt_i32_f32_e32 v17, v20
	v_exp_f32_e32 v12, v12
	s_waitcnt_depctr 0xfff
	v_ldexp_f32 v12, v12, v17
	v_div_fixup_f32 v17, v44, v42, 1.0
	s_delay_alu instid0(VALU_DEP_2) | instskip(SKIP_1) | instid1(VALU_DEP_3)
	v_cndmask_b32_e32 v12, 0, v12, vcc_lo
	v_cmp_nlt_f32_e32 vcc_lo, 0x421a209b, v11
	v_mul_f32_e32 v17, v39, v17
	s_delay_alu instid0(VALU_DEP_3) | instskip(NEXT) | instid1(VALU_DEP_1)
	v_cndmask_b32_e32 v11, 0x7f800000, v12, vcc_lo
	v_mul_f32_e32 v17, v17, v11
	v_lshlrev_b64 v[11:12], 2, v[37:38]
	s_delay_alu instid0(VALU_DEP_2) | instskip(NEXT) | instid1(VALU_DEP_2)
	v_mul_f32_e32 v20, v34, v17
	v_add_co_u32 v38, vcc_lo, s8, v11
	s_delay_alu instid0(VALU_DEP_3)
	v_add_co_ci_u32_e32 v39, vcc_lo, s9, v12, vcc_lo
	global_store_b32 v[29:30], v20, off
	v_add_co_u32 v26, vcc_lo, s2, v26
	global_load_b32 v20, v[38:39], off
	v_add_co_ci_u32_e32 v27, vcc_lo, s3, v27, vcc_lo
	v_add_co_u32 v13, vcc_lo, s10, v13
	v_add_co_ci_u32_e32 v14, vcc_lo, s11, v14, vcc_lo
	global_load_b32 v26, v[26:27], off
	s_waitcnt vmcnt(2)
	v_dual_mul_f32 v18, v41, v18 :: v_dual_mul_f32 v41, 0xc5a94800, v31
	s_delay_alu instid0(VALU_DEP_1) | instskip(NEXT) | instid1(VALU_DEP_2)
	v_mul_f32_e32 v18, v18, v40
	v_mul_f32_e32 v42, 0x3fb8aa3b, v41
	global_store_b32 v[23:24], v18, off
	global_load_b32 v18, v[13:14], off
	v_mul_f32_e32 v23, 0xba7d477b, v32
	v_mul_f32_e32 v24, 0xbbb60b61, v32
	v_fma_f32 v43, 0x3fb8aa3b, v41, -v42
	v_rndne_f32_e32 v44, v42
	s_delay_alu instid0(VALU_DEP_3) | instskip(SKIP_1) | instid1(VALU_DEP_3)
	v_dual_mul_f32 v27, 0x3fb8aa3b, v23 :: v_dual_mul_f32 v28, 0x3fb8aa3b, v24
	v_cmp_ngt_f32_e64 s0, 0xc2ce8ed0, v23
	v_dual_fmac_f32 v43, 0x32a5705f, v41 :: v_dual_sub_f32 v42, v42, v44
	s_delay_alu instid0(VALU_DEP_3) | instskip(SKIP_3) | instid1(VALU_DEP_4)
	v_fma_f32 v29, 0x3fb8aa3b, v23, -v27
	v_rndne_f32_e32 v30, v27
	v_fma_f32 v34, 0x3fb8aa3b, v24, -v28
	v_rndne_f32_e32 v40, v28
	v_fmac_f32_e32 v29, 0x32a5705f, v23
	s_delay_alu instid0(VALU_DEP_3) | instskip(NEXT) | instid1(VALU_DEP_3)
	v_dual_sub_f32 v27, v27, v30 :: v_dual_fmac_f32 v34, 0x32a5705f, v24
	v_sub_f32_e32 v28, v28, v40
	v_cvt_i32_f32_e32 v30, v30
	v_cvt_i32_f32_e32 v40, v40
	s_delay_alu instid0(VALU_DEP_3) | instskip(NEXT) | instid1(VALU_DEP_1)
	v_dual_add_f32 v27, v27, v29 :: v_dual_add_f32 v28, v28, v34
	v_exp_f32_e32 v27, v27
	s_delay_alu instid0(VALU_DEP_1) | instskip(SKIP_3) | instid1(VALU_DEP_2)
	v_exp_f32_e32 v28, v28
	s_waitcnt_depctr 0xfff
	v_ldexp_f32 v27, v27, v30
	v_ldexp_f32 v28, v28, v40
	v_cndmask_b32_e64 v27, 0, v27, s0
	v_cmp_ngt_f32_e64 s0, 0xc2ce8ed0, v24
	s_delay_alu instid0(VALU_DEP_1) | instskip(SKIP_1) | instid1(VALU_DEP_1)
	v_cndmask_b32_e64 v28, 0, v28, s0
	v_cmp_nlt_f32_e64 s0, 0x42b17218, v23
	v_cndmask_b32_e64 v23, 0x7f800000, v27, s0
	v_cmp_nlt_f32_e64 s0, 0x42b17218, v24
	s_delay_alu instid0(VALU_DEP_2) | instskip(NEXT) | instid1(VALU_DEP_2)
	v_mul_f32_e32 v23, 0x3f3c0831, v23
	v_cndmask_b32_e64 v24, 0x7f800000, v28, s0
	v_cmp_ngt_f32_e64 s0, 0xc2ce8ed0, v41
	s_delay_alu instid0(VALU_DEP_2) | instskip(SKIP_3) | instid1(VALU_DEP_2)
	v_fmamk_f32 v23, v24, 0x3e87ef9e, v23
	s_waitcnt vmcnt(2)
	v_div_scale_f32 v29, null, v20, v20, 1.0
	v_div_scale_f32 v45, vcc_lo, 1.0, v20, 1.0
	v_rcp_f32_e32 v34, v29
	s_waitcnt_depctr 0xfff
	v_fma_f32 v30, -v29, v34, 1.0
	s_delay_alu instid0(VALU_DEP_1) | instskip(SKIP_2) | instid1(VALU_DEP_3)
	v_fmac_f32_e32 v34, v30, v34
	v_add_f32_e32 v30, v42, v43
	v_cvt_i32_f32_e32 v42, v44
	v_mul_f32_e32 v40, v45, v34
	s_delay_alu instid0(VALU_DEP_3) | instskip(NEXT) | instid1(VALU_DEP_1)
	v_exp_f32_e32 v30, v30
	v_fma_f32 v27, -v29, v40, v45
	s_delay_alu instid0(VALU_DEP_1) | instskip(SKIP_3) | instid1(VALU_DEP_2)
	v_fmac_f32_e32 v40, v27, v34
	s_waitcnt_depctr 0xfff
	v_ldexp_f32 v27, v30, v42
	v_fma_f32 v24, -v29, v40, v45
	v_cndmask_b32_e64 v27, 0, v27, s0
	s_delay_alu instid0(VALU_DEP_2) | instskip(SKIP_1) | instid1(VALU_DEP_2)
	v_div_fmas_f32 v24, v24, v34, v40
	v_cmp_nlt_f32_e32 vcc_lo, 0x42b17218, v41
	v_div_fixup_f32 v24, v24, v20, 1.0
	s_delay_alu instid0(VALU_DEP_1) | instskip(NEXT) | instid1(VALU_DEP_1)
	v_dual_cndmask_b32 v27, 0x7f800000, v27 :: v_dual_mul_f32 v24, v36, v24
	v_add_f32_e32 v23, v27, v23
	s_waitcnt vmcnt(1)
	s_delay_alu instid0(VALU_DEP_2) | instskip(NEXT) | instid1(VALU_DEP_2)
	v_mul_f32_e32 v27, v26, v24
	v_max_f32_e32 v23, 0x800000, v23
	v_fma_f32 v26, v26, v24, 1.0
	s_delay_alu instid0(VALU_DEP_3) | instskip(NEXT) | instid1(VALU_DEP_3)
	v_max_f32_e32 v29, 0x800000, v27
	v_cmp_gt_f32_e32 vcc_lo, 0x800000, v23
	s_delay_alu instid0(VALU_DEP_3) | instskip(NEXT) | instid1(VALU_DEP_3)
	v_div_scale_f32 v24, null, v26, v26, 1.0
	v_cmp_gt_f32_e64 s0, 0x800000, v29
	v_cndmask_b32_e64 v28, 1.0, 0x4f800000, vcc_lo
	v_cndmask_b32_e64 v34, 0, 0x411a209b, vcc_lo
	s_delay_alu instid0(VALU_DEP_2) | instskip(NEXT) | instid1(VALU_DEP_4)
	v_mul_f32_e32 v23, v23, v28
	v_cndmask_b32_e64 v28, 1.0, 0x4f800000, s0
	s_delay_alu instid0(VALU_DEP_2) | instskip(NEXT) | instid1(VALU_DEP_1)
	v_log_f32_e32 v23, v23
	v_mul_f32_e32 v28, v29, v28
	s_delay_alu instid0(VALU_DEP_1) | instskip(SKIP_3) | instid1(VALU_DEP_2)
	v_log_f32_e32 v28, v28
	s_waitcnt_depctr 0xfff
	v_mul_f32_e32 v29, 0x3e9a209a, v23
	v_cmp_gt_f32_e64 vcc_lo, 0x7f800000, |v23|
	v_fma_f32 v29, 0x3e9a209a, v23, -v29
	v_mul_f32_e32 v30, 0x3e9a209a, v28
	s_delay_alu instid0(VALU_DEP_2) | instskip(NEXT) | instid1(VALU_DEP_2)
	v_fmac_f32_e32 v29, 0x3284fbcf, v23
	v_fma_f32 v30, 0x3e9a209a, v28, -v30
	s_delay_alu instid0(VALU_DEP_2) | instskip(NEXT) | instid1(VALU_DEP_1)
	v_fmac_f32_e32 v29, 0x3e9a209a, v23
	v_dual_fmac_f32 v30, 0x3284fbcf, v28 :: v_dual_cndmask_b32 v23, v23, v29
	s_delay_alu instid0(VALU_DEP_1) | instskip(SKIP_1) | instid1(VALU_DEP_3)
	v_fmac_f32_e32 v30, 0x3e9a209a, v28
	v_cmp_gt_f32_e64 vcc_lo, 0x7f800000, |v28|
	v_sub_f32_e32 v29, v23, v34
	v_cndmask_b32_e64 v23, 0, 0x411a209b, s0
	s_delay_alu instid0(VALU_DEP_4) | instskip(SKIP_2) | instid1(VALU_DEP_2)
	v_cndmask_b32_e32 v28, v28, v30, vcc_lo
	v_rcp_f32_e32 v34, v24
	v_div_scale_f32 v43, vcc_lo, 1.0, v26, 1.0
	v_dual_fmaak_f32 v30, s4, v29, 0x3ecccccd :: v_dual_sub_f32 v23, v28, v23
	s_delay_alu instid0(VALU_DEP_1) | instskip(SKIP_3) | instid1(VALU_DEP_2)
	v_dual_fmaak_f32 v28, s5, v29, 0x3f400000 :: v_dual_sub_f32 v23, v23, v30
	s_waitcnt_depctr 0xfff
	v_fma_f32 v41, -v24, v34, 1.0
	v_fmac_f32_e32 v28, 0xbe0f5c29, v23
	v_fmac_f32_e32 v34, v41, v34
	s_delay_alu instid0(VALU_DEP_2) | instskip(SKIP_1) | instid1(VALU_DEP_2)
	v_div_scale_f32 v30, null, v28, v28, 1.0
	v_div_scale_f32 v41, s0, 1.0, v28, 1.0
	v_rcp_f32_e32 v40, v30
	s_waitcnt_depctr 0xfff
	v_fma_f32 v42, -v30, v40, 1.0
	s_delay_alu instid0(VALU_DEP_1) | instskip(SKIP_1) | instid1(VALU_DEP_2)
	v_fmac_f32_e32 v40, v42, v40
	v_mul_f32_e32 v42, v43, v34
	v_mul_f32_e32 v44, v41, v40
	s_delay_alu instid0(VALU_DEP_2) | instskip(NEXT) | instid1(VALU_DEP_2)
	v_fma_f32 v45, -v24, v42, v43
	v_fma_f32 v46, -v30, v44, v41
	s_delay_alu instid0(VALU_DEP_2) | instskip(NEXT) | instid1(VALU_DEP_2)
	v_fmac_f32_e32 v42, v45, v34
	v_fmac_f32_e32 v44, v46, v40
	s_delay_alu instid0(VALU_DEP_2) | instskip(NEXT) | instid1(VALU_DEP_2)
	v_fma_f32 v24, -v24, v42, v43
	v_fma_f32 v30, -v30, v44, v41
	s_delay_alu instid0(VALU_DEP_2) | instskip(SKIP_1) | instid1(VALU_DEP_2)
	v_div_fmas_f32 v34, v24, v34, v42
	s_mov_b32 vcc_lo, s0
	v_div_fmas_f32 v24, v30, v40, v44
	s_delay_alu instid0(VALU_DEP_1) | instskip(NEXT) | instid1(VALU_DEP_1)
	v_div_fixup_f32 v24, v24, v28, 1.0
	v_mul_f32_e32 v23, v23, v24
	s_delay_alu instid0(VALU_DEP_1) | instskip(NEXT) | instid1(VALU_DEP_1)
	v_fma_f32 v28, v23, v23, 1.0
	v_div_scale_f32 v30, null, v28, v28, 1.0
	v_div_scale_f32 v41, vcc_lo, 1.0, v28, 1.0
	s_delay_alu instid0(VALU_DEP_2)
	v_rcp_f32_e32 v40, v30
	s_waitcnt vmcnt(0)
	v_mul_f32_e32 v18, v18, v33
	s_waitcnt_depctr 0xfff
	v_fma_f32 v23, -v30, v40, 1.0
	global_store_b32 v[13:14], v18, off
	v_fmac_f32_e32 v40, v23, v40
	s_delay_alu instid0(VALU_DEP_1) | instskip(NEXT) | instid1(VALU_DEP_1)
	v_mul_f32_e32 v42, v41, v40
	v_fma_f32 v23, -v30, v42, v41
	s_delay_alu instid0(VALU_DEP_1) | instskip(SKIP_1) | instid1(VALU_DEP_1)
	v_fmac_f32_e32 v42, v23, v40
	v_add_co_u32 v23, s0, s10, v0
	v_add_co_ci_u32_e64 v24, s0, s11, v1, s0
	s_delay_alu instid0(VALU_DEP_3) | instskip(SKIP_2) | instid1(VALU_DEP_1)
	v_fma_f32 v0, -v30, v42, v41
	global_load_b32 v18, v[23:24], off
	v_div_fmas_f32 v0, v0, v40, v42
	v_div_fixup_f32 v0, v0, v28, 1.0
	s_delay_alu instid0(VALU_DEP_1) | instskip(NEXT) | instid1(VALU_DEP_1)
	v_mul_f32_e32 v0, v29, v0
	v_mul_f32_e32 v1, 0x40549a78, v0
	v_cmp_ngt_f32_e32 vcc_lo, 0xc23369f4, v0
	s_delay_alu instid0(VALU_DEP_2) | instskip(SKIP_1) | instid1(VALU_DEP_2)
	v_fma_f32 v13, 0x40549a78, v0, -v1
	v_rndne_f32_e32 v14, v1
	v_fmac_f32_e32 v13, 0x33979a37, v0
	s_delay_alu instid0(VALU_DEP_2) | instskip(NEXT) | instid1(VALU_DEP_1)
	v_sub_f32_e32 v1, v1, v14
	v_add_f32_e32 v1, v13, v1
	v_cvt_i32_f32_e32 v13, v14
	s_delay_alu instid0(VALU_DEP_2) | instskip(SKIP_3) | instid1(VALU_DEP_2)
	v_exp_f32_e32 v1, v1
	s_waitcnt_depctr 0xfff
	v_ldexp_f32 v1, v1, v13
	v_div_fixup_f32 v13, v34, v26, 1.0
	v_dual_mul_f32 v34, 0xc588b000, v31 :: v_dual_cndmask_b32 v1, 0, v1
	v_cmp_nlt_f32_e32 vcc_lo, 0x421a209b, v0
	s_delay_alu instid0(VALU_DEP_3) | instskip(NEXT) | instid1(VALU_DEP_3)
	v_mul_f32_e32 v13, v27, v13
	v_cndmask_b32_e32 v0, 0x7f800000, v1, vcc_lo
	v_add_nc_u32_e32 v1, s12, v37
	s_delay_alu instid0(VALU_DEP_2) | instskip(NEXT) | instid1(VALU_DEP_2)
	v_dual_mul_f32 v37, 0x3fb8aa3b, v34 :: v_dual_mul_f32 v0, v13, v0
	v_lshlrev_b64 v[13:14], 2, v[1:2]
	s_delay_alu instid0(VALU_DEP_2) | instskip(NEXT) | instid1(VALU_DEP_2)
	v_mul_f32_e32 v20, v20, v0
	v_add_co_u32 v26, vcc_lo, s8, v13
	s_delay_alu instid0(VALU_DEP_3)
	v_add_co_ci_u32_e32 v27, vcc_lo, s9, v14, vcc_lo
	global_store_b32 v[38:39], v20, off
	v_add_co_u32 v9, vcc_lo, s2, v9
	global_load_b32 v20, v[26:27], off
	v_add_co_ci_u32_e32 v10, vcc_lo, s3, v10, vcc_lo
	v_fma_f32 v38, 0x3fb8aa3b, v34, -v37
	v_rndne_f32_e32 v39, v37
	global_load_b32 v28, v[9:10], off
	v_add_co_u32 v9, vcc_lo, s10, v21
	v_add_co_ci_u32_e32 v10, vcc_lo, s11, v22, vcc_lo
	v_mul_f32_e32 v21, 0xba853408, v32
	v_mul_f32_e32 v22, 0xbb9c09c1, v32
	v_dual_fmac_f32 v38, 0x32a5705f, v34 :: v_dual_sub_f32 v37, v37, v39
	s_delay_alu instid0(VALU_DEP_3)
	v_cmp_ngt_f32_e64 s0, 0xc2ce8ed0, v21
	s_waitcnt vmcnt(2)
	v_mul_f32_e32 v18, v18, v25
	global_store_b32 v[23:24], v18, off
	global_load_b32 v18, v[9:10], off
	v_dual_mul_f32 v23, 0x3fb8aa3b, v21 :: v_dual_mul_f32 v24, 0x3fb8aa3b, v22
	s_delay_alu instid0(VALU_DEP_1) | instskip(SKIP_1) | instid1(VALU_DEP_3)
	v_fma_f32 v25, 0x3fb8aa3b, v21, -v23
	v_rndne_f32_e32 v29, v23
	v_fma_f32 v30, 0x3fb8aa3b, v22, -v24
	v_rndne_f32_e32 v33, v24
	s_delay_alu instid0(VALU_DEP_4) | instskip(NEXT) | instid1(VALU_DEP_3)
	v_fmac_f32_e32 v25, 0x32a5705f, v21
	v_dual_sub_f32 v23, v23, v29 :: v_dual_fmac_f32 v30, 0x32a5705f, v22
	s_delay_alu instid0(VALU_DEP_3) | instskip(SKIP_2) | instid1(VALU_DEP_3)
	v_sub_f32_e32 v24, v24, v33
	v_cvt_i32_f32_e32 v29, v29
	v_cvt_i32_f32_e32 v33, v33
	v_dual_add_f32 v23, v23, v25 :: v_dual_add_f32 v24, v24, v30
	s_delay_alu instid0(VALU_DEP_1) | instskip(NEXT) | instid1(VALU_DEP_1)
	v_exp_f32_e32 v23, v23
	v_exp_f32_e32 v24, v24
	s_waitcnt_depctr 0xfff
	v_ldexp_f32 v23, v23, v29
	v_ldexp_f32 v24, v24, v33
	s_delay_alu instid0(VALU_DEP_2) | instskip(SKIP_1) | instid1(VALU_DEP_1)
	v_cndmask_b32_e64 v23, 0, v23, s0
	v_cmp_ngt_f32_e64 s0, 0xc2ce8ed0, v22
	v_cndmask_b32_e64 v24, 0, v24, s0
	v_cmp_nlt_f32_e64 s0, 0x42b17218, v21
	s_delay_alu instid0(VALU_DEP_1) | instskip(SKIP_1) | instid1(VALU_DEP_2)
	v_cndmask_b32_e64 v21, 0x7f800000, v23, s0
	v_cmp_nlt_f32_e64 s0, 0x42b17218, v22
	v_mul_f32_e32 v21, 0x3f79ad43, v21
	s_delay_alu instid0(VALU_DEP_2) | instskip(SKIP_1) | instid1(VALU_DEP_2)
	v_cndmask_b32_e64 v22, 0x7f800000, v24, s0
	v_cmp_ngt_f32_e64 s0, 0xc2ce8ed0, v34
	v_fmamk_f32 v21, v22, 0x3cca57a8, v21
	s_waitcnt vmcnt(2)
	v_div_scale_f32 v25, null, v20, v20, 1.0
	v_div_scale_f32 v40, vcc_lo, 1.0, v20, 1.0
	s_delay_alu instid0(VALU_DEP_2) | instskip(SKIP_2) | instid1(VALU_DEP_1)
	v_rcp_f32_e32 v30, v25
	s_waitcnt_depctr 0xfff
	v_fma_f32 v29, -v25, v30, 1.0
	v_fmac_f32_e32 v30, v29, v30
	v_add_f32_e32 v29, v37, v38
	v_cvt_i32_f32_e32 v37, v39
	s_delay_alu instid0(VALU_DEP_3) | instskip(NEXT) | instid1(VALU_DEP_3)
	v_mul_f32_e32 v33, v40, v30
	v_exp_f32_e32 v29, v29
	s_delay_alu instid0(VALU_DEP_1) | instskip(NEXT) | instid1(VALU_DEP_1)
	v_fma_f32 v23, -v25, v33, v40
	v_fmac_f32_e32 v33, v23, v30
	s_waitcnt_depctr 0xfff
	v_ldexp_f32 v23, v29, v37
	v_fma_f32 v22, -v25, v33, v40
	s_delay_alu instid0(VALU_DEP_2) | instskip(NEXT) | instid1(VALU_DEP_2)
	v_cndmask_b32_e64 v23, 0, v23, s0
	v_div_fmas_f32 v22, v22, v30, v33
	v_cmp_nlt_f32_e32 vcc_lo, 0x42b17218, v34
	s_delay_alu instid0(VALU_DEP_2) | instskip(NEXT) | instid1(VALU_DEP_1)
	v_div_fixup_f32 v22, v22, v20, 1.0
	v_dual_cndmask_b32 v23, 0x7f800000, v23 :: v_dual_mul_f32 v22, v36, v22
	s_delay_alu instid0(VALU_DEP_1) | instskip(SKIP_1) | instid1(VALU_DEP_2)
	v_add_f32_e32 v21, v23, v21
	s_waitcnt vmcnt(1)
	v_mul_f32_e32 v23, v28, v22
	s_delay_alu instid0(VALU_DEP_2) | instskip(SKIP_1) | instid1(VALU_DEP_3)
	v_max_f32_e32 v21, 0x800000, v21
	v_fma_f32 v22, v28, v22, 1.0
	v_max_f32_e32 v25, 0x800000, v23
	s_delay_alu instid0(VALU_DEP_3) | instskip(NEXT) | instid1(VALU_DEP_3)
	v_cmp_gt_f32_e32 vcc_lo, 0x800000, v21
	v_div_scale_f32 v28, null, v22, v22, 1.0
	s_delay_alu instid0(VALU_DEP_3) | instskip(SKIP_2) | instid1(VALU_DEP_2)
	v_cmp_gt_f32_e64 s0, 0x800000, v25
	v_cndmask_b32_e64 v24, 1.0, 0x4f800000, vcc_lo
	v_cndmask_b32_e64 v30, 0, 0x411a209b, vcc_lo
	v_mul_f32_e32 v21, v21, v24
	s_delay_alu instid0(VALU_DEP_4) | instskip(NEXT) | instid1(VALU_DEP_2)
	v_cndmask_b32_e64 v24, 1.0, 0x4f800000, s0
	v_log_f32_e32 v21, v21
	s_delay_alu instid0(VALU_DEP_1) | instskip(NEXT) | instid1(VALU_DEP_1)
	v_mul_f32_e32 v24, v25, v24
	v_log_f32_e32 v24, v24
	s_waitcnt_depctr 0xfff
	v_mul_f32_e32 v25, 0x3e9a209a, v21
	v_cmp_gt_f32_e64 vcc_lo, 0x7f800000, |v21|
	s_delay_alu instid0(VALU_DEP_2) | instskip(SKIP_1) | instid1(VALU_DEP_2)
	v_fma_f32 v25, 0x3e9a209a, v21, -v25
	v_mul_f32_e32 v29, 0x3e9a209a, v24
	v_fmac_f32_e32 v25, 0x3284fbcf, v21
	s_delay_alu instid0(VALU_DEP_2) | instskip(NEXT) | instid1(VALU_DEP_2)
	v_fma_f32 v29, 0x3e9a209a, v24, -v29
	v_fmac_f32_e32 v25, 0x3e9a209a, v21
	s_delay_alu instid0(VALU_DEP_2) | instskip(NEXT) | instid1(VALU_DEP_2)
	v_fmac_f32_e32 v29, 0x3284fbcf, v24
	v_cndmask_b32_e32 v21, v21, v25, vcc_lo
	s_delay_alu instid0(VALU_DEP_2) | instskip(SKIP_2) | instid1(VALU_DEP_4)
	v_fmac_f32_e32 v29, 0x3e9a209a, v24
	v_cmp_gt_f32_e64 vcc_lo, 0x7f800000, |v24|
	v_cndmask_b32_e64 v25, 0, 0x411a209b, s0
	v_sub_f32_e32 v21, v21, v30
	v_rcp_f32_e32 v30, v28
	v_cndmask_b32_e32 v24, v24, v29, vcc_lo
	v_div_scale_f32 v38, vcc_lo, 1.0, v22, 1.0
	s_delay_alu instid0(VALU_DEP_3) | instskip(NEXT) | instid1(VALU_DEP_3)
	v_fmaak_f32 v29, s4, v21, 0x3ecccccd
	v_sub_f32_e32 v24, v24, v25
	v_fmaak_f32 v25, s5, v21, 0x3f400000
	s_waitcnt_depctr 0xfff
	v_fma_f32 v34, -v28, v30, 1.0
	v_sub_f32_e32 v24, v24, v29
	s_delay_alu instid0(VALU_DEP_1) | instskip(NEXT) | instid1(VALU_DEP_1)
	v_dual_fmac_f32 v30, v34, v30 :: v_dual_fmac_f32 v25, 0xbe0f5c29, v24
	v_div_scale_f32 v29, null, v25, v25, 1.0
	v_div_scale_f32 v34, s0, 1.0, v25, 1.0
	s_delay_alu instid0(VALU_DEP_2) | instskip(SKIP_2) | instid1(VALU_DEP_1)
	v_rcp_f32_e32 v33, v29
	s_waitcnt_depctr 0xfff
	v_fma_f32 v37, -v29, v33, 1.0
	v_fmac_f32_e32 v33, v37, v33
	v_mul_f32_e32 v37, v38, v30
	s_delay_alu instid0(VALU_DEP_2) | instskip(NEXT) | instid1(VALU_DEP_2)
	v_mul_f32_e32 v39, v34, v33
	v_fma_f32 v40, -v28, v37, v38
	s_delay_alu instid0(VALU_DEP_2) | instskip(NEXT) | instid1(VALU_DEP_2)
	v_fma_f32 v41, -v29, v39, v34
	v_fmac_f32_e32 v37, v40, v30
	s_delay_alu instid0(VALU_DEP_2) | instskip(NEXT) | instid1(VALU_DEP_2)
	v_fmac_f32_e32 v39, v41, v33
	v_fma_f32 v28, -v28, v37, v38
	s_delay_alu instid0(VALU_DEP_2) | instskip(NEXT) | instid1(VALU_DEP_2)
	v_fma_f32 v29, -v29, v39, v34
	v_div_fmas_f32 v28, v28, v30, v37
	s_mov_b32 vcc_lo, s0
	s_delay_alu instid0(VALU_DEP_2) | instskip(NEXT) | instid1(VALU_DEP_1)
	v_div_fmas_f32 v29, v29, v33, v39
	v_div_fixup_f32 v25, v29, v25, 1.0
	s_delay_alu instid0(VALU_DEP_1) | instskip(NEXT) | instid1(VALU_DEP_1)
	v_mul_f32_e32 v24, v24, v25
	v_fma_f32 v24, v24, v24, 1.0
	s_delay_alu instid0(VALU_DEP_1) | instskip(SKIP_1) | instid1(VALU_DEP_2)
	v_div_scale_f32 v25, null, v24, v24, 1.0
	v_div_scale_f32 v33, vcc_lo, 1.0, v24, 1.0
	v_rcp_f32_e32 v29, v25
	s_waitcnt_depctr 0xfff
	v_fma_f32 v30, -v25, v29, 1.0
	s_delay_alu instid0(VALU_DEP_1) | instskip(NEXT) | instid1(VALU_DEP_1)
	v_fmac_f32_e32 v29, v30, v29
	v_mul_f32_e32 v30, v33, v29
	s_delay_alu instid0(VALU_DEP_1) | instskip(NEXT) | instid1(VALU_DEP_1)
	v_fma_f32 v34, -v25, v30, v33
	v_fmac_f32_e32 v30, v34, v29
	s_delay_alu instid0(VALU_DEP_1) | instskip(NEXT) | instid1(VALU_DEP_1)
	v_fma_f32 v25, -v25, v30, v33
	v_div_fmas_f32 v25, v25, v29, v30
	s_waitcnt vmcnt(0)
	v_mul_f32_e32 v18, v18, v19
	v_add_co_u32 v15, vcc_lo, s10, v15
	v_add_co_ci_u32_e32 v16, vcc_lo, s11, v16, vcc_lo
	v_div_fixup_f32 v24, v25, v24, 1.0
	global_store_b32 v[9:10], v18, off
	v_mul_f32_e32 v19, v21, v24
	global_load_b32 v24, v[15:16], off
	v_mul_f32_e32 v21, 0x40549a78, v19
	v_cmp_ngt_f32_e32 vcc_lo, 0xc23369f4, v19
	s_delay_alu instid0(VALU_DEP_2) | instskip(SKIP_1) | instid1(VALU_DEP_1)
	v_fma_f32 v9, 0x40549a78, v19, -v21
	v_rndne_f32_e32 v10, v21
	v_dual_fmac_f32 v9, 0x33979a37, v19 :: v_dual_sub_f32 v18, v21, v10
	v_cvt_i32_f32_e32 v10, v10
	s_delay_alu instid0(VALU_DEP_2) | instskip(SKIP_1) | instid1(VALU_DEP_2)
	v_add_f32_e32 v9, v9, v18
	v_div_fixup_f32 v18, v28, v22, 1.0
	v_exp_f32_e32 v9, v9
	s_waitcnt_depctr 0xfff
	v_ldexp_f32 v9, v9, v10
	s_delay_alu instid0(VALU_DEP_1) | instskip(SKIP_3) | instid1(VALU_DEP_4)
	v_cndmask_b32_e32 v21, 0, v9, vcc_lo
	v_cmp_nlt_f32_e32 vcc_lo, 0x421a209b, v19
	v_mad_u64_u32 v[9:10], null, s12, 14, v[1:2]
	v_dual_mul_f32 v1, v23, v18 :: v_dual_mov_b32 v10, v2
	v_cndmask_b32_e32 v18, 0x7f800000, v21, vcc_lo
	s_delay_alu instid0(VALU_DEP_1) | instskip(NEXT) | instid1(VALU_DEP_3)
	v_mul_f32_e32 v22, v1, v18
	v_lshlrev_b64 v[18:19], 2, v[9:10]
	s_delay_alu instid0(VALU_DEP_2) | instskip(NEXT) | instid1(VALU_DEP_2)
	v_mul_f32_e32 v1, v20, v22
	v_add_co_u32 v20, vcc_lo, s8, v18
	s_delay_alu instid0(VALU_DEP_3)
	v_add_co_ci_u32_e32 v21, vcc_lo, s9, v19, vcc_lo
	global_store_b32 v[26:27], v1, off
	v_add_co_u32 v7, vcc_lo, s2, v7
	global_load_b32 v10, v[20:21], off
	v_add_co_ci_u32_e32 v8, vcc_lo, s3, v8, vcc_lo
	v_mul_f32_e32 v27, 0xc5d71000, v31
	global_load_b32 v1, v[7:8], off
	v_add_co_u32 v7, vcc_lo, s10, v11
	v_add_co_ci_u32_e32 v8, vcc_lo, s11, v12, vcc_lo
	v_mul_f32_e32 v12, 0xb9ec45af, v32
	v_mul_f32_e32 v28, 0x3fb8aa3b, v27
	s_delay_alu instid0(VALU_DEP_2) | instskip(NEXT) | instid1(VALU_DEP_2)
	v_cmp_ngt_f32_e64 s0, 0xc2ce8ed0, v12
	v_fma_f32 v29, 0x3fb8aa3b, v27, -v28
	v_rndne_f32_e32 v30, v28
	s_delay_alu instid0(VALU_DEP_1)
	v_dual_fmac_f32 v29, 0x32a5705f, v27 :: v_dual_sub_f32 v28, v28, v30
	s_waitcnt vmcnt(2)
	v_mul_f32_e32 v17, v24, v17
	global_store_b32 v[15:16], v17, off
	global_load_b32 v11, v[7:8], off
	v_mul_f32_e32 v15, 0xbc03126f, v32
	s_delay_alu instid0(VALU_DEP_1) | instskip(NEXT) | instid1(VALU_DEP_1)
	v_dual_mul_f32 v16, 0x3fb8aa3b, v12 :: v_dual_mul_f32 v17, 0x3fb8aa3b, v15
	v_fma_f32 v23, 0x3fb8aa3b, v12, -v16
	v_rndne_f32_e32 v24, v16
	s_delay_alu instid0(VALU_DEP_3) | instskip(SKIP_1) | instid1(VALU_DEP_4)
	v_fma_f32 v25, 0x3fb8aa3b, v15, -v17
	v_rndne_f32_e32 v26, v17
	v_fmac_f32_e32 v23, 0x32a5705f, v12
	s_delay_alu instid0(VALU_DEP_4) | instskip(SKIP_4) | instid1(VALU_DEP_2)
	v_sub_f32_e32 v16, v16, v24
	v_cvt_i32_f32_e32 v24, v24
	v_fmac_f32_e32 v25, 0x32a5705f, v15
	v_sub_f32_e32 v17, v17, v26
	v_cvt_i32_f32_e32 v26, v26
	v_dual_add_f32 v16, v16, v23 :: v_dual_add_f32 v17, v17, v25
	s_delay_alu instid0(VALU_DEP_1) | instskip(NEXT) | instid1(VALU_DEP_1)
	v_exp_f32_e32 v16, v16
	v_exp_f32_e32 v17, v17
	s_waitcnt_depctr 0xfff
	v_ldexp_f32 v16, v16, v24
	v_ldexp_f32 v17, v17, v26
	s_delay_alu instid0(VALU_DEP_2) | instskip(SKIP_1) | instid1(VALU_DEP_1)
	v_cndmask_b32_e64 v16, 0, v16, s0
	v_cmp_ngt_f32_e64 s0, 0xc2ce8ed0, v15
	v_cndmask_b32_e64 v17, 0, v17, s0
	v_cmp_nlt_f32_e64 s0, 0x42b17218, v12
	s_delay_alu instid0(VALU_DEP_1) | instskip(SKIP_1) | instid1(VALU_DEP_2)
	v_cndmask_b32_e64 v12, 0x7f800000, v16, s0
	v_cmp_nlt_f32_e64 s0, 0x42b17218, v15
	v_mul_f32_e32 v12, 0x3f579a6b, v12
	s_delay_alu instid0(VALU_DEP_2)
	v_cndmask_b32_e64 v15, 0x7f800000, v17, s0
	v_cmp_ngt_f32_e64 s0, 0xc2ce8ed0, v27
	s_waitcnt vmcnt(2)
	v_div_scale_f32 v23, null, v10, v10, 1.0
	v_div_scale_f32 v33, vcc_lo, 1.0, v10, 1.0
	v_fmamk_f32 v12, v15, 0x3e219653, v12
	s_delay_alu instid0(VALU_DEP_3) | instskip(SKIP_2) | instid1(VALU_DEP_1)
	v_rcp_f32_e32 v25, v23
	s_waitcnt_depctr 0xfff
	v_fma_f32 v24, -v23, v25, 1.0
	v_fmac_f32_e32 v25, v24, v25
	v_add_f32_e32 v24, v28, v29
	v_cvt_i32_f32_e32 v28, v30
	s_delay_alu instid0(VALU_DEP_3) | instskip(NEXT) | instid1(VALU_DEP_3)
	v_mul_f32_e32 v26, v33, v25
	v_exp_f32_e32 v24, v24
	s_delay_alu instid0(VALU_DEP_1) | instskip(NEXT) | instid1(VALU_DEP_1)
	v_fma_f32 v16, -v23, v26, v33
	v_fmac_f32_e32 v26, v16, v25
	s_waitcnt_depctr 0xfff
	v_ldexp_f32 v16, v24, v28
	v_fma_f32 v15, -v23, v26, v33
	s_delay_alu instid0(VALU_DEP_2) | instskip(NEXT) | instid1(VALU_DEP_2)
	v_cndmask_b32_e64 v16, 0, v16, s0
	v_div_fmas_f32 v15, v15, v25, v26
	v_cmp_nlt_f32_e32 vcc_lo, 0x42b17218, v27
	s_delay_alu instid0(VALU_DEP_2) | instskip(NEXT) | instid1(VALU_DEP_1)
	v_div_fixup_f32 v15, v15, v10, 1.0
	v_dual_cndmask_b32 v16, 0x7f800000, v16 :: v_dual_mul_f32 v15, v36, v15
	s_delay_alu instid0(VALU_DEP_1) | instskip(SKIP_1) | instid1(VALU_DEP_2)
	v_add_f32_e32 v12, v16, v12
	s_waitcnt vmcnt(1)
	v_mul_f32_e32 v16, v1, v15
	s_delay_alu instid0(VALU_DEP_2) | instskip(SKIP_1) | instid1(VALU_DEP_3)
	v_max_f32_e32 v12, 0x800000, v12
	v_fma_f32 v15, v1, v15, 1.0
	v_max_f32_e32 v23, 0x800000, v16
	s_delay_alu instid0(VALU_DEP_3) | instskip(NEXT) | instid1(VALU_DEP_3)
	v_cmp_gt_f32_e32 vcc_lo, 0x800000, v12
	v_div_scale_f32 v1, null, v15, v15, 1.0
	s_delay_alu instid0(VALU_DEP_3) | instskip(SKIP_2) | instid1(VALU_DEP_2)
	v_cmp_gt_f32_e64 s0, 0x800000, v23
	v_cndmask_b32_e64 v17, 1.0, 0x4f800000, vcc_lo
	v_cndmask_b32_e64 v25, 0, 0x411a209b, vcc_lo
	v_mul_f32_e32 v12, v12, v17
	s_delay_alu instid0(VALU_DEP_4) | instskip(NEXT) | instid1(VALU_DEP_2)
	v_cndmask_b32_e64 v17, 1.0, 0x4f800000, s0
	v_log_f32_e32 v12, v12
	s_delay_alu instid0(VALU_DEP_1) | instskip(NEXT) | instid1(VALU_DEP_1)
	v_mul_f32_e32 v17, v23, v17
	v_log_f32_e32 v17, v17
	s_waitcnt_depctr 0xfff
	v_mul_f32_e32 v23, 0x3e9a209a, v12
	v_cmp_gt_f32_e64 vcc_lo, 0x7f800000, |v12|
	s_delay_alu instid0(VALU_DEP_2) | instskip(SKIP_1) | instid1(VALU_DEP_2)
	v_fma_f32 v23, 0x3e9a209a, v12, -v23
	v_mul_f32_e32 v24, 0x3e9a209a, v17
	v_fmac_f32_e32 v23, 0x3284fbcf, v12
	s_delay_alu instid0(VALU_DEP_2) | instskip(NEXT) | instid1(VALU_DEP_2)
	v_fma_f32 v24, 0x3e9a209a, v17, -v24
	v_fmac_f32_e32 v23, 0x3e9a209a, v12
	s_delay_alu instid0(VALU_DEP_2) | instskip(NEXT) | instid1(VALU_DEP_2)
	v_fmac_f32_e32 v24, 0x3284fbcf, v17
	v_cndmask_b32_e32 v12, v12, v23, vcc_lo
	s_delay_alu instid0(VALU_DEP_2) | instskip(SKIP_2) | instid1(VALU_DEP_4)
	v_fmac_f32_e32 v24, 0x3e9a209a, v17
	v_cmp_gt_f32_e64 vcc_lo, 0x7f800000, |v17|
	v_cndmask_b32_e64 v23, 0, 0x411a209b, s0
	v_sub_f32_e32 v12, v12, v25
	v_rcp_f32_e32 v25, v1
	v_cndmask_b32_e32 v17, v17, v24, vcc_lo
	v_div_scale_f32 v29, vcc_lo, 1.0, v15, 1.0
	s_delay_alu instid0(VALU_DEP_2) | instskip(SKIP_4) | instid1(VALU_DEP_2)
	v_dual_fmaak_f32 v24, s4, v12, 0x3ecccccd :: v_dual_sub_f32 v17, v17, v23
	v_fmaak_f32 v23, s5, v12, 0x3f400000
	s_waitcnt_depctr 0xfff
	v_fma_f32 v27, -v1, v25, 1.0
	v_sub_f32_e32 v17, v17, v24
	v_fmac_f32_e32 v25, v27, v25
	s_delay_alu instid0(VALU_DEP_2) | instskip(NEXT) | instid1(VALU_DEP_1)
	v_fmac_f32_e32 v23, 0xbe0f5c29, v17
	v_div_scale_f32 v24, null, v23, v23, 1.0
	v_div_scale_f32 v27, s0, 1.0, v23, 1.0
	s_delay_alu instid0(VALU_DEP_2) | instskip(SKIP_2) | instid1(VALU_DEP_1)
	v_rcp_f32_e32 v26, v24
	s_waitcnt_depctr 0xfff
	v_fma_f32 v28, -v24, v26, 1.0
	v_fmac_f32_e32 v26, v28, v26
	v_mul_f32_e32 v28, v29, v25
	s_delay_alu instid0(VALU_DEP_2) | instskip(NEXT) | instid1(VALU_DEP_2)
	v_mul_f32_e32 v30, v27, v26
	v_fma_f32 v33, -v1, v28, v29
	s_delay_alu instid0(VALU_DEP_2) | instskip(NEXT) | instid1(VALU_DEP_2)
	v_fma_f32 v34, -v24, v30, v27
	v_fmac_f32_e32 v28, v33, v25
	s_delay_alu instid0(VALU_DEP_2) | instskip(NEXT) | instid1(VALU_DEP_2)
	v_fmac_f32_e32 v30, v34, v26
	v_fma_f32 v1, -v1, v28, v29
	s_delay_alu instid0(VALU_DEP_2) | instskip(NEXT) | instid1(VALU_DEP_2)
	v_fma_f32 v24, -v24, v30, v27
	v_div_fmas_f32 v25, v1, v25, v28
	s_mov_b32 vcc_lo, s0
	s_delay_alu instid0(VALU_DEP_2) | instskip(NEXT) | instid1(VALU_DEP_1)
	v_div_fmas_f32 v1, v24, v26, v30
	v_div_fixup_f32 v1, v1, v23, 1.0
	s_delay_alu instid0(VALU_DEP_1) | instskip(NEXT) | instid1(VALU_DEP_1)
	v_mul_f32_e32 v1, v17, v1
	v_fma_f32 v1, v1, v1, 1.0
	s_delay_alu instid0(VALU_DEP_1) | instskip(SKIP_1) | instid1(VALU_DEP_2)
	v_div_scale_f32 v17, null, v1, v1, 1.0
	v_div_scale_f32 v26, vcc_lo, 1.0, v1, 1.0
	v_rcp_f32_e32 v23, v17
	s_waitcnt_depctr 0xfff
	v_fma_f32 v24, -v17, v23, 1.0
	s_delay_alu instid0(VALU_DEP_1) | instskip(NEXT) | instid1(VALU_DEP_1)
	v_fmac_f32_e32 v23, v24, v23
	v_mul_f32_e32 v24, v26, v23
	s_delay_alu instid0(VALU_DEP_1) | instskip(NEXT) | instid1(VALU_DEP_1)
	v_fma_f32 v27, -v17, v24, v26
	v_fmac_f32_e32 v24, v27, v23
	s_delay_alu instid0(VALU_DEP_1) | instskip(NEXT) | instid1(VALU_DEP_1)
	v_fma_f32 v17, -v17, v24, v26
	v_div_fmas_f32 v17, v17, v23, v24
	s_delay_alu instid0(VALU_DEP_1) | instskip(SKIP_1) | instid1(VALU_DEP_1)
	v_div_fixup_f32 v1, v17, v1, 1.0
	s_waitcnt vmcnt(0)
	v_dual_mul_f32 v12, v12, v1 :: v_dual_mul_f32 v11, v11, v0
	v_add_co_u32 v0, vcc_lo, s10, v13
	s_delay_alu instid0(VALU_DEP_2) | instskip(SKIP_4) | instid1(VALU_DEP_2)
	v_mul_f32_e32 v1, 0x40549a78, v12
	global_store_b32 v[7:8], v11, off
	v_div_fixup_f32 v11, v25, v15, 1.0
	v_fma_f32 v17, 0x40549a78, v12, -v1
	v_rndne_f32_e32 v23, v1
	v_fmac_f32_e32 v17, 0x33979a37, v12
	s_delay_alu instid0(VALU_DEP_2) | instskip(SKIP_1) | instid1(VALU_DEP_2)
	v_sub_f32_e32 v1, v1, v23
	v_cvt_i32_f32_e32 v8, v23
	v_add_f32_e32 v17, v17, v1
	v_add_co_ci_u32_e32 v1, vcc_lo, s11, v14, vcc_lo
	v_cmp_ngt_f32_e32 vcc_lo, 0xc23369f4, v12
	s_delay_alu instid0(VALU_DEP_3) | instskip(SKIP_2) | instid1(VALU_DEP_1)
	v_exp_f32_e32 v7, v17
	global_load_b32 v13, v[0:1], off
	v_ldexp_f32 v7, v7, v8
	v_cndmask_b32_e32 v14, 0, v7, vcc_lo
	v_cmp_nlt_f32_e32 vcc_lo, 0x421a209b, v12
	v_mad_u64_u32 v[7:8], null, s12, 15, v[9:10]
	v_dual_mul_f32 v9, v16, v11 :: v_dual_mov_b32 v8, v2
	s_delay_alu instid0(VALU_DEP_4) | instskip(NEXT) | instid1(VALU_DEP_1)
	v_cndmask_b32_e32 v11, 0x7f800000, v14, vcc_lo
	v_mul_f32_e32 v12, v9, v11
	s_delay_alu instid0(VALU_DEP_3) | instskip(NEXT) | instid1(VALU_DEP_2)
	v_lshlrev_b64 v[8:9], 2, v[7:8]
	v_mul_f32_e32 v14, v10, v12
	s_delay_alu instid0(VALU_DEP_2) | instskip(NEXT) | instid1(VALU_DEP_3)
	v_add_co_u32 v10, vcc_lo, s8, v8
	v_add_co_ci_u32_e32 v11, vcc_lo, s9, v9, vcc_lo
	global_store_b32 v[20:21], v14, off
	v_add_co_u32 v5, vcc_lo, s2, v5
	global_load_b32 v14, v[10:11], off
	v_add_co_ci_u32_e32 v6, vcc_lo, s3, v6, vcc_lo
	global_load_b32 v15, v[5:6], off
	v_add_co_u32 v5, vcc_lo, s10, v18
	v_add_co_ci_u32_e32 v6, vcc_lo, s11, v19, vcc_lo
	v_mul_f32_e32 v18, 0xc5d65c00, v31
	s_delay_alu instid0(VALU_DEP_1) | instskip(NEXT) | instid1(VALU_DEP_1)
	v_mul_f32_e32 v20, 0x3fb8aa3b, v18
	v_fma_f32 v21, 0x3fb8aa3b, v18, -v20
	s_delay_alu instid0(VALU_DEP_1)
	v_fmac_f32_e32 v21, 0x32a5705f, v18
	s_waitcnt vmcnt(2)
	v_mul_f32_e32 v13, v13, v22
	v_rndne_f32_e32 v22, v20
	global_store_b32 v[0:1], v13, off
	global_load_b32 v0, v[5:6], off
	v_dual_mul_f32 v1, 0xba6f0d37, v32 :: v_dual_sub_f32 v20, v20, v22
	s_delay_alu instid0(VALU_DEP_1) | instskip(SKIP_1) | instid1(VALU_DEP_2)
	v_mul_f32_e32 v13, 0x3fb8aa3b, v1
	v_cmp_ngt_f32_e64 s0, 0xc2ce8ed0, v1
	v_fma_f32 v16, 0x3fb8aa3b, v1, -v13
	v_rndne_f32_e32 v17, v13
	s_delay_alu instid0(VALU_DEP_2) | instskip(NEXT) | instid1(VALU_DEP_2)
	v_fmac_f32_e32 v16, 0x32a5705f, v1
	v_sub_f32_e32 v13, v13, v17
	v_cvt_i32_f32_e32 v17, v17
	s_delay_alu instid0(VALU_DEP_2) | instskip(NEXT) | instid1(VALU_DEP_1)
	v_add_f32_e32 v13, v13, v16
	v_exp_f32_e32 v13, v13
	s_waitcnt vmcnt(2)
	v_div_scale_f32 v16, null, v14, v14, 1.0
	v_div_scale_f32 v23, vcc_lo, 1.0, v14, 1.0
	s_waitcnt_depctr 0xfff
	v_ldexp_f32 v13, v13, v17
	v_rcp_f32_e32 v19, v16
	s_delay_alu instid0(VALU_DEP_1)
	v_cndmask_b32_e64 v13, 0, v13, s0
	v_cmp_nlt_f32_e64 s0, 0x42b17218, v1
	s_waitcnt_depctr 0xfff
	v_fma_f32 v17, -v16, v19, 1.0
	v_cndmask_b32_e64 v1, 0x7f800000, v13, s0
	v_cmp_ngt_f32_e64 s0, 0xc2ce8ed0, v18
	s_delay_alu instid0(VALU_DEP_3) | instskip(SKIP_3) | instid1(VALU_DEP_4)
	v_fmac_f32_e32 v19, v17, v19
	v_add_f32_e32 v17, v20, v21
	v_cvt_i32_f32_e32 v21, v22
	v_mul_f32_e32 v22, 0x3ca3d70a, v1
	v_mul_f32_e32 v20, v23, v19
	s_delay_alu instid0(VALU_DEP_4) | instskip(NEXT) | instid1(VALU_DEP_2)
	v_exp_f32_e32 v17, v17
	v_fmamk_f32 v1, v1, 0x3f7ae148, v22
	s_delay_alu instid0(VALU_DEP_2) | instskip(NEXT) | instid1(VALU_DEP_1)
	v_fma_f32 v13, -v16, v20, v23
	v_fmac_f32_e32 v20, v13, v19
	s_waitcnt_depctr 0xfff
	v_ldexp_f32 v13, v17, v21
	v_fma_f32 v16, -v16, v20, v23
	s_delay_alu instid0(VALU_DEP_2) | instskip(NEXT) | instid1(VALU_DEP_2)
	v_cndmask_b32_e64 v13, 0, v13, s0
	v_div_fmas_f32 v16, v16, v19, v20
	v_cmp_nlt_f32_e32 vcc_lo, 0x42b17218, v18
	s_delay_alu instid0(VALU_DEP_2) | instskip(NEXT) | instid1(VALU_DEP_4)
	v_div_fixup_f32 v16, v16, v14, 1.0
	v_cndmask_b32_e32 v13, 0x7f800000, v13, vcc_lo
	s_delay_alu instid0(VALU_DEP_1) | instskip(NEXT) | instid1(VALU_DEP_3)
	v_add_f32_e32 v1, v13, v1
	v_mul_f32_e32 v13, v36, v16
	s_delay_alu instid0(VALU_DEP_2) | instskip(SKIP_1) | instid1(VALU_DEP_2)
	v_max_f32_e32 v1, 0x800000, v1
	s_waitcnt vmcnt(1)
	v_mul_f32_e32 v16, v15, v13
	v_fma_f32 v13, v15, v13, 1.0
	s_delay_alu instid0(VALU_DEP_3) | instskip(NEXT) | instid1(VALU_DEP_3)
	v_cmp_gt_f32_e32 vcc_lo, 0x800000, v1
	v_max_f32_e32 v18, 0x800000, v16
	s_delay_alu instid0(VALU_DEP_3) | instskip(SKIP_1) | instid1(VALU_DEP_3)
	v_div_scale_f32 v15, null, v13, v13, 1.0
	v_cndmask_b32_e64 v17, 1.0, 0x4f800000, vcc_lo
	v_cmp_gt_f32_e64 s0, 0x800000, v18
	v_cndmask_b32_e64 v20, 0, 0x411a209b, vcc_lo
	s_delay_alu instid0(VALU_DEP_3) | instskip(NEXT) | instid1(VALU_DEP_3)
	v_mul_f32_e32 v1, v1, v17
	v_cndmask_b32_e64 v17, 1.0, 0x4f800000, s0
	s_delay_alu instid0(VALU_DEP_2) | instskip(NEXT) | instid1(VALU_DEP_1)
	v_log_f32_e32 v1, v1
	v_mul_f32_e32 v17, v18, v17
	s_delay_alu instid0(VALU_DEP_1) | instskip(SKIP_3) | instid1(VALU_DEP_2)
	v_log_f32_e32 v17, v17
	s_waitcnt_depctr 0xfff
	v_mul_f32_e32 v18, 0x3e9a209a, v1
	v_cmp_gt_f32_e64 vcc_lo, 0x7f800000, |v1|
	v_fma_f32 v18, 0x3e9a209a, v1, -v18
	v_mul_f32_e32 v19, 0x3e9a209a, v17
	s_delay_alu instid0(VALU_DEP_2) | instskip(NEXT) | instid1(VALU_DEP_2)
	v_fmac_f32_e32 v18, 0x3284fbcf, v1
	v_fma_f32 v19, 0x3e9a209a, v17, -v19
	s_delay_alu instid0(VALU_DEP_2) | instskip(NEXT) | instid1(VALU_DEP_2)
	v_fmac_f32_e32 v18, 0x3e9a209a, v1
	v_fmac_f32_e32 v19, 0x3284fbcf, v17
	s_delay_alu instid0(VALU_DEP_2) | instskip(NEXT) | instid1(VALU_DEP_2)
	v_cndmask_b32_e32 v1, v1, v18, vcc_lo
	v_fmac_f32_e32 v19, 0x3e9a209a, v17
	v_cmp_gt_f32_e64 vcc_lo, 0x7f800000, |v17|
	v_cndmask_b32_e64 v18, 0, 0x411a209b, s0
	s_delay_alu instid0(VALU_DEP_4) | instskip(SKIP_3) | instid1(VALU_DEP_3)
	v_sub_f32_e32 v1, v1, v20
	v_rcp_f32_e32 v20, v15
	v_cndmask_b32_e32 v17, v17, v19, vcc_lo
	v_div_scale_f32 v24, vcc_lo, 1.0, v13, 1.0
	v_fmaak_f32 v19, s4, v1, 0x3ecccccd
	s_delay_alu instid0(VALU_DEP_3) | instskip(SKIP_2) | instid1(VALU_DEP_1)
	v_dual_sub_f32 v17, v17, v18 :: v_dual_fmaak_f32 v18, s5, v1, 0x3f400000
	s_waitcnt_depctr 0xfff
	v_fma_f32 v22, -v15, v20, 1.0
	v_dual_sub_f32 v17, v17, v19 :: v_dual_fmac_f32 v20, v22, v20
	s_delay_alu instid0(VALU_DEP_1) | instskip(NEXT) | instid1(VALU_DEP_1)
	v_fmac_f32_e32 v18, 0xbe0f5c29, v17
	v_div_scale_f32 v19, null, v18, v18, 1.0
	v_div_scale_f32 v22, s0, 1.0, v18, 1.0
	s_delay_alu instid0(VALU_DEP_2) | instskip(SKIP_2) | instid1(VALU_DEP_1)
	v_rcp_f32_e32 v21, v19
	s_waitcnt_depctr 0xfff
	v_fma_f32 v23, -v19, v21, 1.0
	v_fmac_f32_e32 v21, v23, v21
	v_mul_f32_e32 v23, v24, v20
	s_delay_alu instid0(VALU_DEP_2) | instskip(NEXT) | instid1(VALU_DEP_2)
	v_mul_f32_e32 v25, v22, v21
	v_fma_f32 v26, -v15, v23, v24
	s_delay_alu instid0(VALU_DEP_2) | instskip(NEXT) | instid1(VALU_DEP_2)
	v_fma_f32 v27, -v19, v25, v22
	v_fmac_f32_e32 v23, v26, v20
	s_delay_alu instid0(VALU_DEP_2) | instskip(NEXT) | instid1(VALU_DEP_2)
	v_fmac_f32_e32 v25, v27, v21
	v_fma_f32 v15, -v15, v23, v24
	s_delay_alu instid0(VALU_DEP_2) | instskip(NEXT) | instid1(VALU_DEP_2)
	v_fma_f32 v19, -v19, v25, v22
	v_div_fmas_f32 v15, v15, v20, v23
	s_mov_b32 vcc_lo, s0
	s_delay_alu instid0(VALU_DEP_2) | instskip(NEXT) | instid1(VALU_DEP_1)
	v_div_fmas_f32 v19, v19, v21, v25
	v_div_fixup_f32 v18, v19, v18, 1.0
	s_delay_alu instid0(VALU_DEP_1) | instskip(NEXT) | instid1(VALU_DEP_1)
	v_mul_f32_e32 v17, v17, v18
	v_fma_f32 v17, v17, v17, 1.0
	s_delay_alu instid0(VALU_DEP_1) | instskip(SKIP_1) | instid1(VALU_DEP_2)
	v_div_scale_f32 v18, null, v17, v17, 1.0
	v_div_scale_f32 v21, vcc_lo, 1.0, v17, 1.0
	v_rcp_f32_e32 v19, v18
	s_waitcnt_depctr 0xfff
	v_fma_f32 v20, -v18, v19, 1.0
	s_delay_alu instid0(VALU_DEP_1) | instskip(NEXT) | instid1(VALU_DEP_1)
	v_fmac_f32_e32 v19, v20, v19
	v_mul_f32_e32 v20, v21, v19
	s_delay_alu instid0(VALU_DEP_1) | instskip(NEXT) | instid1(VALU_DEP_1)
	v_fma_f32 v22, -v18, v20, v21
	v_fmac_f32_e32 v20, v22, v19
	s_delay_alu instid0(VALU_DEP_1) | instskip(NEXT) | instid1(VALU_DEP_1)
	v_fma_f32 v18, -v18, v20, v21
	v_div_fmas_f32 v18, v18, v19, v20
	s_delay_alu instid0(VALU_DEP_1) | instskip(NEXT) | instid1(VALU_DEP_1)
	v_div_fixup_f32 v17, v18, v17, 1.0
	v_mul_f32_e32 v17, v1, v17
	s_delay_alu instid0(VALU_DEP_1) | instskip(SKIP_1) | instid1(VALU_DEP_2)
	v_mul_f32_e32 v1, 0x40549a78, v17
	v_cmp_ngt_f32_e32 vcc_lo, 0xc23369f4, v17
	v_fma_f32 v18, 0x40549a78, v17, -v1
	v_rndne_f32_e32 v19, v1
	s_delay_alu instid0(VALU_DEP_1) | instskip(NEXT) | instid1(VALU_DEP_1)
	v_dual_fmac_f32 v18, 0x33979a37, v17 :: v_dual_sub_f32 v1, v1, v19
	v_add_f32_e32 v1, v18, v1
	v_cvt_i32_f32_e32 v18, v19
	s_delay_alu instid0(VALU_DEP_2)
	v_exp_f32_e32 v1, v1
	s_waitcnt vmcnt(0)
	v_mul_f32_e32 v0, v0, v12
	v_div_fixup_f32 v12, v15, v13, 1.0
	global_store_b32 v[5:6], v0, off
	v_ldexp_f32 v18, v1, v18
	v_add_nc_u32_e32 v1, s6, v7
	s_delay_alu instid0(VALU_DEP_2)
	v_cndmask_b32_e32 v13, 0, v18, vcc_lo
	v_add_co_u32 v7, vcc_lo, s10, v8
	v_add_co_ci_u32_e32 v8, vcc_lo, s11, v9, vcc_lo
	v_cmp_nlt_f32_e32 vcc_lo, 0x421a209b, v17
	v_mul_f32_e32 v9, v16, v12
	v_lshlrev_b64 v[0:1], 2, v[1:2]
	v_mul_f32_e32 v16, 0xc73be100, v31
	v_cndmask_b32_e32 v12, 0x7f800000, v13, vcc_lo
	global_load_b32 v13, v[7:8], off
	v_add_co_u32 v5, vcc_lo, s8, v0
	v_mul_f32_e32 v9, v9, v12
	v_add_co_ci_u32_e32 v6, vcc_lo, s9, v1, vcc_lo
	s_delay_alu instid0(VALU_DEP_2) | instskip(NEXT) | instid1(VALU_DEP_1)
	v_dual_mul_f32 v17, 0x3fb8aa3b, v16 :: v_dual_mul_f32 v2, v14, v9
	v_rndne_f32_e32 v18, v17
	global_store_b32 v[10:11], v2, off
	global_load_b32 v10, v[5:6], off
	v_add_co_u32 v2, vcc_lo, s2, v3
	v_add_co_ci_u32_e32 v3, vcc_lo, s3, v4, vcc_lo
	v_add_co_u32 v0, vcc_lo, s10, v0
	v_mul_f32_e32 v4, 0xba481c24, v32
	global_load_b32 v2, v[2:3], off
	v_mul_f32_e32 v3, 0xba83126f, v32
	v_add_co_ci_u32_e32 v1, vcc_lo, s11, v1, vcc_lo
	s_delay_alu instid0(VALU_DEP_2) | instskip(SKIP_1) | instid1(VALU_DEP_2)
	v_dual_mul_f32 v12, 0x3fb8aa3b, v4 :: v_dual_mul_f32 v11, 0x3fb8aa3b, v3
	v_cmp_ngt_f32_e64 s0, 0xc2ce8ed0, v3
	v_rndne_f32_e32 v14, v12
	s_waitcnt vmcnt(2)
	v_mul_f32_e32 v9, v13, v9
	v_fma_f32 v13, 0x3fb8aa3b, v3, -v11
	global_store_b32 v[7:8], v9, off
	v_rndne_f32_e32 v8, v11
	global_load_b32 v7, v[0:1], off
	v_fma_f32 v9, 0x3fb8aa3b, v4, -v12
	v_dual_fmac_f32 v13, 0x32a5705f, v3 :: v_dual_sub_f32 v12, v12, v14
	v_sub_f32_e32 v11, v11, v8
	v_cvt_i32_f32_e32 v8, v8
	s_delay_alu instid0(VALU_DEP_4)
	v_fmac_f32_e32 v9, 0x32a5705f, v4
	v_cvt_i32_f32_e32 v14, v14
	s_waitcnt vmcnt(2)
	v_div_scale_f32 v15, null, v10, v10, 1.0
	v_add_f32_e32 v11, v11, v13
	v_add_f32_e32 v9, v12, v9
	v_fma_f32 v12, 0x3fb8aa3b, v16, -v17
	s_delay_alu instid0(VALU_DEP_4)
	v_rcp_f32_e32 v13, v15
	v_sub_f32_e32 v17, v17, v18
	v_exp_f32_e32 v11, v11
	v_exp_f32_e32 v9, v9
	v_fmac_f32_e32 v12, 0x32a5705f, v16
	v_div_scale_f32 v20, vcc_lo, 1.0, v10, 1.0
	s_delay_alu instid0(TRANS32_DEP_3)
	v_fma_f32 v19, -v15, v13, 1.0
	s_waitcnt_depctr 0xfff
	v_ldexp_f32 v8, v11, v8
	v_ldexp_f32 v9, v9, v14
	v_add_f32_e32 v11, v17, v12
	v_fmac_f32_e32 v13, v19, v13
	s_delay_alu instid0(VALU_DEP_4) | instskip(SKIP_1) | instid1(VALU_DEP_4)
	v_cndmask_b32_e64 v8, 0, v8, s0
	v_cmp_ngt_f32_e64 s0, 0xc2ce8ed0, v4
	v_exp_f32_e32 v11, v11
	s_delay_alu instid0(VALU_DEP_3) | instskip(NEXT) | instid1(VALU_DEP_2)
	v_mul_f32_e32 v12, v20, v13
	v_cndmask_b32_e64 v9, 0, v9, s0
	v_cmp_nlt_f32_e64 s0, 0x42b17218, v3
	s_delay_alu instid0(VALU_DEP_3) | instskip(NEXT) | instid1(VALU_DEP_2)
	v_fma_f32 v14, -v15, v12, v20
	v_cndmask_b32_e64 v3, 0x7f800000, v8, s0
	v_cmp_nlt_f32_e64 s0, 0x42b17218, v4
	v_cvt_i32_f32_e32 v8, v18
	s_delay_alu instid0(VALU_DEP_4) | instskip(NEXT) | instid1(VALU_DEP_3)
	v_fmac_f32_e32 v12, v14, v13
	v_cndmask_b32_e64 v4, 0x7f800000, v9, s0
	s_delay_alu instid0(VALU_DEP_3) | instskip(SKIP_1) | instid1(VALU_DEP_3)
	v_ldexp_f32 v8, v11, v8
	v_cmp_ngt_f32_e64 s0, 0xc2ce8ed0, v16
	v_fmac_f32_e32 v4, 0, v3
	v_fma_f32 v3, -v15, v12, v20
	s_delay_alu instid0(VALU_DEP_3) | instskip(NEXT) | instid1(VALU_DEP_2)
	v_cndmask_b32_e64 v8, 0, v8, s0
	v_div_fmas_f32 v3, v3, v13, v12
	v_cmp_nlt_f32_e32 vcc_lo, 0x42b17218, v16
	s_delay_alu instid0(VALU_DEP_2) | instskip(NEXT) | instid1(VALU_DEP_1)
	v_div_fixup_f32 v3, v3, v10, 1.0
	v_dual_cndmask_b32 v8, 0x7f800000, v8 :: v_dual_mul_f32 v3, v35, v3
	s_delay_alu instid0(VALU_DEP_1) | instskip(SKIP_1) | instid1(VALU_DEP_2)
	v_add_f32_e32 v4, v8, v4
	s_waitcnt vmcnt(1)
	v_mul_f32_e32 v8, v2, v3
	s_delay_alu instid0(VALU_DEP_2) | instskip(SKIP_1) | instid1(VALU_DEP_3)
	v_max_f32_e32 v4, 0x800000, v4
	v_fma_f32 v2, v2, v3, 1.0
	v_max_f32_e32 v11, 0x800000, v8
	s_delay_alu instid0(VALU_DEP_3) | instskip(NEXT) | instid1(VALU_DEP_3)
	v_cmp_gt_f32_e32 vcc_lo, 0x800000, v4
	v_div_scale_f32 v3, null, v2, v2, 1.0
	s_delay_alu instid0(VALU_DEP_3) | instskip(SKIP_2) | instid1(VALU_DEP_2)
	v_cmp_gt_f32_e64 s0, 0x800000, v11
	v_cndmask_b32_e64 v9, 1.0, 0x4f800000, vcc_lo
	v_cndmask_b32_e64 v13, 0, 0x411a209b, vcc_lo
	v_mul_f32_e32 v4, v4, v9
	s_delay_alu instid0(VALU_DEP_4) | instskip(NEXT) | instid1(VALU_DEP_2)
	v_cndmask_b32_e64 v9, 1.0, 0x4f800000, s0
	v_log_f32_e32 v4, v4
	s_delay_alu instid0(VALU_DEP_1) | instskip(NEXT) | instid1(VALU_DEP_1)
	v_mul_f32_e32 v9, v11, v9
	v_log_f32_e32 v9, v9
	s_waitcnt_depctr 0xfff
	v_mul_f32_e32 v11, 0x3e9a209a, v4
	v_cmp_gt_f32_e64 vcc_lo, 0x7f800000, |v4|
	s_delay_alu instid0(VALU_DEP_2) | instskip(SKIP_1) | instid1(VALU_DEP_2)
	v_fma_f32 v11, 0x3e9a209a, v4, -v11
	v_mul_f32_e32 v12, 0x3e9a209a, v9
	v_fmac_f32_e32 v11, 0x3284fbcf, v4
	s_delay_alu instid0(VALU_DEP_2) | instskip(NEXT) | instid1(VALU_DEP_2)
	v_fma_f32 v12, 0x3e9a209a, v9, -v12
	v_fmac_f32_e32 v11, 0x3e9a209a, v4
	s_delay_alu instid0(VALU_DEP_2) | instskip(NEXT) | instid1(VALU_DEP_2)
	v_fmac_f32_e32 v12, 0x3284fbcf, v9
	v_cndmask_b32_e32 v4, v4, v11, vcc_lo
	s_delay_alu instid0(VALU_DEP_2) | instskip(SKIP_2) | instid1(VALU_DEP_4)
	v_fmac_f32_e32 v12, 0x3e9a209a, v9
	v_cmp_gt_f32_e64 vcc_lo, 0x7f800000, |v9|
	v_cndmask_b32_e64 v11, 0, 0x411a209b, s0
	v_sub_f32_e32 v4, v4, v13
	v_rcp_f32_e32 v13, v3
	v_cndmask_b32_e32 v9, v9, v12, vcc_lo
	v_div_scale_f32 v17, vcc_lo, 1.0, v2, 1.0
	s_delay_alu instid0(VALU_DEP_2) | instskip(SKIP_4) | instid1(VALU_DEP_2)
	v_dual_fmaak_f32 v12, s4, v4, 0x3ecccccd :: v_dual_sub_f32 v9, v9, v11
	v_fmaak_f32 v11, s5, v4, 0x3f400000
	s_waitcnt_depctr 0xfff
	v_fma_f32 v15, -v3, v13, 1.0
	v_sub_f32_e32 v9, v9, v12
	v_fmac_f32_e32 v13, v15, v13
	s_delay_alu instid0(VALU_DEP_2) | instskip(NEXT) | instid1(VALU_DEP_1)
	v_fmac_f32_e32 v11, 0xbe0f5c29, v9
	v_div_scale_f32 v12, null, v11, v11, 1.0
	v_div_scale_f32 v15, s0, 1.0, v11, 1.0
	s_delay_alu instid0(VALU_DEP_2) | instskip(SKIP_2) | instid1(VALU_DEP_1)
	v_rcp_f32_e32 v14, v12
	s_waitcnt_depctr 0xfff
	v_fma_f32 v16, -v12, v14, 1.0
	v_fmac_f32_e32 v14, v16, v14
	v_mul_f32_e32 v16, v17, v13
	s_delay_alu instid0(VALU_DEP_2) | instskip(NEXT) | instid1(VALU_DEP_2)
	v_mul_f32_e32 v18, v15, v14
	v_fma_f32 v19, -v3, v16, v17
	s_delay_alu instid0(VALU_DEP_2) | instskip(NEXT) | instid1(VALU_DEP_2)
	v_fma_f32 v20, -v12, v18, v15
	v_fmac_f32_e32 v16, v19, v13
	s_delay_alu instid0(VALU_DEP_2) | instskip(NEXT) | instid1(VALU_DEP_2)
	v_fmac_f32_e32 v18, v20, v14
	v_fma_f32 v3, -v3, v16, v17
	s_delay_alu instid0(VALU_DEP_2) | instskip(NEXT) | instid1(VALU_DEP_2)
	v_fma_f32 v12, -v12, v18, v15
	v_div_fmas_f32 v3, v3, v13, v16
	s_mov_b32 vcc_lo, s0
	s_delay_alu instid0(VALU_DEP_2) | instskip(NEXT) | instid1(VALU_DEP_2)
	v_div_fmas_f32 v12, v12, v14, v18
	v_div_fixup_f32 v2, v3, v2, 1.0
	s_delay_alu instid0(VALU_DEP_2) | instskip(NEXT) | instid1(VALU_DEP_1)
	v_div_fixup_f32 v11, v12, v11, 1.0
	v_dual_mul_f32 v2, v8, v2 :: v_dual_mul_f32 v9, v9, v11
	s_delay_alu instid0(VALU_DEP_1) | instskip(NEXT) | instid1(VALU_DEP_1)
	v_fma_f32 v9, v9, v9, 1.0
	v_div_scale_f32 v11, null, v9, v9, 1.0
	v_div_scale_f32 v14, vcc_lo, 1.0, v9, 1.0
	s_delay_alu instid0(VALU_DEP_2) | instskip(SKIP_2) | instid1(VALU_DEP_1)
	v_rcp_f32_e32 v12, v11
	s_waitcnt_depctr 0xfff
	v_fma_f32 v13, -v11, v12, 1.0
	v_fmac_f32_e32 v12, v13, v12
	s_delay_alu instid0(VALU_DEP_1) | instskip(NEXT) | instid1(VALU_DEP_1)
	v_mul_f32_e32 v13, v14, v12
	v_fma_f32 v15, -v11, v13, v14
	s_delay_alu instid0(VALU_DEP_1) | instskip(NEXT) | instid1(VALU_DEP_1)
	v_fmac_f32_e32 v13, v15, v12
	v_fma_f32 v11, -v11, v13, v14
	s_delay_alu instid0(VALU_DEP_1) | instskip(NEXT) | instid1(VALU_DEP_1)
	v_div_fmas_f32 v11, v11, v12, v13
	v_div_fixup_f32 v9, v11, v9, 1.0
	s_delay_alu instid0(VALU_DEP_1) | instskip(NEXT) | instid1(VALU_DEP_1)
	v_mul_f32_e32 v4, v4, v9
	v_mul_f32_e32 v9, 0x40549a78, v4
	v_cmp_ngt_f32_e32 vcc_lo, 0xc23369f4, v4
	s_delay_alu instid0(VALU_DEP_2) | instskip(SKIP_1) | instid1(VALU_DEP_2)
	v_fma_f32 v11, 0x40549a78, v4, -v9
	v_rndne_f32_e32 v12, v9
	v_fmac_f32_e32 v11, 0x33979a37, v4
	s_delay_alu instid0(VALU_DEP_2) | instskip(NEXT) | instid1(VALU_DEP_1)
	v_sub_f32_e32 v9, v9, v12
	v_add_f32_e32 v9, v11, v9
	v_cvt_i32_f32_e32 v11, v12
	s_delay_alu instid0(VALU_DEP_2) | instskip(SKIP_2) | instid1(VALU_DEP_1)
	v_exp_f32_e32 v9, v9
	s_waitcnt_depctr 0xfff
	v_ldexp_f32 v9, v9, v11
	v_cndmask_b32_e32 v3, 0, v9, vcc_lo
	v_cmp_nlt_f32_e32 vcc_lo, 0x421a209b, v4
	s_delay_alu instid0(VALU_DEP_2) | instskip(NEXT) | instid1(VALU_DEP_1)
	v_cndmask_b32_e32 v3, 0x7f800000, v3, vcc_lo
	v_mul_f32_e32 v2, v2, v3
	s_delay_alu instid0(VALU_DEP_1)
	v_mul_f32_e32 v3, v10, v2
	s_waitcnt vmcnt(0)
	v_mul_f32_e32 v2, v7, v2
	global_store_b32 v[5:6], v3, off
	global_store_b32 v[0:1], v2, off
	s_nop 0
	s_sendmsg sendmsg(MSG_DEALLOC_VGPRS)
	s_endpgm
	.section	.rodata,"a",@progbits
	.p2align	6, 0x0
	.amdhsa_kernel _Z12ratxb_kernelIfEvPKT_S2_PS0_S3_S2_S0_
		.amdhsa_group_segment_fixed_size 0
		.amdhsa_private_segment_fixed_size 0
		.amdhsa_kernarg_size 304
		.amdhsa_user_sgpr_count 15
		.amdhsa_user_sgpr_dispatch_ptr 0
		.amdhsa_user_sgpr_queue_ptr 0
		.amdhsa_user_sgpr_kernarg_segment_ptr 1
		.amdhsa_user_sgpr_dispatch_id 0
		.amdhsa_user_sgpr_private_segment_size 0
		.amdhsa_wavefront_size32 1
		.amdhsa_uses_dynamic_stack 0
		.amdhsa_enable_private_segment 0
		.amdhsa_system_sgpr_workgroup_id_x 1
		.amdhsa_system_sgpr_workgroup_id_y 0
		.amdhsa_system_sgpr_workgroup_id_z 0
		.amdhsa_system_sgpr_workgroup_info 0
		.amdhsa_system_vgpr_workitem_id 0
		.amdhsa_next_free_vgpr 72
		.amdhsa_next_free_sgpr 16
		.amdhsa_reserve_vcc 1
		.amdhsa_float_round_mode_32 0
		.amdhsa_float_round_mode_16_64 0
		.amdhsa_float_denorm_mode_32 3
		.amdhsa_float_denorm_mode_16_64 3
		.amdhsa_dx10_clamp 1
		.amdhsa_ieee_mode 1
		.amdhsa_fp16_overflow 0
		.amdhsa_workgroup_processor_mode 1
		.amdhsa_memory_ordered 1
		.amdhsa_forward_progress 0
		.amdhsa_shared_vgpr_count 0
		.amdhsa_exception_fp_ieee_invalid_op 0
		.amdhsa_exception_fp_denorm_src 0
		.amdhsa_exception_fp_ieee_div_zero 0
		.amdhsa_exception_fp_ieee_overflow 0
		.amdhsa_exception_fp_ieee_underflow 0
		.amdhsa_exception_fp_ieee_inexact 0
		.amdhsa_exception_int_div_zero 0
	.end_amdhsa_kernel
	.section	.text._Z12ratxb_kernelIfEvPKT_S2_PS0_S3_S2_S0_,"axG",@progbits,_Z12ratxb_kernelIfEvPKT_S2_PS0_S3_S2_S0_,comdat
.Lfunc_end13:
	.size	_Z12ratxb_kernelIfEvPKT_S2_PS0_S3_S2_S0_, .Lfunc_end13-_Z12ratxb_kernelIfEvPKT_S2_PS0_S3_S2_S0_
                                        ; -- End function
	.section	.AMDGPU.csdata,"",@progbits
; Kernel info:
; codeLenInByte = 14104
; NumSgprs: 18
; NumVgprs: 72
; ScratchSize: 0
; MemoryBound: 0
; FloatMode: 240
; IeeeMode: 1
; LDSByteSize: 0 bytes/workgroup (compile time only)
; SGPRBlocks: 2
; VGPRBlocks: 8
; NumSGPRsForWavesPerEU: 18
; NumVGPRsForWavesPerEU: 72
; Occupancy: 16
; WaveLimiterHint : 0
; COMPUTE_PGM_RSRC2:SCRATCH_EN: 0
; COMPUTE_PGM_RSRC2:USER_SGPR: 15
; COMPUTE_PGM_RSRC2:TRAP_HANDLER: 0
; COMPUTE_PGM_RSRC2:TGID_X_EN: 1
; COMPUTE_PGM_RSRC2:TGID_Y_EN: 0
; COMPUTE_PGM_RSRC2:TGID_Z_EN: 0
; COMPUTE_PGM_RSRC2:TIDIG_COMP_CNT: 0
	.section	.text._Z12ratx2_kernelIfEvPKT_PS0_S3_,"axG",@progbits,_Z12ratx2_kernelIfEvPKT_PS0_S3_,comdat
	.protected	_Z12ratx2_kernelIfEvPKT_PS0_S3_ ; -- Begin function _Z12ratx2_kernelIfEvPKT_PS0_S3_
	.globl	_Z12ratx2_kernelIfEvPKT_PS0_S3_
	.p2align	8
	.type	_Z12ratx2_kernelIfEvPKT_PS0_S3_,@function
_Z12ratx2_kernelIfEvPKT_PS0_S3_:        ; @_Z12ratx2_kernelIfEvPKT_PS0_S3_
; %bb.0:
	s_clause 0x2
	s_load_b128 s[4:7], s[0:1], 0x0
	s_load_b32 s2, s[0:1], 0x18
	s_load_b32 s0, s[0:1], 0x24
	s_waitcnt lgkmcnt(0)
	s_and_b32 s0, s0, 0xffff
	s_delay_alu instid0(SALU_CYCLE_1) | instskip(SKIP_3) | instid1(VALU_DEP_1)
	v_mad_u64_u32 v[1:2], null, s15, s0, v[0:1]
	s_mul_i32 s0, s2, s0
	v_mov_b32_e32 v2, 0
	s_lshl_b32 s1, s0, 1
	v_dual_mov_b32 v8, v2 :: v_dual_add_nc_u32 v7, s0, v1
	v_lshlrev_b64 v[3:4], 2, v[1:2]
	v_add_nc_u32_e32 v1, s1, v1
	s_delay_alu instid0(VALU_DEP_3) | instskip(NEXT) | instid1(VALU_DEP_3)
	v_lshlrev_b64 v[8:9], 2, v[7:8]
	v_add_co_u32 v5, vcc_lo, s6, v3
	s_delay_alu instid0(VALU_DEP_4) | instskip(NEXT) | instid1(VALU_DEP_3)
	v_add_co_ci_u32_e32 v6, vcc_lo, s7, v4, vcc_lo
	v_add_co_u32 v10, vcc_lo, s4, v8
	s_delay_alu instid0(VALU_DEP_4)
	v_add_co_ci_u32_e32 v11, vcc_lo, s5, v9, vcc_lo
	global_load_b32 v0, v[5:6], off
	global_load_b32 v19, v[10:11], off
	s_waitcnt vmcnt(0)
	v_dual_mov_b32 v11, v2 :: v_dual_mul_f32 v14, v0, v19
	v_add_nc_u32_e32 v10, s1, v7
	s_delay_alu instid0(VALU_DEP_1) | instskip(NEXT) | instid1(VALU_DEP_1)
	v_lshlrev_b64 v[10:11], 2, v[10:11]
	v_add_co_u32 v12, vcc_lo, s4, v10
	s_delay_alu instid0(VALU_DEP_2)
	v_add_co_ci_u32_e32 v13, vcc_lo, s5, v11, vcc_lo
	global_load_b32 v0, v[12:13], off
	s_waitcnt vmcnt(0)
	v_mul_f32_e32 v7, v14, v0
	global_store_b32 v[5:6], v7, off
	v_add_co_u32 v5, vcc_lo, s6, v8
	v_lshlrev_b64 v[7:8], 2, v[1:2]
	v_add_co_ci_u32_e32 v6, vcc_lo, s7, v9, vcc_lo
	v_add_nc_u32_e32 v1, s1, v1
	s_delay_alu instid0(VALU_DEP_3) | instskip(NEXT) | instid1(VALU_DEP_4)
	v_add_co_u32 v12, vcc_lo, s4, v7
	v_add_co_ci_u32_e32 v13, vcc_lo, s5, v8, vcc_lo
	v_add_co_u32 v3, vcc_lo, s4, v3
	global_load_b32 v9, v[5:6], off
	global_load_b32 v20, v[12:13], off
	v_add_co_ci_u32_e32 v4, vcc_lo, s5, v4, vcc_lo
	global_load_b32 v24, v[3:4], off
	s_waitcnt vmcnt(1)
	v_mul_f32_e32 v9, v9, v20
	s_waitcnt vmcnt(0)
	s_delay_alu instid0(VALU_DEP_1)
	v_mul_f32_e32 v3, v9, v24
	global_store_b32 v[5:6], v3, off
	v_lshlrev_b64 v[5:6], 2, v[1:2]
	v_add_co_u32 v3, vcc_lo, s6, v7
	v_add_co_ci_u32_e32 v4, vcc_lo, s7, v8, vcc_lo
	v_add_nc_u32_e32 v1, s0, v1
	s_delay_alu instid0(VALU_DEP_4)
	v_add_co_u32 v5, vcc_lo, s4, v5
	v_add_co_ci_u32_e32 v6, vcc_lo, s5, v6, vcc_lo
	global_load_b32 v7, v[3:4], off
	global_load_b32 v21, v[5:6], off
	s_waitcnt vmcnt(0)
	v_mul_f32_e32 v5, v7, v21
	s_delay_alu instid0(VALU_DEP_1)
	v_mul_f32_e32 v5, v24, v5
	global_store_b32 v[3:4], v5, off
	v_add_co_u32 v3, vcc_lo, s6, v10
	v_add_co_ci_u32_e32 v4, vcc_lo, s7, v11, vcc_lo
	global_load_b32 v5, v[3:4], off
	s_waitcnt vmcnt(0)
	v_mul_f32_e32 v5, v21, v5
	s_delay_alu instid0(VALU_DEP_1) | instskip(SKIP_3) | instid1(VALU_DEP_2)
	v_mul_f32_e32 v5, v21, v5
	global_store_b32 v[3:4], v5, off
	v_lshlrev_b64 v[3:4], 2, v[1:2]
	v_add_nc_u32_e32 v1, s0, v1
	v_add_co_u32 v5, vcc_lo, s6, v3
	s_delay_alu instid0(VALU_DEP_3) | instskip(SKIP_3) | instid1(VALU_DEP_1)
	v_add_co_ci_u32_e32 v6, vcc_lo, s7, v4, vcc_lo
	global_load_b32 v7, v[5:6], off
	s_waitcnt vmcnt(0)
	v_mul_f32_e32 v7, v19, v7
	v_mul_f32_e32 v7, v19, v7
	s_delay_alu instid0(VALU_DEP_1) | instskip(SKIP_3) | instid1(VALU_DEP_2)
	v_mul_f32_e32 v7, v24, v7
	global_store_b32 v[5:6], v7, off
	v_lshlrev_b64 v[5:6], 2, v[1:2]
	v_add_nc_u32_e32 v1, s0, v1
	v_add_co_u32 v7, vcc_lo, s6, v5
	s_delay_alu instid0(VALU_DEP_3)
	v_add_co_ci_u32_e32 v8, vcc_lo, s7, v6, vcc_lo
	v_add_co_u32 v3, vcc_lo, s4, v3
	v_add_co_ci_u32_e32 v4, vcc_lo, s5, v4, vcc_lo
	global_load_b32 v9, v[7:8], off
	v_lshlrev_b64 v[28:29], 2, v[1:2]
	v_lshl_add_u32 v1, s0, 2, v1
	global_load_b32 v25, v[3:4], off
	s_waitcnt vmcnt(1)
	v_mul_f32_e32 v9, v19, v9
	s_delay_alu instid0(VALU_DEP_1) | instskip(SKIP_1) | instid1(VALU_DEP_1)
	v_mul_f32_e32 v9, v19, v9
	s_waitcnt vmcnt(0)
	v_mul_f32_e32 v3, v25, v9
	global_store_b32 v[7:8], v3, off
	v_add_co_u32 v3, vcc_lo, s6, v28
	v_add_co_ci_u32_e32 v4, vcc_lo, s7, v29, vcc_lo
	global_load_b32 v7, v[3:4], off
	s_waitcnt vmcnt(0)
	v_mul_f32_e32 v7, v19, v7
	s_delay_alu instid0(VALU_DEP_1) | instskip(SKIP_1) | instid1(VALU_DEP_1)
	v_mul_f32_e32 v9, v19, v7
	v_lshlrev_b64 v[7:8], 2, v[1:2]
	v_add_co_u32 v7, vcc_lo, s4, v7
	s_delay_alu instid0(VALU_DEP_2) | instskip(SKIP_2) | instid1(VALU_DEP_1)
	v_add_co_ci_u32_e32 v8, vcc_lo, s5, v8, vcc_lo
	global_load_b32 v26, v[7:8], off
	v_add_nc_u32_e32 v1, s0, v1
	v_lshlrev_b64 v[17:18], 2, v[1:2]
	v_add_nc_u32_e32 v1, s0, v1
	s_delay_alu instid0(VALU_DEP_1) | instskip(SKIP_3) | instid1(VALU_DEP_2)
	v_lshlrev_b64 v[13:14], 2, v[1:2]
	v_add_nc_u32_e32 v1, s0, v1
	s_waitcnt vmcnt(0)
	v_mul_f32_e32 v7, v26, v9
	v_lshlrev_b64 v[9:10], 2, v[1:2]
	global_store_b32 v[3:4], v7, off
	v_add_co_u32 v3, vcc_lo, s6, v17
	v_add_co_ci_u32_e32 v4, vcc_lo, s7, v18, vcc_lo
	global_load_b32 v7, v[3:4], off
	s_waitcnt vmcnt(0)
	v_mul_f32_e32 v7, v19, v7
	s_delay_alu instid0(VALU_DEP_1) | instskip(NEXT) | instid1(VALU_DEP_1)
	v_mul_f32_e32 v7, v0, v7
	v_mul_f32_e32 v7, v0, v7
	global_store_b32 v[3:4], v7, off
	v_add_co_u32 v3, vcc_lo, s6, v13
	v_add_co_ci_u32_e32 v4, vcc_lo, s7, v14, vcc_lo
	global_load_b32 v7, v[3:4], off
	s_waitcnt vmcnt(0)
	v_mul_f32_e32 v7, v19, v7
	s_delay_alu instid0(VALU_DEP_1) | instskip(NEXT) | instid1(VALU_DEP_1)
	v_mul_f32_e32 v7, v0, v7
	v_mul_f32_e32 v7, v25, v7
	global_store_b32 v[3:4], v7, off
	v_add_co_u32 v3, vcc_lo, s6, v9
	v_add_co_ci_u32_e32 v4, vcc_lo, s7, v10, vcc_lo
	global_load_b32 v7, v[3:4], off
	s_waitcnt vmcnt(0)
	v_mul_f32_e32 v7, v19, v7
	s_delay_alu instid0(VALU_DEP_1) | instskip(SKIP_2) | instid1(VALU_DEP_1)
	v_mul_f32_e32 v15, v0, v7
	v_mad_u64_u32 v[7:8], null, s0, 7, v[1:2]
	v_mov_b32_e32 v8, v2
	v_lshlrev_b64 v[30:31], 2, v[7:8]
	s_delay_alu instid0(VALU_DEP_1) | instskip(NEXT) | instid1(VALU_DEP_2)
	v_add_co_u32 v11, vcc_lo, s4, v30
	v_add_co_ci_u32_e32 v12, vcc_lo, s5, v31, vcc_lo
	global_load_b32 v27, v[11:12], off
	s_waitcnt vmcnt(0)
	v_mul_f32_e32 v1, v27, v15
	global_store_b32 v[3:4], v1, off
	v_mad_u64_u32 v[3:4], null, s0, -6, v[7:8]
	v_mov_b32_e32 v4, v2
	s_delay_alu instid0(VALU_DEP_1) | instskip(NEXT) | instid1(VALU_DEP_1)
	v_lshlrev_b64 v[7:8], 2, v[3:4]
	v_add_co_u32 v11, vcc_lo, s6, v7
	s_delay_alu instid0(VALU_DEP_2) | instskip(SKIP_3) | instid1(VALU_DEP_1)
	v_add_co_ci_u32_e32 v12, vcc_lo, s7, v8, vcc_lo
	global_load_b32 v1, v[11:12], off
	s_waitcnt vmcnt(0)
	v_mul_f32_e32 v1, v21, v1
	v_mul_f32_e32 v1, v21, v1
	global_store_b32 v[11:12], v1, off
	v_add_nc_u32_e32 v1, s0, v3
	s_delay_alu instid0(VALU_DEP_1) | instskip(SKIP_1) | instid1(VALU_DEP_2)
	v_lshlrev_b64 v[15:16], 2, v[1:2]
	v_add_nc_u32_e32 v1, s0, v1
	v_add_co_u32 v3, vcc_lo, s6, v15
	s_delay_alu instid0(VALU_DEP_3)
	v_add_co_ci_u32_e32 v4, vcc_lo, s7, v16, vcc_lo
	v_add_co_u32 v5, vcc_lo, s4, v5
	v_add_co_ci_u32_e32 v6, vcc_lo, s5, v6, vcc_lo
	global_load_b32 v11, v[3:4], off
	global_load_b32 v22, v[5:6], off
	s_waitcnt vmcnt(0)
	v_mul_f32_e32 v5, v11, v22
	v_lshlrev_b64 v[11:12], 2, v[1:2]
	v_add_nc_u32_e32 v1, s0, v1
	s_delay_alu instid0(VALU_DEP_3)
	v_mul_f32_e32 v5, v19, v5
	global_store_b32 v[3:4], v5, off
	v_add_co_u32 v3, vcc_lo, s6, v11
	v_add_co_ci_u32_e32 v4, vcc_lo, s7, v12, vcc_lo
	global_load_b32 v5, v[3:4], off
	s_waitcnt vmcnt(0)
	v_mul_f32_e32 v5, v22, v5
	s_delay_alu instid0(VALU_DEP_1) | instskip(SKIP_3) | instid1(VALU_DEP_2)
	v_mul_f32_e32 v5, v19, v5
	global_store_b32 v[3:4], v5, off
	v_lshlrev_b64 v[3:4], 2, v[1:2]
	v_add_nc_u32_e32 v1, s0, v1
	v_add_co_u32 v3, vcc_lo, s6, v3
	s_delay_alu instid0(VALU_DEP_3) | instskip(SKIP_3) | instid1(VALU_DEP_1)
	v_add_co_ci_u32_e32 v4, vcc_lo, s7, v4, vcc_lo
	global_load_b32 v5, v[3:4], off
	s_waitcnt vmcnt(0)
	v_mul_f32_e32 v5, v22, v5
	v_mul_f32_e32 v5, v19, v5
	global_store_b32 v[3:4], v5, off
	v_lshlrev_b64 v[5:6], 2, v[1:2]
	v_add_nc_u32_e32 v1, s0, v1
	s_delay_alu instid0(VALU_DEP_2) | instskip(NEXT) | instid1(VALU_DEP_3)
	v_add_co_u32 v3, vcc_lo, s6, v5
	v_add_co_ci_u32_e32 v4, vcc_lo, s7, v6, vcc_lo
	global_load_b32 v23, v[3:4], off
	s_waitcnt vmcnt(0)
	v_mul_f32_e32 v23, v22, v23
	s_delay_alu instid0(VALU_DEP_1) | instskip(SKIP_3) | instid1(VALU_DEP_2)
	v_mul_f32_e32 v23, v20, v23
	global_store_b32 v[3:4], v23, off
	v_lshlrev_b64 v[3:4], 2, v[1:2]
	v_add_nc_u32_e32 v1, s1, v1
	v_add_co_u32 v32, vcc_lo, s6, v3
	s_delay_alu instid0(VALU_DEP_3)
	v_add_co_ci_u32_e32 v33, vcc_lo, s7, v4, vcc_lo
	v_add_co_u32 v30, vcc_lo, s6, v30
	v_add_co_ci_u32_e32 v31, vcc_lo, s7, v31, vcc_lo
	global_load_b32 v23, v[32:33], off
	s_waitcnt vmcnt(0)
	v_mul_f32_e32 v23, v22, v23
	s_delay_alu instid0(VALU_DEP_1) | instskip(SKIP_4) | instid1(VALU_DEP_1)
	v_mul_f32_e32 v23, v21, v23
	global_store_b32 v[32:33], v23, off
	global_load_b32 v23, v[30:31], off
	s_waitcnt vmcnt(0)
	v_mul_f32_e32 v23, v22, v23
	v_mul_f32_e32 v23, v22, v23
	global_store_b32 v[30:31], v23, off
	v_lshlrev_b64 v[30:31], 2, v[1:2]
	v_add_nc_u32_e32 v1, s0, v1
	s_delay_alu instid0(VALU_DEP_2) | instskip(NEXT) | instid1(VALU_DEP_3)
	v_add_co_u32 v30, vcc_lo, s6, v30
	v_add_co_ci_u32_e32 v31, vcc_lo, s7, v31, vcc_lo
	global_load_b32 v23, v[30:31], off
	s_waitcnt vmcnt(0)
	v_mul_f32_e32 v23, v22, v23
	s_delay_alu instid0(VALU_DEP_1) | instskip(SKIP_3) | instid1(VALU_DEP_2)
	v_mul_f32_e32 v23, v22, v23
	global_store_b32 v[30:31], v23, off
	v_lshlrev_b64 v[30:31], 2, v[1:2]
	v_add_nc_u32_e32 v1, s0, v1
	v_add_co_u32 v30, vcc_lo, s6, v30
	s_delay_alu instid0(VALU_DEP_3)
	v_add_co_ci_u32_e32 v31, vcc_lo, s7, v31, vcc_lo
	v_add_co_u32 v28, vcc_lo, s4, v28
	v_add_co_ci_u32_e32 v29, vcc_lo, s5, v29, vcc_lo
	global_load_b32 v32, v[30:31], off
	global_load_b32 v23, v[28:29], off
	s_waitcnt vmcnt(0)
	v_mul_f32_e32 v28, v32, v23
	s_delay_alu instid0(VALU_DEP_1) | instskip(SKIP_3) | instid1(VALU_DEP_2)
	v_mul_f32_e32 v28, v19, v28
	global_store_b32 v[30:31], v28, off
	v_lshlrev_b64 v[28:29], 2, v[1:2]
	v_add_nc_u32_e32 v1, s0, v1
	v_add_co_u32 v28, vcc_lo, s6, v28
	s_delay_alu instid0(VALU_DEP_3) | instskip(SKIP_3) | instid1(VALU_DEP_1)
	v_add_co_ci_u32_e32 v29, vcc_lo, s7, v29, vcc_lo
	global_load_b32 v30, v[28:29], off
	s_waitcnt vmcnt(0)
	v_mul_f32_e32 v30, v23, v30
	v_mul_f32_e32 v30, v19, v30
	global_store_b32 v[28:29], v30, off
	v_lshlrev_b64 v[28:29], 2, v[1:2]
	v_add_nc_u32_e32 v1, s0, v1
	s_delay_alu instid0(VALU_DEP_2) | instskip(NEXT) | instid1(VALU_DEP_3)
	v_add_co_u32 v28, vcc_lo, s6, v28
	v_add_co_ci_u32_e32 v29, vcc_lo, s7, v29, vcc_lo
	global_load_b32 v30, v[28:29], off
	s_waitcnt vmcnt(0)
	v_mul_f32_e32 v30, v23, v30
	s_delay_alu instid0(VALU_DEP_1) | instskip(SKIP_3) | instid1(VALU_DEP_2)
	v_mul_f32_e32 v30, v20, v30
	global_store_b32 v[28:29], v30, off
	v_lshlrev_b64 v[28:29], 2, v[1:2]
	v_add_nc_u32_e32 v1, s0, v1
	v_add_co_u32 v28, vcc_lo, s6, v28
	s_delay_alu instid0(VALU_DEP_3) | instskip(SKIP_3) | instid1(VALU_DEP_1)
	v_add_co_ci_u32_e32 v29, vcc_lo, s7, v29, vcc_lo
	global_load_b32 v30, v[28:29], off
	s_waitcnt vmcnt(0)
	v_mul_f32_e32 v30, v23, v30
	v_mul_f32_e32 v30, v21, v30
	global_store_b32 v[28:29], v30, off
	v_lshlrev_b64 v[28:29], 2, v[1:2]
	v_add_nc_u32_e32 v1, s1, v1
	s_delay_alu instid0(VALU_DEP_2) | instskip(NEXT) | instid1(VALU_DEP_3)
	v_add_co_u32 v28, vcc_lo, s6, v28
	v_add_co_ci_u32_e32 v29, vcc_lo, s7, v29, vcc_lo
	s_delay_alu instid0(VALU_DEP_3) | instskip(SKIP_4) | instid1(VALU_DEP_1)
	v_mad_u64_u32 v[32:33], null, 0xffffffed, s0, v[1:2]
	v_mov_b32_e32 v33, v2
	global_load_b32 v30, v[28:29], off
	s_waitcnt vmcnt(0)
	v_mul_f32_e32 v30, v23, v30
	v_mul_f32_e32 v30, v21, v30
	global_store_b32 v[28:29], v30, off
	v_lshlrev_b64 v[28:29], 2, v[1:2]
	s_delay_alu instid0(VALU_DEP_1) | instskip(NEXT) | instid1(VALU_DEP_2)
	v_add_co_u32 v30, vcc_lo, s6, v28
	v_add_co_ci_u32_e32 v31, vcc_lo, s7, v29, vcc_lo
	v_lshlrev_b64 v[28:29], 2, v[32:33]
	global_load_b32 v34, v[30:31], off
	v_add_co_u32 v28, vcc_lo, s4, v28
	v_add_co_ci_u32_e32 v29, vcc_lo, s5, v29, vcc_lo
	global_load_b32 v28, v[28:29], off
	s_waitcnt vmcnt(0)
	v_mul_f32_e32 v1, v34, v28
	s_delay_alu instid0(VALU_DEP_1) | instskip(SKIP_3) | instid1(VALU_DEP_1)
	v_mul_f32_e32 v1, v21, v1
	global_store_b32 v[30:31], v1, off
	v_mad_u64_u32 v[29:30], null, s0, 20, v[32:33]
	v_mov_b32_e32 v30, v2
	v_lshlrev_b64 v[30:31], 2, v[29:30]
	s_delay_alu instid0(VALU_DEP_1) | instskip(NEXT) | instid1(VALU_DEP_2)
	v_add_co_u32 v30, vcc_lo, s6, v30
	v_add_co_ci_u32_e32 v31, vcc_lo, s7, v31, vcc_lo
	global_load_b32 v1, v[30:31], off
	s_waitcnt vmcnt(0)
	v_mul_f32_e32 v1, v28, v1
	s_delay_alu instid0(VALU_DEP_1) | instskip(SKIP_2) | instid1(VALU_DEP_1)
	v_mul_f32_e32 v1, v24, v1
	global_store_b32 v[30:31], v1, off
	v_add_nc_u32_e32 v1, s0, v29
	v_lshlrev_b64 v[29:30], 2, v[1:2]
	v_add_nc_u32_e32 v1, s0, v1
	s_delay_alu instid0(VALU_DEP_2) | instskip(NEXT) | instid1(VALU_DEP_3)
	v_add_co_u32 v29, vcc_lo, s6, v29
	v_add_co_ci_u32_e32 v30, vcc_lo, s7, v30, vcc_lo
	global_load_b32 v31, v[29:30], off
	s_waitcnt vmcnt(0)
	v_mul_f32_e32 v31, v28, v31
	s_delay_alu instid0(VALU_DEP_1) | instskip(SKIP_3) | instid1(VALU_DEP_2)
	v_mul_f32_e32 v31, v0, v31
	global_store_b32 v[29:30], v31, off
	v_lshlrev_b64 v[29:30], 2, v[1:2]
	v_add_nc_u32_e32 v1, s0, v1
	v_add_co_u32 v29, vcc_lo, s6, v29
	s_delay_alu instid0(VALU_DEP_3) | instskip(SKIP_3) | instid1(VALU_DEP_1)
	v_add_co_ci_u32_e32 v30, vcc_lo, s7, v30, vcc_lo
	global_load_b32 v31, v[29:30], off
	s_waitcnt vmcnt(0)
	v_mul_f32_e32 v31, v28, v31
	v_mul_f32_e32 v31, v22, v31
	global_store_b32 v[29:30], v31, off
	v_lshlrev_b64 v[29:30], 2, v[1:2]
	v_add_nc_u32_e32 v1, s0, v1
	s_delay_alu instid0(VALU_DEP_2) | instskip(NEXT) | instid1(VALU_DEP_3)
	v_add_co_u32 v29, vcc_lo, s6, v29
	v_add_co_ci_u32_e32 v30, vcc_lo, s7, v30, vcc_lo
	global_load_b32 v31, v[29:30], off
	s_waitcnt vmcnt(0)
	v_mul_f32_e32 v31, v20, v31
	global_store_b32 v[29:30], v31, off
	v_lshlrev_b64 v[29:30], 2, v[1:2]
	v_add_nc_u32_e32 v1, s0, v1
	s_delay_alu instid0(VALU_DEP_2) | instskip(NEXT) | instid1(VALU_DEP_3)
	v_add_co_u32 v29, vcc_lo, s6, v29
	v_add_co_ci_u32_e32 v30, vcc_lo, s7, v30, vcc_lo
	global_load_b32 v31, v[29:30], off
	s_waitcnt vmcnt(0)
	;; [unrolled: 9-line block ×21, first 2 shown]
	v_mul_f32_e32 v31, v22, v31
	global_store_b32 v[29:30], v31, off
	v_lshlrev_b64 v[29:30], 2, v[1:2]
	s_delay_alu instid0(VALU_DEP_1) | instskip(NEXT) | instid1(VALU_DEP_2)
	v_add_co_u32 v29, vcc_lo, s6, v29
	v_add_co_ci_u32_e32 v30, vcc_lo, s7, v30, vcc_lo
	global_load_b32 v31, v[29:30], off
	s_waitcnt vmcnt(0)
	v_mul_f32_e32 v31, v28, v31
	global_store_b32 v[29:30], v31, off
	v_mad_u64_u32 v[29:30], null, s0, 3, v[1:2]
	v_mov_b32_e32 v30, v2
	s_delay_alu instid0(VALU_DEP_1) | instskip(NEXT) | instid1(VALU_DEP_1)
	v_lshlrev_b64 v[30:31], 2, v[29:30]
	v_add_co_u32 v30, vcc_lo, s6, v30
	s_delay_alu instid0(VALU_DEP_2)
	v_add_co_ci_u32_e32 v31, vcc_lo, s7, v31, vcc_lo
	global_load_b32 v1, v[30:31], off
	s_waitcnt vmcnt(0)
	v_mul_f32_e32 v1, v27, v1
	global_store_b32 v[30:31], v1, off
	v_add_nc_u32_e32 v1, s0, v29
	s_delay_alu instid0(VALU_DEP_1) | instskip(SKIP_1) | instid1(VALU_DEP_2)
	v_lshlrev_b64 v[29:30], 2, v[1:2]
	v_add_nc_u32_e32 v1, s0, v1
	v_add_co_u32 v29, vcc_lo, s6, v29
	s_delay_alu instid0(VALU_DEP_3)
	v_add_co_ci_u32_e32 v30, vcc_lo, s7, v30, vcc_lo
	global_load_b32 v27, v[29:30], off
	s_waitcnt vmcnt(0)
	v_mul_f32_e32 v27, v19, v27
	global_store_b32 v[29:30], v27, off
	v_lshlrev_b64 v[29:30], 2, v[1:2]
	v_add_nc_u32_e32 v1, s0, v1
	s_delay_alu instid0(VALU_DEP_2) | instskip(NEXT) | instid1(VALU_DEP_3)
	v_add_co_u32 v29, vcc_lo, s6, v29
	v_add_co_ci_u32_e32 v30, vcc_lo, s7, v30, vcc_lo
	global_load_b32 v27, v[29:30], off
	s_waitcnt vmcnt(0)
	v_mul_f32_e32 v27, v20, v27
	global_store_b32 v[29:30], v27, off
	v_lshlrev_b64 v[29:30], 2, v[1:2]
	v_add_nc_u32_e32 v1, s0, v1
	s_delay_alu instid0(VALU_DEP_2) | instskip(NEXT) | instid1(VALU_DEP_3)
	v_add_co_u32 v29, vcc_lo, s6, v29
	;; [unrolled: 9-line block ×11, first 2 shown]
	v_add_co_ci_u32_e32 v25, vcc_lo, s7, v25, vcc_lo
	v_add_co_u32 v17, vcc_lo, s4, v17
	v_add_co_ci_u32_e32 v18, vcc_lo, s5, v18, vcc_lo
	global_load_b32 v26, v[24:25], off
	global_load_b32 v28, v[17:18], off
	s_waitcnt vmcnt(0)
	v_mul_f32_e32 v17, v26, v28
	s_delay_alu instid0(VALU_DEP_1) | instskip(SKIP_3) | instid1(VALU_DEP_2)
	v_mul_f32_e32 v17, v19, v17
	global_store_b32 v[24:25], v17, off
	v_lshlrev_b64 v[17:18], 2, v[1:2]
	v_add_nc_u32_e32 v1, s0, v1
	v_add_co_u32 v17, vcc_lo, s6, v17
	s_delay_alu instid0(VALU_DEP_3) | instskip(SKIP_3) | instid1(VALU_DEP_1)
	v_add_co_ci_u32_e32 v18, vcc_lo, s7, v18, vcc_lo
	global_load_b32 v24, v[17:18], off
	s_waitcnt vmcnt(0)
	v_mul_f32_e32 v24, v28, v24
	v_mul_f32_e32 v24, v19, v24
	global_store_b32 v[17:18], v24, off
	v_lshlrev_b64 v[17:18], 2, v[1:2]
	v_add_nc_u32_e32 v1, s0, v1
	s_delay_alu instid0(VALU_DEP_2) | instskip(NEXT) | instid1(VALU_DEP_3)
	v_add_co_u32 v17, vcc_lo, s6, v17
	v_add_co_ci_u32_e32 v18, vcc_lo, s7, v18, vcc_lo
	global_load_b32 v24, v[17:18], off
	s_waitcnt vmcnt(0)
	v_mul_f32_e32 v24, v28, v24
	s_delay_alu instid0(VALU_DEP_1) | instskip(SKIP_3) | instid1(VALU_DEP_2)
	v_mul_f32_e32 v24, v20, v24
	global_store_b32 v[17:18], v24, off
	v_lshlrev_b64 v[17:18], 2, v[1:2]
	v_add_nc_u32_e32 v1, s0, v1
	v_add_co_u32 v17, vcc_lo, s6, v17
	s_delay_alu instid0(VALU_DEP_3) | instskip(SKIP_3) | instid1(VALU_DEP_1)
	v_add_co_ci_u32_e32 v18, vcc_lo, s7, v18, vcc_lo
	global_load_b32 v24, v[17:18], off
	s_waitcnt vmcnt(0)
	v_mul_f32_e32 v24, v28, v24
	v_mul_f32_e32 v24, v21, v24
	global_store_b32 v[17:18], v24, off
	v_lshlrev_b64 v[17:18], 2, v[1:2]
	v_add_nc_u32_e32 v1, s0, v1
	s_delay_alu instid0(VALU_DEP_2) | instskip(NEXT) | instid1(VALU_DEP_3)
	v_add_co_u32 v17, vcc_lo, s6, v17
	v_add_co_ci_u32_e32 v18, vcc_lo, s7, v18, vcc_lo
	;; [unrolled: 21-line block ×3, first 2 shown]
	s_delay_alu instid0(VALU_DEP_3)
	v_mad_u64_u32 v[26:27], null, 0xffffffbb, s0, v[1:2]
	v_mov_b32_e32 v27, v2
	global_load_b32 v24, v[17:18], off
	s_waitcnt vmcnt(0)
	v_mul_f32_e32 v24, v28, v24
	global_store_b32 v[17:18], v24, off
	v_lshlrev_b64 v[17:18], 2, v[1:2]
	s_delay_alu instid0(VALU_DEP_1) | instskip(NEXT) | instid1(VALU_DEP_2)
	v_add_co_u32 v24, vcc_lo, s6, v17
	v_add_co_ci_u32_e32 v25, vcc_lo, s7, v18, vcc_lo
	v_lshlrev_b64 v[17:18], 2, v[26:27]
	global_load_b32 v29, v[24:25], off
	v_add_co_u32 v17, vcc_lo, s4, v17
	v_add_co_ci_u32_e32 v18, vcc_lo, s5, v18, vcc_lo
	global_load_b32 v17, v[17:18], off
	s_waitcnt vmcnt(0)
	v_mul_f32_e32 v1, v29, v17
	s_delay_alu instid0(VALU_DEP_1) | instskip(SKIP_3) | instid1(VALU_DEP_1)
	v_mul_f32_e32 v1, v19, v1
	global_store_b32 v[24:25], v1, off
	v_mad_u64_u32 v[24:25], null, 0x46, s0, v[26:27]
	v_mov_b32_e32 v25, v2
	v_lshlrev_b64 v[25:26], 2, v[24:25]
	s_delay_alu instid0(VALU_DEP_1) | instskip(NEXT) | instid1(VALU_DEP_2)
	v_add_co_u32 v25, vcc_lo, s6, v25
	v_add_co_ci_u32_e32 v26, vcc_lo, s7, v26, vcc_lo
	global_load_b32 v1, v[25:26], off
	s_waitcnt vmcnt(0)
	v_mul_f32_e32 v1, v17, v1
	s_delay_alu instid0(VALU_DEP_1) | instskip(SKIP_2) | instid1(VALU_DEP_1)
	v_mul_f32_e32 v1, v20, v1
	global_store_b32 v[25:26], v1, off
	v_add_nc_u32_e32 v1, s0, v24
	v_lshlrev_b64 v[24:25], 2, v[1:2]
	v_add_nc_u32_e32 v1, s0, v1
	s_delay_alu instid0(VALU_DEP_2) | instskip(NEXT) | instid1(VALU_DEP_3)
	v_add_co_u32 v24, vcc_lo, s6, v24
	v_add_co_ci_u32_e32 v25, vcc_lo, s7, v25, vcc_lo
	global_load_b32 v18, v[24:25], off
	s_waitcnt vmcnt(0)
	v_mul_f32_e32 v18, v17, v18
	s_delay_alu instid0(VALU_DEP_1) | instskip(SKIP_3) | instid1(VALU_DEP_2)
	v_mul_f32_e32 v18, v21, v18
	global_store_b32 v[24:25], v18, off
	v_lshlrev_b64 v[24:25], 2, v[1:2]
	v_add_nc_u32_e32 v1, s0, v1
	v_add_co_u32 v24, vcc_lo, s6, v24
	s_delay_alu instid0(VALU_DEP_3) | instskip(SKIP_3) | instid1(VALU_DEP_1)
	v_add_co_ci_u32_e32 v25, vcc_lo, s7, v25, vcc_lo
	global_load_b32 v18, v[24:25], off
	s_waitcnt vmcnt(0)
	v_mul_f32_e32 v18, v17, v18
	v_mul_f32_e32 v18, v21, v18
	global_store_b32 v[24:25], v18, off
	v_lshlrev_b64 v[24:25], 2, v[1:2]
	v_add_nc_u32_e32 v1, s0, v1
	s_delay_alu instid0(VALU_DEP_2) | instskip(NEXT) | instid1(VALU_DEP_3)
	v_add_co_u32 v24, vcc_lo, s6, v24
	v_add_co_ci_u32_e32 v25, vcc_lo, s7, v25, vcc_lo
	global_load_b32 v18, v[24:25], off
	s_waitcnt vmcnt(0)
	v_mul_f32_e32 v18, v17, v18
	s_delay_alu instid0(VALU_DEP_1) | instskip(SKIP_3) | instid1(VALU_DEP_2)
	v_mul_f32_e32 v18, v0, v18
	global_store_b32 v[24:25], v18, off
	v_lshlrev_b64 v[24:25], 2, v[1:2]
	v_add_nc_u32_e32 v1, s0, v1
	v_add_co_u32 v24, vcc_lo, s6, v24
	s_delay_alu instid0(VALU_DEP_3) | instskip(SKIP_3) | instid1(VALU_DEP_1)
	v_add_co_ci_u32_e32 v25, vcc_lo, s7, v25, vcc_lo
	global_load_b32 v18, v[24:25], off
	s_waitcnt vmcnt(0)
	v_mul_f32_e32 v18, v17, v18
	v_mul_f32_e32 v18, v0, v18
	global_store_b32 v[24:25], v18, off
	;; [unrolled: 21-line block ×3, first 2 shown]
	v_lshlrev_b64 v[24:25], 2, v[1:2]
	v_add_nc_u32_e32 v1, s0, v1
	s_delay_alu instid0(VALU_DEP_2) | instskip(NEXT) | instid1(VALU_DEP_3)
	v_add_co_u32 v24, vcc_lo, s6, v24
	v_add_co_ci_u32_e32 v25, vcc_lo, s7, v25, vcc_lo
	global_load_b32 v18, v[24:25], off
	s_waitcnt vmcnt(0)
	v_mul_f32_e32 v18, v17, v18
	s_delay_alu instid0(VALU_DEP_1) | instskip(SKIP_3) | instid1(VALU_DEP_2)
	v_mul_f32_e32 v18, v23, v18
	global_store_b32 v[24:25], v18, off
	v_lshlrev_b64 v[24:25], 2, v[1:2]
	v_add_nc_u32_e32 v1, s0, v1
	v_add_co_u32 v24, vcc_lo, s6, v24
	s_delay_alu instid0(VALU_DEP_3)
	v_add_co_ci_u32_e32 v25, vcc_lo, s7, v25, vcc_lo
	global_load_b32 v18, v[24:25], off
	s_waitcnt vmcnt(0)
	v_mul_f32_e32 v18, v17, v18
	global_store_b32 v[24:25], v18, off
	v_lshlrev_b64 v[24:25], 2, v[1:2]
	v_add_nc_u32_e32 v1, s0, v1
	s_delay_alu instid0(VALU_DEP_2) | instskip(NEXT) | instid1(VALU_DEP_3)
	v_add_co_u32 v24, vcc_lo, s6, v24
	v_add_co_ci_u32_e32 v25, vcc_lo, s7, v25, vcc_lo
	global_load_b32 v18, v[24:25], off
	s_waitcnt vmcnt(0)
	v_mul_f32_e32 v18, v17, v18
	global_store_b32 v[24:25], v18, off
	v_lshlrev_b64 v[24:25], 2, v[1:2]
	v_add_nc_u32_e32 v1, s0, v1
	s_delay_alu instid0(VALU_DEP_2) | instskip(NEXT) | instid1(VALU_DEP_3)
	v_add_co_u32 v24, vcc_lo, s6, v24
	;; [unrolled: 9-line block ×3, first 2 shown]
	v_add_co_ci_u32_e32 v25, vcc_lo, s7, v25, vcc_lo
	global_load_b32 v18, v[24:25], off
	s_waitcnt vmcnt(0)
	v_mul_f32_e32 v18, v17, v18
	s_delay_alu instid0(VALU_DEP_1) | instskip(SKIP_3) | instid1(VALU_DEP_2)
	v_mul_f32_e32 v18, v28, v18
	global_store_b32 v[24:25], v18, off
	v_lshlrev_b64 v[24:25], 2, v[1:2]
	v_add_nc_u32_e32 v1, s0, v1
	v_add_co_u32 v24, vcc_lo, s6, v24
	s_delay_alu instid0(VALU_DEP_3)
	v_add_co_ci_u32_e32 v25, vcc_lo, s7, v25, vcc_lo
	global_load_b32 v18, v[24:25], off
	s_waitcnt vmcnt(0)
	v_mul_f32_e32 v18, v17, v18
	global_store_b32 v[24:25], v18, off
	v_lshlrev_b64 v[24:25], 2, v[1:2]
	v_add_nc_u32_e32 v1, s0, v1
	s_delay_alu instid0(VALU_DEP_2) | instskip(NEXT) | instid1(VALU_DEP_3)
	v_add_co_u32 v24, vcc_lo, s6, v24
	v_add_co_ci_u32_e32 v25, vcc_lo, s7, v25, vcc_lo
	global_load_b32 v18, v[24:25], off
	s_waitcnt vmcnt(0)
	v_mul_f32_e32 v18, v17, v18
	global_store_b32 v[24:25], v18, off
	v_lshlrev_b64 v[24:25], 2, v[1:2]
	v_add_nc_u32_e32 v1, s0, v1
	s_delay_alu instid0(VALU_DEP_2) | instskip(NEXT) | instid1(VALU_DEP_3)
	v_add_co_u32 v24, vcc_lo, s6, v24
	v_add_co_ci_u32_e32 v25, vcc_lo, s7, v25, vcc_lo
	global_load_b32 v18, v[24:25], off
	s_waitcnt vmcnt(0)
	v_mul_f32_e32 v18, v17, v18
	s_delay_alu instid0(VALU_DEP_1) | instskip(SKIP_3) | instid1(VALU_DEP_2)
	v_mul_f32_e32 v18, v17, v18
	global_store_b32 v[24:25], v18, off
	v_lshlrev_b64 v[24:25], 2, v[1:2]
	v_add_nc_u32_e32 v1, s0, v1
	v_add_co_u32 v24, vcc_lo, s6, v24
	s_delay_alu instid0(VALU_DEP_3) | instskip(SKIP_3) | instid1(VALU_DEP_1)
	v_add_co_ci_u32_e32 v25, vcc_lo, s7, v25, vcc_lo
	global_load_b32 v18, v[24:25], off
	s_waitcnt vmcnt(0)
	v_mul_f32_e32 v18, v17, v18
	v_mul_f32_e32 v18, v17, v18
	global_store_b32 v[24:25], v18, off
	v_lshlrev_b64 v[24:25], 2, v[1:2]
	v_add_nc_u32_e32 v1, s0, v1
	s_delay_alu instid0(VALU_DEP_2) | instskip(NEXT) | instid1(VALU_DEP_3)
	v_add_co_u32 v24, vcc_lo, s6, v24
	v_add_co_ci_u32_e32 v25, vcc_lo, s7, v25, vcc_lo
	v_add_co_u32 v15, vcc_lo, s4, v15
	v_add_co_ci_u32_e32 v16, vcc_lo, s5, v16, vcc_lo
	global_load_b32 v18, v[24:25], off
	global_load_b32 v27, v[15:16], off
	s_waitcnt vmcnt(1)
	v_mul_f32_e32 v18, v17, v18
	s_waitcnt vmcnt(0)
	s_delay_alu instid0(VALU_DEP_1) | instskip(SKIP_3) | instid1(VALU_DEP_2)
	v_mul_f32_e32 v15, v18, v27
	global_store_b32 v[24:25], v15, off
	v_lshlrev_b64 v[15:16], 2, v[1:2]
	v_add_nc_u32_e32 v1, s0, v1
	v_add_co_u32 v15, vcc_lo, s6, v15
	s_delay_alu instid0(VALU_DEP_3)
	v_add_co_ci_u32_e32 v16, vcc_lo, s7, v16, vcc_lo
	global_load_b32 v18, v[15:16], off
	s_waitcnt vmcnt(0)
	v_mul_f32_e32 v18, v19, v18
	global_store_b32 v[15:16], v18, off
	v_lshlrev_b64 v[15:16], 2, v[1:2]
	v_add_nc_u32_e32 v1, s0, v1
	s_delay_alu instid0(VALU_DEP_2) | instskip(NEXT) | instid1(VALU_DEP_3)
	v_add_co_u32 v15, vcc_lo, s6, v15
	v_add_co_ci_u32_e32 v16, vcc_lo, s7, v16, vcc_lo
	global_load_b32 v18, v[15:16], off
	s_waitcnt vmcnt(0)
	v_mul_f32_e32 v18, v19, v18
	global_store_b32 v[15:16], v18, off
	v_lshlrev_b64 v[15:16], 2, v[1:2]
	v_add_nc_u32_e32 v1, s0, v1
	s_delay_alu instid0(VALU_DEP_2) | instskip(NEXT) | instid1(VALU_DEP_3)
	v_add_co_u32 v15, vcc_lo, s6, v15
	;; [unrolled: 9-line block ×5, first 2 shown]
	v_add_co_ci_u32_e32 v16, vcc_lo, s7, v16, vcc_lo
	s_delay_alu instid0(VALU_DEP_3)
	v_mad_u64_u32 v[24:25], null, 0xffffffa4, s0, v[1:2]
	v_mov_b32_e32 v25, v2
	global_load_b32 v18, v[15:16], off
	v_lshlrev_b64 v[25:26], 2, v[24:25]
	s_waitcnt vmcnt(0)
	v_mul_f32_e32 v18, v0, v18
	global_store_b32 v[15:16], v18, off
	v_lshlrev_b64 v[15:16], 2, v[1:2]
	s_delay_alu instid0(VALU_DEP_1) | instskip(NEXT) | instid1(VALU_DEP_2)
	v_add_co_u32 v15, vcc_lo, s6, v15
	v_add_co_ci_u32_e32 v16, vcc_lo, s7, v16, vcc_lo
	v_add_co_u32 v25, vcc_lo, s4, v25
	v_add_co_ci_u32_e32 v26, vcc_lo, s5, v26, vcc_lo
	global_load_b32 v18, v[15:16], off
	global_load_b32 v26, v[25:26], off
	s_waitcnt vmcnt(0)
	v_mul_f32_e32 v1, v18, v26
	s_delay_alu instid0(VALU_DEP_1) | instskip(SKIP_3) | instid1(VALU_DEP_1)
	v_mul_f32_e32 v1, v19, v1
	global_store_b32 v[15:16], v1, off
	v_mad_u64_u32 v[15:16], null, 0x5d, s0, v[24:25]
	v_mov_b32_e32 v16, v2
	v_lshlrev_b64 v[24:25], 2, v[15:16]
	s_delay_alu instid0(VALU_DEP_1) | instskip(NEXT) | instid1(VALU_DEP_2)
	v_add_co_u32 v24, vcc_lo, s6, v24
	v_add_co_ci_u32_e32 v25, vcc_lo, s7, v25, vcc_lo
	global_load_b32 v1, v[24:25], off
	s_waitcnt vmcnt(0)
	v_mul_f32_e32 v1, v26, v1
	s_delay_alu instid0(VALU_DEP_1) | instskip(SKIP_2) | instid1(VALU_DEP_1)
	v_mul_f32_e32 v1, v20, v1
	global_store_b32 v[24:25], v1, off
	v_add_nc_u32_e32 v1, s0, v15
	v_lshlrev_b64 v[15:16], 2, v[1:2]
	v_add_nc_u32_e32 v1, s0, v1
	s_delay_alu instid0(VALU_DEP_2) | instskip(NEXT) | instid1(VALU_DEP_3)
	v_add_co_u32 v15, vcc_lo, s6, v15
	v_add_co_ci_u32_e32 v16, vcc_lo, s7, v16, vcc_lo
	global_load_b32 v18, v[15:16], off
	s_waitcnt vmcnt(0)
	v_mul_f32_e32 v18, v26, v18
	s_delay_alu instid0(VALU_DEP_1) | instskip(SKIP_3) | instid1(VALU_DEP_2)
	v_mul_f32_e32 v18, v21, v18
	global_store_b32 v[15:16], v18, off
	v_lshlrev_b64 v[15:16], 2, v[1:2]
	v_add_nc_u32_e32 v1, s0, v1
	v_add_co_u32 v15, vcc_lo, s6, v15
	s_delay_alu instid0(VALU_DEP_3)
	v_add_co_ci_u32_e32 v16, vcc_lo, s7, v16, vcc_lo
	global_load_b32 v18, v[15:16], off
	s_waitcnt vmcnt(0)
	v_mul_f32_e32 v18, v26, v18
	global_store_b32 v[15:16], v18, off
	v_lshlrev_b64 v[15:16], 2, v[1:2]
	v_add_nc_u32_e32 v1, s0, v1
	s_delay_alu instid0(VALU_DEP_2) | instskip(NEXT) | instid1(VALU_DEP_3)
	v_add_co_u32 v15, vcc_lo, s6, v15
	v_add_co_ci_u32_e32 v16, vcc_lo, s7, v16, vcc_lo
	global_load_b32 v18, v[15:16], off
	s_waitcnt vmcnt(0)
	v_mul_f32_e32 v18, v26, v18
	global_store_b32 v[15:16], v18, off
	v_lshlrev_b64 v[15:16], 2, v[1:2]
	v_add_nc_u32_e32 v1, s0, v1
	s_delay_alu instid0(VALU_DEP_2) | instskip(NEXT) | instid1(VALU_DEP_3)
	v_add_co_u32 v15, vcc_lo, s6, v15
	;; [unrolled: 9-line block ×3, first 2 shown]
	v_add_co_ci_u32_e32 v16, vcc_lo, s7, v16, vcc_lo
	global_load_b32 v18, v[15:16], off
	s_waitcnt vmcnt(0)
	v_mul_f32_e32 v18, v27, v18
	s_delay_alu instid0(VALU_DEP_1) | instskip(SKIP_3) | instid1(VALU_DEP_2)
	v_mul_f32_e32 v18, v19, v18
	global_store_b32 v[15:16], v18, off
	v_lshlrev_b64 v[15:16], 2, v[1:2]
	v_add_nc_u32_e32 v1, s0, v1
	v_add_co_u32 v15, vcc_lo, s6, v15
	s_delay_alu instid0(VALU_DEP_3) | instskip(SKIP_3) | instid1(VALU_DEP_1)
	v_add_co_ci_u32_e32 v16, vcc_lo, s7, v16, vcc_lo
	global_load_b32 v18, v[15:16], off
	s_waitcnt vmcnt(0)
	v_mul_f32_e32 v18, v27, v18
	v_mul_f32_e32 v18, v20, v18
	global_store_b32 v[15:16], v18, off
	v_lshlrev_b64 v[15:16], 2, v[1:2]
	v_add_nc_u32_e32 v1, s0, v1
	s_delay_alu instid0(VALU_DEP_2) | instskip(NEXT) | instid1(VALU_DEP_3)
	v_add_co_u32 v15, vcc_lo, s6, v15
	v_add_co_ci_u32_e32 v16, vcc_lo, s7, v16, vcc_lo
	global_load_b32 v18, v[15:16], off
	s_waitcnt vmcnt(0)
	v_mul_f32_e32 v18, v27, v18
	s_delay_alu instid0(VALU_DEP_1) | instskip(SKIP_3) | instid1(VALU_DEP_2)
	v_mul_f32_e32 v18, v0, v18
	global_store_b32 v[15:16], v18, off
	v_lshlrev_b64 v[15:16], 2, v[1:2]
	v_add_nc_u32_e32 v1, s0, v1
	v_add_co_u32 v15, vcc_lo, s6, v15
	s_delay_alu instid0(VALU_DEP_3)
	v_add_co_ci_u32_e32 v16, vcc_lo, s7, v16, vcc_lo
	global_load_b32 v18, v[15:16], off
	s_waitcnt vmcnt(0)
	v_mul_f32_e32 v18, v27, v18
	global_store_b32 v[15:16], v18, off
	v_lshlrev_b64 v[15:16], 2, v[1:2]
	v_add_nc_u32_e32 v1, s0, v1
	s_delay_alu instid0(VALU_DEP_2) | instskip(NEXT) | instid1(VALU_DEP_3)
	v_add_co_u32 v15, vcc_lo, s6, v15
	v_add_co_ci_u32_e32 v16, vcc_lo, s7, v16, vcc_lo
	global_load_b32 v18, v[15:16], off
	s_waitcnt vmcnt(0)
	v_mul_f32_e32 v18, v27, v18
	global_store_b32 v[15:16], v18, off
	v_lshlrev_b64 v[15:16], 2, v[1:2]
	v_add_nc_u32_e32 v1, s0, v1
	s_delay_alu instid0(VALU_DEP_2) | instskip(NEXT) | instid1(VALU_DEP_3)
	v_add_co_u32 v15, vcc_lo, s6, v15
	v_add_co_ci_u32_e32 v16, vcc_lo, s7, v16, vcc_lo
	global_load_b32 v18, v[15:16], off
	s_waitcnt vmcnt(0)
	v_mul_f32_e32 v18, v27, v18
	s_delay_alu instid0(VALU_DEP_1) | instskip(SKIP_3) | instid1(VALU_DEP_2)
	v_mul_f32_e32 v18, v27, v18
	global_store_b32 v[15:16], v18, off
	v_lshlrev_b64 v[15:16], 2, v[1:2]
	v_add_nc_u32_e32 v1, s1, v1
	v_add_co_u32 v15, vcc_lo, s6, v15
	s_delay_alu instid0(VALU_DEP_3)
	v_add_co_ci_u32_e32 v16, vcc_lo, s7, v16, vcc_lo
	v_add_co_u32 v13, vcc_lo, s4, v13
	v_add_co_ci_u32_e32 v14, vcc_lo, s5, v14, vcc_lo
	global_load_b32 v18, v[15:16], off
	global_load_b32 v13, v[13:14], off
	s_waitcnt vmcnt(0)
	v_mul_f32_e32 v14, v18, v13
	global_store_b32 v[15:16], v14, off
	v_lshlrev_b64 v[14:15], 2, v[1:2]
	v_add_nc_u32_e32 v1, s0, v1
	s_delay_alu instid0(VALU_DEP_2) | instskip(NEXT) | instid1(VALU_DEP_3)
	v_add_co_u32 v14, vcc_lo, s6, v14
	v_add_co_ci_u32_e32 v15, vcc_lo, s7, v15, vcc_lo
	global_load_b32 v16, v[14:15], off
	s_waitcnt vmcnt(0)
	v_mul_f32_e32 v16, v13, v16
	s_delay_alu instid0(VALU_DEP_1) | instskip(SKIP_3) | instid1(VALU_DEP_2)
	v_mul_f32_e32 v16, v20, v16
	global_store_b32 v[14:15], v16, off
	v_lshlrev_b64 v[14:15], 2, v[1:2]
	v_add_nc_u32_e32 v1, s0, v1
	v_add_co_u32 v14, vcc_lo, s6, v14
	s_delay_alu instid0(VALU_DEP_3) | instskip(SKIP_3) | instid1(VALU_DEP_1)
	v_add_co_ci_u32_e32 v15, vcc_lo, s7, v15, vcc_lo
	global_load_b32 v16, v[14:15], off
	s_waitcnt vmcnt(0)
	v_mul_f32_e32 v16, v13, v16
	v_mul_f32_e32 v16, v20, v16
	global_store_b32 v[14:15], v16, off
	v_lshlrev_b64 v[14:15], 2, v[1:2]
	v_add_nc_u32_e32 v1, s0, v1
	s_delay_alu instid0(VALU_DEP_2) | instskip(NEXT) | instid1(VALU_DEP_3)
	v_add_co_u32 v14, vcc_lo, s6, v14
	v_add_co_ci_u32_e32 v15, vcc_lo, s7, v15, vcc_lo
	global_load_b32 v16, v[14:15], off
	s_waitcnt vmcnt(0)
	v_mul_f32_e32 v16, v13, v16
	s_delay_alu instid0(VALU_DEP_1) | instskip(SKIP_3) | instid1(VALU_DEP_2)
	v_mul_f32_e32 v16, v21, v16
	global_store_b32 v[14:15], v16, off
	v_lshlrev_b64 v[14:15], 2, v[1:2]
	v_add_nc_u32_e32 v1, s0, v1
	v_add_co_u32 v14, vcc_lo, s6, v14
	s_delay_alu instid0(VALU_DEP_3) | instskip(SKIP_3) | instid1(VALU_DEP_1)
	v_add_co_ci_u32_e32 v15, vcc_lo, s7, v15, vcc_lo
	global_load_b32 v16, v[14:15], off
	s_waitcnt vmcnt(0)
	v_mul_f32_e32 v16, v13, v16
	v_mul_f32_e32 v16, v21, v16
	global_store_b32 v[14:15], v16, off
	v_lshlrev_b64 v[14:15], 2, v[1:2]
	v_add_nc_u32_e32 v1, s1, v1
	s_delay_alu instid0(VALU_DEP_2) | instskip(NEXT) | instid1(VALU_DEP_3)
	v_add_co_u32 v14, vcc_lo, s6, v14
	v_add_co_ci_u32_e32 v15, vcc_lo, s7, v15, vcc_lo
	global_load_b32 v16, v[14:15], off
	s_waitcnt vmcnt(0)
	v_mul_f32_e32 v13, v13, v16
	global_store_b32 v[14:15], v13, off
	v_lshlrev_b64 v[13:14], 2, v[1:2]
	v_add_nc_u32_e32 v1, s0, v1
	s_delay_alu instid0(VALU_DEP_2) | instskip(NEXT) | instid1(VALU_DEP_3)
	v_add_co_u32 v13, vcc_lo, s6, v13
	v_add_co_ci_u32_e32 v14, vcc_lo, s7, v14, vcc_lo
	global_load_b32 v15, v[13:14], off
	s_waitcnt vmcnt(0)
	;; [unrolled: 9-line block ×5, first 2 shown]
	v_mul_f32_e32 v15, v0, v15
	global_store_b32 v[13:14], v15, off
	v_lshlrev_b64 v[13:14], 2, v[1:2]
	v_add_nc_u32_e32 v1, s0, v1
	s_delay_alu instid0(VALU_DEP_2) | instskip(NEXT) | instid1(VALU_DEP_3)
	v_add_co_u32 v13, vcc_lo, s6, v13
	v_add_co_ci_u32_e32 v14, vcc_lo, s7, v14, vcc_lo
	v_add_co_u32 v11, vcc_lo, s4, v11
	v_add_co_ci_u32_e32 v12, vcc_lo, s5, v12, vcc_lo
	global_load_b32 v15, v[13:14], off
	global_load_b32 v16, v[11:12], off
	s_waitcnt vmcnt(0)
	v_mul_f32_e32 v11, v15, v16
	s_delay_alu instid0(VALU_DEP_1) | instskip(SKIP_3) | instid1(VALU_DEP_2)
	v_mul_f32_e32 v11, v19, v11
	global_store_b32 v[13:14], v11, off
	v_lshlrev_b64 v[11:12], 2, v[1:2]
	v_add_nc_u32_e32 v1, s0, v1
	v_add_co_u32 v11, vcc_lo, s6, v11
	s_delay_alu instid0(VALU_DEP_3) | instskip(SKIP_3) | instid1(VALU_DEP_1)
	v_add_co_ci_u32_e32 v12, vcc_lo, s7, v12, vcc_lo
	global_load_b32 v13, v[11:12], off
	s_waitcnt vmcnt(0)
	v_mul_f32_e32 v13, v16, v13
	v_mul_f32_e32 v13, v19, v13
	global_store_b32 v[11:12], v13, off
	v_lshlrev_b64 v[11:12], 2, v[1:2]
	v_add_nc_u32_e32 v1, s0, v1
	s_delay_alu instid0(VALU_DEP_2) | instskip(NEXT) | instid1(VALU_DEP_3)
	v_add_co_u32 v11, vcc_lo, s6, v11
	v_add_co_ci_u32_e32 v12, vcc_lo, s7, v12, vcc_lo
	global_load_b32 v13, v[11:12], off
	s_waitcnt vmcnt(0)
	v_mul_f32_e32 v13, v16, v13
	s_delay_alu instid0(VALU_DEP_1) | instskip(SKIP_3) | instid1(VALU_DEP_2)
	v_mul_f32_e32 v13, v19, v13
	global_store_b32 v[11:12], v13, off
	v_lshlrev_b64 v[11:12], 2, v[1:2]
	v_add_nc_u32_e32 v1, s0, v1
	v_add_co_u32 v11, vcc_lo, s6, v11
	s_delay_alu instid0(VALU_DEP_3) | instskip(SKIP_3) | instid1(VALU_DEP_1)
	v_add_co_ci_u32_e32 v12, vcc_lo, s7, v12, vcc_lo
	global_load_b32 v13, v[11:12], off
	s_waitcnt vmcnt(0)
	v_mul_f32_e32 v13, v16, v13
	v_mul_f32_e32 v13, v20, v13
	global_store_b32 v[11:12], v13, off
	v_lshlrev_b64 v[11:12], 2, v[1:2]
	v_add_nc_u32_e32 v1, s0, v1
	s_delay_alu instid0(VALU_DEP_2) | instskip(NEXT) | instid1(VALU_DEP_3)
	v_add_co_u32 v11, vcc_lo, s6, v11
	v_add_co_ci_u32_e32 v12, vcc_lo, s7, v12, vcc_lo
	;; [unrolled: 21-line block ×3, first 2 shown]
	global_load_b32 v13, v[11:12], off
	s_waitcnt vmcnt(0)
	v_mul_f32_e32 v13, v19, v13
	global_store_b32 v[11:12], v13, off
	v_lshlrev_b64 v[11:12], 2, v[1:2]
	v_add_nc_u32_e32 v1, s0, v1
	s_delay_alu instid0(VALU_DEP_2) | instskip(NEXT) | instid1(VALU_DEP_3)
	v_add_co_u32 v11, vcc_lo, s6, v11
	v_add_co_ci_u32_e32 v12, vcc_lo, s7, v12, vcc_lo
	global_load_b32 v13, v[11:12], off
	s_waitcnt vmcnt(0)
	v_mul_f32_e32 v13, v19, v13
	global_store_b32 v[11:12], v13, off
	v_lshlrev_b64 v[11:12], 2, v[1:2]
	v_add_nc_u32_e32 v1, s0, v1
	s_delay_alu instid0(VALU_DEP_2) | instskip(NEXT) | instid1(VALU_DEP_3)
	v_add_co_u32 v11, vcc_lo, s6, v11
	v_add_co_ci_u32_e32 v12, vcc_lo, s7, v12, vcc_lo
	;; [unrolled: 9-line block ×21, first 2 shown]
	v_add_co_u32 v9, vcc_lo, s4, v9
	v_add_co_ci_u32_e32 v10, vcc_lo, s5, v10, vcc_lo
	global_load_b32 v13, v[11:12], off
	global_load_b32 v14, v[9:10], off
	s_waitcnt vmcnt(0)
	v_mul_f32_e32 v9, v13, v14
	global_store_b32 v[11:12], v9, off
	v_lshlrev_b64 v[9:10], 2, v[1:2]
	v_add_nc_u32_e32 v1, s0, v1
	s_delay_alu instid0(VALU_DEP_2) | instskip(NEXT) | instid1(VALU_DEP_3)
	v_add_co_u32 v9, vcc_lo, s6, v9
	v_add_co_ci_u32_e32 v10, vcc_lo, s7, v10, vcc_lo
	global_load_b32 v11, v[9:10], off
	s_waitcnt vmcnt(0)
	v_mul_f32_e32 v11, v14, v11
	s_delay_alu instid0(VALU_DEP_1) | instskip(SKIP_3) | instid1(VALU_DEP_2)
	v_mul_f32_e32 v11, v19, v11
	global_store_b32 v[9:10], v11, off
	v_lshlrev_b64 v[9:10], 2, v[1:2]
	v_add_nc_u32_e32 v1, s0, v1
	v_add_co_u32 v9, vcc_lo, s6, v9
	s_delay_alu instid0(VALU_DEP_3) | instskip(SKIP_3) | instid1(VALU_DEP_1)
	v_add_co_ci_u32_e32 v10, vcc_lo, s7, v10, vcc_lo
	global_load_b32 v11, v[9:10], off
	s_waitcnt vmcnt(0)
	v_mul_f32_e32 v11, v14, v11
	v_mul_f32_e32 v11, v19, v11
	global_store_b32 v[9:10], v11, off
	v_lshlrev_b64 v[9:10], 2, v[1:2]
	v_add_nc_u32_e32 v1, s0, v1
	s_delay_alu instid0(VALU_DEP_2) | instskip(NEXT) | instid1(VALU_DEP_3)
	v_add_co_u32 v9, vcc_lo, s6, v9
	v_add_co_ci_u32_e32 v10, vcc_lo, s7, v10, vcc_lo
	global_load_b32 v11, v[9:10], off
	s_waitcnt vmcnt(0)
	v_mul_f32_e32 v11, v14, v11
	s_delay_alu instid0(VALU_DEP_1) | instskip(SKIP_3) | instid1(VALU_DEP_2)
	v_mul_f32_e32 v11, v20, v11
	global_store_b32 v[9:10], v11, off
	v_lshlrev_b64 v[9:10], 2, v[1:2]
	v_add_nc_u32_e32 v1, s0, v1
	v_add_co_u32 v9, vcc_lo, s6, v9
	s_delay_alu instid0(VALU_DEP_3) | instskip(SKIP_3) | instid1(VALU_DEP_1)
	v_add_co_ci_u32_e32 v10, vcc_lo, s7, v10, vcc_lo
	global_load_b32 v11, v[9:10], off
	s_waitcnt vmcnt(0)
	v_mul_f32_e32 v11, v14, v11
	;; [unrolled: 21-line block ×4, first 2 shown]
	v_mul_f32_e32 v11, v22, v11
	global_store_b32 v[9:10], v11, off
	v_lshlrev_b64 v[9:10], 2, v[1:2]
	v_add_nc_u32_e32 v1, s0, v1
	s_delay_alu instid0(VALU_DEP_2) | instskip(NEXT) | instid1(VALU_DEP_3)
	v_add_co_u32 v9, vcc_lo, s6, v9
	v_add_co_ci_u32_e32 v10, vcc_lo, s7, v10, vcc_lo
	global_load_b32 v11, v[9:10], off
	s_waitcnt vmcnt(0)
	v_mul_f32_e32 v11, v14, v11
	global_store_b32 v[9:10], v11, off
	v_lshlrev_b64 v[9:10], 2, v[1:2]
	v_add_nc_u32_e32 v1, s0, v1
	s_delay_alu instid0(VALU_DEP_2) | instskip(NEXT) | instid1(VALU_DEP_3)
	v_add_co_u32 v9, vcc_lo, s6, v9
	v_add_co_ci_u32_e32 v10, vcc_lo, s7, v10, vcc_lo
	global_load_b32 v11, v[9:10], off
	s_waitcnt vmcnt(0)
	v_mul_f32_e32 v11, v14, v11
	global_store_b32 v[9:10], v11, off
	v_lshlrev_b64 v[9:10], 2, v[1:2]
	v_add_nc_u32_e32 v1, s0, v1
	s_delay_alu instid0(VALU_DEP_2) | instskip(NEXT) | instid1(VALU_DEP_3)
	v_add_co_u32 v9, vcc_lo, s6, v9
	v_add_co_ci_u32_e32 v10, vcc_lo, s7, v10, vcc_lo
	global_load_b32 v11, v[9:10], off
	s_waitcnt vmcnt(0)
	v_mul_f32_e32 v11, v14, v11
	global_store_b32 v[9:10], v11, off
	v_lshlrev_b64 v[9:10], 2, v[1:2]
	v_add_nc_u32_e32 v1, s0, v1
	s_delay_alu instid0(VALU_DEP_2) | instskip(NEXT) | instid1(VALU_DEP_3)
	v_add_co_u32 v9, vcc_lo, s6, v9
	v_add_co_ci_u32_e32 v10, vcc_lo, s7, v10, vcc_lo
	global_load_b32 v11, v[9:10], off
	s_waitcnt vmcnt(0)
	v_mul_f32_e32 v11, v14, v11
	global_store_b32 v[9:10], v11, off
	v_lshlrev_b64 v[9:10], 2, v[1:2]
	v_add_nc_u32_e32 v1, s0, v1
	s_delay_alu instid0(VALU_DEP_2) | instskip(NEXT) | instid1(VALU_DEP_3)
	v_add_co_u32 v9, vcc_lo, s6, v9
	v_add_co_ci_u32_e32 v10, vcc_lo, s7, v10, vcc_lo
	global_load_b32 v11, v[9:10], off
	s_waitcnt vmcnt(0)
	v_mul_f32_e32 v11, v14, v11
	s_delay_alu instid0(VALU_DEP_1) | instskip(SKIP_3) | instid1(VALU_DEP_2)
	v_mul_f32_e32 v11, v17, v11
	global_store_b32 v[9:10], v11, off
	v_lshlrev_b64 v[9:10], 2, v[1:2]
	v_add_nc_u32_e32 v1, s0, v1
	v_add_co_u32 v9, vcc_lo, s6, v9
	s_delay_alu instid0(VALU_DEP_3) | instskip(SKIP_3) | instid1(VALU_DEP_1)
	v_add_co_ci_u32_e32 v10, vcc_lo, s7, v10, vcc_lo
	global_load_b32 v11, v[9:10], off
	s_waitcnt vmcnt(0)
	v_mul_f32_e32 v11, v14, v11
	v_mul_f32_e32 v11, v17, v11
	global_store_b32 v[9:10], v11, off
	v_lshlrev_b64 v[9:10], 2, v[1:2]
	v_add_nc_u32_e32 v1, s0, v1
	s_delay_alu instid0(VALU_DEP_2) | instskip(NEXT) | instid1(VALU_DEP_3)
	v_add_co_u32 v9, vcc_lo, s6, v9
	v_add_co_ci_u32_e32 v10, vcc_lo, s7, v10, vcc_lo
	global_load_b32 v11, v[9:10], off
	s_waitcnt vmcnt(0)
	v_mul_f32_e32 v11, v19, v11
	global_store_b32 v[9:10], v11, off
	v_lshlrev_b64 v[9:10], 2, v[1:2]
	v_add_nc_u32_e32 v1, s0, v1
	s_delay_alu instid0(VALU_DEP_2) | instskip(NEXT) | instid1(VALU_DEP_3)
	v_add_co_u32 v9, vcc_lo, s6, v9
	v_add_co_ci_u32_e32 v10, vcc_lo, s7, v10, vcc_lo
	global_load_b32 v11, v[9:10], off
	s_waitcnt vmcnt(0)
	;; [unrolled: 9-line block ×9, first 2 shown]
	v_mul_f32_e32 v11, v23, v11
	global_store_b32 v[9:10], v11, off
	v_lshlrev_b64 v[9:10], 2, v[1:2]
	v_add_nc_u32_e32 v1, s0, v1
	s_delay_alu instid0(VALU_DEP_2) | instskip(NEXT) | instid1(VALU_DEP_3)
	v_add_co_u32 v9, vcc_lo, s6, v9
	v_add_co_ci_u32_e32 v10, vcc_lo, s7, v10, vcc_lo
	v_add_co_u32 v7, vcc_lo, s4, v7
	v_add_co_ci_u32_e32 v8, vcc_lo, s5, v8, vcc_lo
	global_load_b32 v11, v[9:10], off
	global_load_b32 v12, v[7:8], off
	s_waitcnt vmcnt(0)
	v_mul_f32_e32 v7, v11, v12
	s_delay_alu instid0(VALU_DEP_1) | instskip(SKIP_3) | instid1(VALU_DEP_2)
	v_mul_f32_e32 v7, v19, v7
	global_store_b32 v[9:10], v7, off
	v_lshlrev_b64 v[7:8], 2, v[1:2]
	v_add_nc_u32_e32 v1, s0, v1
	v_add_co_u32 v7, vcc_lo, s6, v7
	s_delay_alu instid0(VALU_DEP_3) | instskip(SKIP_3) | instid1(VALU_DEP_1)
	v_add_co_ci_u32_e32 v8, vcc_lo, s7, v8, vcc_lo
	global_load_b32 v9, v[7:8], off
	s_waitcnt vmcnt(0)
	v_mul_f32_e32 v9, v12, v9
	v_mul_f32_e32 v9, v20, v9
	global_store_b32 v[7:8], v9, off
	v_lshlrev_b64 v[7:8], 2, v[1:2]
	v_add_nc_u32_e32 v1, s0, v1
	s_delay_alu instid0(VALU_DEP_2) | instskip(NEXT) | instid1(VALU_DEP_3)
	v_add_co_u32 v7, vcc_lo, s6, v7
	v_add_co_ci_u32_e32 v8, vcc_lo, s7, v8, vcc_lo
	global_load_b32 v9, v[7:8], off
	s_waitcnt vmcnt(0)
	v_mul_f32_e32 v9, v12, v9
	s_delay_alu instid0(VALU_DEP_1) | instskip(SKIP_3) | instid1(VALU_DEP_2)
	v_mul_f32_e32 v9, v21, v9
	global_store_b32 v[7:8], v9, off
	v_lshlrev_b64 v[7:8], 2, v[1:2]
	v_add_nc_u32_e32 v1, s0, v1
	v_add_co_u32 v7, vcc_lo, s6, v7
	s_delay_alu instid0(VALU_DEP_3)
	v_add_co_ci_u32_e32 v8, vcc_lo, s7, v8, vcc_lo
	global_load_b32 v9, v[7:8], off
	s_waitcnt vmcnt(0)
	v_mul_f32_e32 v9, v12, v9
	global_store_b32 v[7:8], v9, off
	v_lshlrev_b64 v[7:8], 2, v[1:2]
	v_add_nc_u32_e32 v1, s0, v1
	s_delay_alu instid0(VALU_DEP_2) | instskip(NEXT) | instid1(VALU_DEP_3)
	v_add_co_u32 v7, vcc_lo, s6, v7
	v_add_co_ci_u32_e32 v8, vcc_lo, s7, v8, vcc_lo
	global_load_b32 v9, v[7:8], off
	s_waitcnt vmcnt(0)
	v_mul_f32_e32 v9, v12, v9
	s_delay_alu instid0(VALU_DEP_1) | instskip(SKIP_3) | instid1(VALU_DEP_2)
	v_mul_f32_e32 v9, v17, v9
	global_store_b32 v[7:8], v9, off
	v_lshlrev_b64 v[7:8], 2, v[1:2]
	v_add_nc_u32_e32 v1, s0, v1
	v_add_co_u32 v7, vcc_lo, s6, v7
	s_delay_alu instid0(VALU_DEP_3)
	v_add_co_ci_u32_e32 v8, vcc_lo, s7, v8, vcc_lo
	v_add_co_u32 v5, vcc_lo, s4, v5
	v_add_co_ci_u32_e32 v6, vcc_lo, s5, v6, vcc_lo
	global_load_b32 v9, v[7:8], off
	global_load_b32 v10, v[5:6], off
	s_waitcnt vmcnt(0)
	v_mul_f32_e32 v5, v9, v10
	s_delay_alu instid0(VALU_DEP_1) | instskip(SKIP_3) | instid1(VALU_DEP_2)
	v_mul_f32_e32 v5, v19, v5
	global_store_b32 v[7:8], v5, off
	v_lshlrev_b64 v[5:6], 2, v[1:2]
	v_add_nc_u32_e32 v1, s0, v1
	v_add_co_u32 v5, vcc_lo, s6, v5
	s_delay_alu instid0(VALU_DEP_3) | instskip(SKIP_3) | instid1(VALU_DEP_1)
	v_add_co_ci_u32_e32 v6, vcc_lo, s7, v6, vcc_lo
	global_load_b32 v7, v[5:6], off
	s_waitcnt vmcnt(0)
	v_mul_f32_e32 v7, v10, v7
	v_mul_f32_e32 v7, v19, v7
	global_store_b32 v[5:6], v7, off
	v_lshlrev_b64 v[5:6], 2, v[1:2]
	v_add_nc_u32_e32 v1, s0, v1
	s_delay_alu instid0(VALU_DEP_2) | instskip(NEXT) | instid1(VALU_DEP_3)
	v_add_co_u32 v5, vcc_lo, s6, v5
	v_add_co_ci_u32_e32 v6, vcc_lo, s7, v6, vcc_lo
	global_load_b32 v7, v[5:6], off
	s_waitcnt vmcnt(0)
	v_mul_f32_e32 v7, v10, v7
	s_delay_alu instid0(VALU_DEP_1) | instskip(SKIP_3) | instid1(VALU_DEP_2)
	v_mul_f32_e32 v7, v22, v7
	global_store_b32 v[5:6], v7, off
	v_lshlrev_b64 v[5:6], 2, v[1:2]
	v_add_nc_u32_e32 v1, s0, v1
	v_add_co_u32 v5, vcc_lo, s6, v5
	s_delay_alu instid0(VALU_DEP_3) | instskip(SKIP_3) | instid1(VALU_DEP_1)
	v_add_co_ci_u32_e32 v6, vcc_lo, s7, v6, vcc_lo
	global_load_b32 v7, v[5:6], off
	s_waitcnt vmcnt(0)
	v_mul_f32_e32 v7, v10, v7
	v_mul_f32_e32 v7, v22, v7
	global_store_b32 v[5:6], v7, off
	v_lshlrev_b64 v[5:6], 2, v[1:2]
	v_add_nc_u32_e32 v1, s0, v1
	s_delay_alu instid0(VALU_DEP_2) | instskip(NEXT) | instid1(VALU_DEP_3)
	v_add_co_u32 v5, vcc_lo, s6, v5
	v_add_co_ci_u32_e32 v6, vcc_lo, s7, v6, vcc_lo
	global_load_b32 v7, v[5:6], off
	s_waitcnt vmcnt(0)
	v_mul_f32_e32 v7, v10, v7
	global_store_b32 v[5:6], v7, off
	v_lshlrev_b64 v[5:6], 2, v[1:2]
	v_add_nc_u32_e32 v1, s0, v1
	s_delay_alu instid0(VALU_DEP_2) | instskip(NEXT) | instid1(VALU_DEP_3)
	v_add_co_u32 v5, vcc_lo, s6, v5
	v_add_co_ci_u32_e32 v6, vcc_lo, s7, v6, vcc_lo
	v_add_co_u32 v3, vcc_lo, s4, v3
	v_add_co_ci_u32_e32 v4, vcc_lo, s5, v4, vcc_lo
	global_load_b32 v7, v[5:6], off
	global_load_b32 v3, v[3:4], off
	s_waitcnt vmcnt(0)
	v_mul_f32_e32 v4, v7, v3
	s_delay_alu instid0(VALU_DEP_1) | instskip(SKIP_3) | instid1(VALU_DEP_2)
	v_mul_f32_e32 v4, v19, v4
	global_store_b32 v[5:6], v4, off
	v_lshlrev_b64 v[4:5], 2, v[1:2]
	v_add_nc_u32_e32 v1, s0, v1
	v_add_co_u32 v4, vcc_lo, s6, v4
	s_delay_alu instid0(VALU_DEP_3) | instskip(SKIP_3) | instid1(VALU_DEP_1)
	v_add_co_ci_u32_e32 v5, vcc_lo, s7, v5, vcc_lo
	global_load_b32 v6, v[4:5], off
	s_waitcnt vmcnt(0)
	v_mul_f32_e32 v6, v3, v6
	v_mul_f32_e32 v6, v19, v6
	global_store_b32 v[4:5], v6, off
	v_lshlrev_b64 v[4:5], 2, v[1:2]
	v_add_nc_u32_e32 v1, s0, v1
	s_delay_alu instid0(VALU_DEP_2) | instskip(NEXT) | instid1(VALU_DEP_3)
	v_add_co_u32 v4, vcc_lo, s6, v4
	v_add_co_ci_u32_e32 v5, vcc_lo, s7, v5, vcc_lo
	global_load_b32 v6, v[4:5], off
	s_waitcnt vmcnt(0)
	v_mul_f32_e32 v6, v3, v6
	s_delay_alu instid0(VALU_DEP_1) | instskip(SKIP_3) | instid1(VALU_DEP_2)
	v_mul_f32_e32 v6, v19, v6
	global_store_b32 v[4:5], v6, off
	v_lshlrev_b64 v[4:5], 2, v[1:2]
	v_add_nc_u32_e32 v1, s0, v1
	v_add_co_u32 v4, vcc_lo, s6, v4
	s_delay_alu instid0(VALU_DEP_3) | instskip(SKIP_3) | instid1(VALU_DEP_1)
	v_add_co_ci_u32_e32 v5, vcc_lo, s7, v5, vcc_lo
	global_load_b32 v6, v[4:5], off
	s_waitcnt vmcnt(0)
	v_mul_f32_e32 v6, v3, v6
	v_mul_f32_e32 v6, v20, v6
	global_store_b32 v[4:5], v6, off
	v_lshlrev_b64 v[4:5], 2, v[1:2]
	v_add_nc_u32_e32 v1, s0, v1
	s_delay_alu instid0(VALU_DEP_2) | instskip(NEXT) | instid1(VALU_DEP_3)
	v_add_co_u32 v4, vcc_lo, s6, v4
	v_add_co_ci_u32_e32 v5, vcc_lo, s7, v5, vcc_lo
	;; [unrolled: 21-line block ×4, first 2 shown]
	global_load_b32 v6, v[4:5], off
	s_waitcnt vmcnt(0)
	v_mul_f32_e32 v3, v3, v6
	s_delay_alu instid0(VALU_DEP_1) | instskip(SKIP_3) | instid1(VALU_DEP_2)
	v_mul_f32_e32 v3, v17, v3
	global_store_b32 v[4:5], v3, off
	v_lshlrev_b64 v[3:4], 2, v[1:2]
	v_add_nc_u32_e32 v1, s0, v1
	v_add_co_u32 v3, vcc_lo, s6, v3
	s_delay_alu instid0(VALU_DEP_3)
	v_add_co_ci_u32_e32 v4, vcc_lo, s7, v4, vcc_lo
	global_load_b32 v5, v[3:4], off
	s_waitcnt vmcnt(0)
	v_mul_f32_e32 v5, v19, v5
	global_store_b32 v[3:4], v5, off
	v_lshlrev_b64 v[3:4], 2, v[1:2]
	v_add_nc_u32_e32 v1, s0, v1
	s_delay_alu instid0(VALU_DEP_2) | instskip(NEXT) | instid1(VALU_DEP_3)
	v_add_co_u32 v3, vcc_lo, s6, v3
	v_add_co_ci_u32_e32 v4, vcc_lo, s7, v4, vcc_lo
	global_load_b32 v5, v[3:4], off
	s_waitcnt vmcnt(0)
	v_mul_f32_e32 v5, v19, v5
	global_store_b32 v[3:4], v5, off
	v_lshlrev_b64 v[3:4], 2, v[1:2]
	v_add_nc_u32_e32 v1, s0, v1
	s_delay_alu instid0(VALU_DEP_2) | instskip(NEXT) | instid1(VALU_DEP_3)
	v_add_co_u32 v3, vcc_lo, s6, v3
	;; [unrolled: 9-line block ×5, first 2 shown]
	v_add_co_ci_u32_e32 v4, vcc_lo, s7, v4, vcc_lo
	global_load_b32 v0, v[3:4], off
	s_waitcnt vmcnt(0)
	v_mul_f32_e32 v0, v22, v0
	global_store_b32 v[3:4], v0, off
	v_lshlrev_b64 v[0:1], 2, v[1:2]
	s_delay_alu instid0(VALU_DEP_1) | instskip(NEXT) | instid1(VALU_DEP_2)
	v_add_co_u32 v0, vcc_lo, s6, v0
	v_add_co_ci_u32_e32 v1, vcc_lo, s7, v1, vcc_lo
	global_load_b32 v2, v[0:1], off
	s_waitcnt vmcnt(0)
	v_mul_f32_e32 v2, v17, v2
	global_store_b32 v[0:1], v2, off
	s_nop 0
	s_sendmsg sendmsg(MSG_DEALLOC_VGPRS)
	s_endpgm
	.section	.rodata,"a",@progbits
	.p2align	6, 0x0
	.amdhsa_kernel _Z12ratx2_kernelIfEvPKT_PS0_S3_
		.amdhsa_group_segment_fixed_size 0
		.amdhsa_private_segment_fixed_size 0
		.amdhsa_kernarg_size 280
		.amdhsa_user_sgpr_count 15
		.amdhsa_user_sgpr_dispatch_ptr 0
		.amdhsa_user_sgpr_queue_ptr 0
		.amdhsa_user_sgpr_kernarg_segment_ptr 1
		.amdhsa_user_sgpr_dispatch_id 0
		.amdhsa_user_sgpr_private_segment_size 0
		.amdhsa_wavefront_size32 1
		.amdhsa_uses_dynamic_stack 0
		.amdhsa_enable_private_segment 0
		.amdhsa_system_sgpr_workgroup_id_x 1
		.amdhsa_system_sgpr_workgroup_id_y 0
		.amdhsa_system_sgpr_workgroup_id_z 0
		.amdhsa_system_sgpr_workgroup_info 0
		.amdhsa_system_vgpr_workitem_id 0
		.amdhsa_next_free_vgpr 35
		.amdhsa_next_free_sgpr 16
		.amdhsa_reserve_vcc 1
		.amdhsa_float_round_mode_32 0
		.amdhsa_float_round_mode_16_64 0
		.amdhsa_float_denorm_mode_32 3
		.amdhsa_float_denorm_mode_16_64 3
		.amdhsa_dx10_clamp 1
		.amdhsa_ieee_mode 1
		.amdhsa_fp16_overflow 0
		.amdhsa_workgroup_processor_mode 1
		.amdhsa_memory_ordered 1
		.amdhsa_forward_progress 0
		.amdhsa_shared_vgpr_count 0
		.amdhsa_exception_fp_ieee_invalid_op 0
		.amdhsa_exception_fp_denorm_src 0
		.amdhsa_exception_fp_ieee_div_zero 0
		.amdhsa_exception_fp_ieee_overflow 0
		.amdhsa_exception_fp_ieee_underflow 0
		.amdhsa_exception_fp_ieee_inexact 0
		.amdhsa_exception_int_div_zero 0
	.end_amdhsa_kernel
	.section	.text._Z12ratx2_kernelIfEvPKT_PS0_S3_,"axG",@progbits,_Z12ratx2_kernelIfEvPKT_PS0_S3_,comdat
.Lfunc_end14:
	.size	_Z12ratx2_kernelIfEvPKT_PS0_S3_, .Lfunc_end14-_Z12ratx2_kernelIfEvPKT_PS0_S3_
                                        ; -- End function
	.section	.AMDGPU.csdata,"",@progbits
; Kernel info:
; codeLenInByte = 11252
; NumSgprs: 18
; NumVgprs: 35
; ScratchSize: 0
; MemoryBound: 0
; FloatMode: 240
; IeeeMode: 1
; LDSByteSize: 0 bytes/workgroup (compile time only)
; SGPRBlocks: 2
; VGPRBlocks: 4
; NumSGPRsForWavesPerEU: 18
; NumVGPRsForWavesPerEU: 35
; Occupancy: 16
; WaveLimiterHint : 0
; COMPUTE_PGM_RSRC2:SCRATCH_EN: 0
; COMPUTE_PGM_RSRC2:USER_SGPR: 15
; COMPUTE_PGM_RSRC2:TRAP_HANDLER: 0
; COMPUTE_PGM_RSRC2:TGID_X_EN: 1
; COMPUTE_PGM_RSRC2:TGID_Y_EN: 0
; COMPUTE_PGM_RSRC2:TGID_Z_EN: 0
; COMPUTE_PGM_RSRC2:TIDIG_COMP_CNT: 0
	.section	.text._Z12ratx4_kernelIfEvPKT_PS0_S3_,"axG",@progbits,_Z12ratx4_kernelIfEvPKT_PS0_S3_,comdat
	.protected	_Z12ratx4_kernelIfEvPKT_PS0_S3_ ; -- Begin function _Z12ratx4_kernelIfEvPKT_PS0_S3_
	.globl	_Z12ratx4_kernelIfEvPKT_PS0_S3_
	.p2align	8
	.type	_Z12ratx4_kernelIfEvPKT_PS0_S3_,@function
_Z12ratx4_kernelIfEvPKT_PS0_S3_:        ; @_Z12ratx4_kernelIfEvPKT_PS0_S3_
; %bb.0:
	s_clause 0x3
	s_load_b32 s4, s[0:1], 0x24
	s_load_b32 s5, s[0:1], 0x18
	s_load_b64 s[2:3], s[0:1], 0x10
	s_load_b64 s[0:1], s[0:1], 0x0
	s_waitcnt lgkmcnt(0)
	s_and_b32 s4, s4, 0xffff
	s_delay_alu instid0(SALU_CYCLE_1) | instskip(SKIP_1) | instid1(SALU_CYCLE_1)
	v_mad_u64_u32 v[1:2], null, s15, s4, v[0:1]
	s_mul_i32 s4, s5, s4
	s_lshl_b32 s5, s4, 1
	v_mov_b32_e32 v2, 0
	s_lshl_b32 s6, s4, 2
	s_delay_alu instid0(VALU_DEP_1) | instskip(SKIP_2) | instid1(VALU_DEP_3)
	v_dual_mov_b32 v4, v2 :: v_dual_add_nc_u32 v3, s5, v1
	v_lshlrev_b64 v[5:6], 2, v[1:2]
	v_dual_mov_b32 v8, v2 :: v_dual_add_nc_u32 v1, s4, v1
	v_add_nc_u32_e32 v7, s5, v3
	s_delay_alu instid0(VALU_DEP_4) | instskip(NEXT) | instid1(VALU_DEP_4)
	v_lshlrev_b64 v[3:4], 2, v[3:4]
	v_add_co_u32 v9, vcc_lo, s2, v5
	s_delay_alu instid0(VALU_DEP_3) | instskip(SKIP_1) | instid1(VALU_DEP_4)
	v_lshlrev_b64 v[7:8], 2, v[7:8]
	v_add_co_ci_u32_e32 v10, vcc_lo, s3, v6, vcc_lo
	v_add_co_u32 v11, vcc_lo, s0, v3
	v_add_co_ci_u32_e32 v12, vcc_lo, s1, v4, vcc_lo
	s_delay_alu instid0(VALU_DEP_4)
	v_add_co_u32 v7, vcc_lo, s0, v7
	v_add_co_ci_u32_e32 v8, vcc_lo, s1, v8, vcc_lo
	global_load_b32 v0, v[9:10], off
	s_clause 0x1
	global_load_b32 v64, v[11:12], off
	global_load_b32 v58, v[7:8], off
	v_lshlrev_b64 v[7:8], 2, v[1:2]
	v_add_nc_u32_e32 v1, s6, v1
	v_add_co_u32 v5, vcc_lo, s0, v5
	v_add_co_ci_u32_e32 v6, vcc_lo, s1, v6, vcc_lo
	s_delay_alu instid0(VALU_DEP_3) | instskip(SKIP_3) | instid1(VALU_DEP_3)
	v_lshlrev_b64 v[11:12], 2, v[1:2]
	v_subrev_nc_u32_e32 v1, s5, v1
	v_add_co_u32 v17, vcc_lo, s0, v7
	v_add_co_ci_u32_e32 v18, vcc_lo, s1, v8, vcc_lo
	v_mad_u64_u32 v[13:14], null, s4, 3, v[1:2]
	v_mov_b32_e32 v14, v2
	v_lshlrev_b64 v[15:16], 2, v[1:2]
	v_add_co_u32 v19, vcc_lo, s0, v11
	v_add_co_ci_u32_e32 v20, vcc_lo, s1, v12, vcc_lo
	v_add_nc_u32_e32 v1, s4, v13
	s_delay_alu instid0(VALU_DEP_4)
	v_add_co_u32 v25, vcc_lo, s0, v15
	v_lshlrev_b64 v[13:14], 2, v[13:14]
	v_add_co_ci_u32_e32 v26, vcc_lo, s1, v16, vcc_lo
	s_waitcnt vmcnt(1)
	v_mul_f32_e32 v0, v0, v64
	v_lshlrev_b64 v[23:24], 2, v[1:2]
	s_waitcnt vmcnt(0)
	s_delay_alu instid0(VALU_DEP_2) | instskip(NEXT) | instid1(VALU_DEP_1)
	v_dual_mul_f32 v0, v0, v58 :: v_dual_add_nc_u32 v1, s6, v1
	v_lshlrev_b64 v[21:22], 2, v[1:2]
	v_add_nc_u32_e32 v1, s4, v1
	s_delay_alu instid0(VALU_DEP_2) | instskip(NEXT) | instid1(VALU_DEP_3)
	v_add_co_u32 v21, vcc_lo, s0, v21
	v_add_co_ci_u32_e32 v22, vcc_lo, s1, v22, vcc_lo
	v_add_co_u32 v27, vcc_lo, s0, v13
	v_add_co_ci_u32_e32 v28, vcc_lo, s1, v14, vcc_lo
	s_clause 0x5
	global_load_b32 v62, v[17:18], off
	global_load_b32 v60, v[19:20], off
	;; [unrolled: 1-line block ×6, first 2 shown]
	v_add_co_u32 v5, vcc_lo, s2, v7
	v_add_co_ci_u32_e32 v6, vcc_lo, s3, v8, vcc_lo
	global_store_b32 v[9:10], v0, off
	v_add_co_u32 v3, vcc_lo, s2, v3
	global_load_b32 v0, v[5:6], off
	v_add_co_ci_u32_e32 v4, vcc_lo, s3, v4, vcc_lo
	v_lshlrev_b64 v[45:46], 2, v[1:2]
	s_waitcnt vmcnt(0)
	v_dual_mul_f32 v0, v0, v62 :: v_dual_add_nc_u32 v1, s4, v1
	s_delay_alu instid0(VALU_DEP_1)
	v_mul_f32_e32 v0, v58, v0
	global_store_b32 v[5:6], v0, off
	global_load_b32 v0, v[3:4], off
	v_add_co_u32 v5, vcc_lo, s2, v15
	v_add_co_ci_u32_e32 v6, vcc_lo, s3, v16, vcc_lo
	s_waitcnt vmcnt(0)
	v_mul_f32_e32 v0, v62, v0
	s_delay_alu instid0(VALU_DEP_1)
	v_mul_f32_e32 v0, v0, v60
	global_store_b32 v[3:4], v0, off
	global_load_b32 v0, v[5:6], off
	v_add_co_u32 v3, vcc_lo, s2, v11
	v_add_co_ci_u32_e32 v4, vcc_lo, s3, v12, vcc_lo
	v_lshlrev_b64 v[11:12], 2, v[1:2]
	v_add_nc_u32_e32 v1, s4, v1
	s_delay_alu instid0(VALU_DEP_1) | instskip(SKIP_2) | instid1(VALU_DEP_1)
	v_lshlrev_b64 v[7:8], 2, v[1:2]
	s_waitcnt vmcnt(0)
	v_mul_f32_e32 v0, v64, v0
	v_mul_f32_e32 v0, v60, v0
	global_store_b32 v[5:6], v0, off
	global_load_b32 v0, v[3:4], off
	v_add_co_u32 v5, vcc_lo, s2, v13
	v_add_co_ci_u32_e32 v6, vcc_lo, s3, v14, vcc_lo
	s_waitcnt vmcnt(0)
	v_mul_f32_e32 v0, v0, v61
	s_delay_alu instid0(VALU_DEP_1)
	v_mul_f32_e32 v0, v61, v0
	global_store_b32 v[3:4], v0, off
	global_load_b32 v0, v[5:6], off
	v_add_co_u32 v3, vcc_lo, s2, v23
	v_add_co_ci_u32_e32 v4, vcc_lo, s3, v24, vcc_lo
	s_waitcnt vmcnt(0)
	v_mul_f32_e32 v0, v61, v0
	s_delay_alu instid0(VALU_DEP_1)
	;; [unrolled: 8-line block ×3, first 2 shown]
	v_mul_f32_e32 v0, v0, v65
	global_store_b32 v[3:4], v0, off
	global_load_b32 v0, v[5:6], off
	v_add_co_u32 v3, vcc_lo, s2, v11
	v_add_co_ci_u32_e32 v4, vcc_lo, s3, v12, vcc_lo
	v_add_co_u32 v15, vcc_lo, s2, v7
	v_add_co_ci_u32_e32 v16, vcc_lo, s3, v8, vcc_lo
	s_waitcnt vmcnt(0)
	v_mul_f32_e32 v0, v0, v59
	s_delay_alu instid0(VALU_DEP_1) | instskip(SKIP_4) | instid1(VALU_DEP_1)
	v_mul_f32_e32 v0, v0, v63
	global_store_b32 v[5:6], v0, off
	global_load_b32 v0, v[3:4], off
	v_mad_u64_u32 v[5:6], null, s4, 7, v[1:2]
	v_mov_b32_e32 v6, v2
	v_lshlrev_b64 v[13:14], 2, v[5:6]
	v_mad_u64_u32 v[21:22], null, s4, -6, v[5:6]
	v_mov_b32_e32 v22, v2
	s_waitcnt vmcnt(0)
	v_mul_f32_e32 v0, v59, v0
	s_delay_alu instid0(VALU_DEP_1)
	v_mul_f32_e32 v0, v60, v0
	global_store_b32 v[3:4], v0, off
	global_load_b32 v66, v[15:16], off
	v_add_co_u32 v0, vcc_lo, s0, v13
	v_add_co_ci_u32_e32 v1, vcc_lo, s1, v14, vcc_lo
	v_add_co_u32 v23, vcc_lo, s0, v23
	v_add_co_ci_u32_e32 v24, vcc_lo, s1, v24, vcc_lo
	global_load_b32 v0, v[0:1], off
	v_add_nc_u32_e32 v1, s4, v21
	v_add_co_u32 v45, vcc_lo, s0, v45
	v_add_co_ci_u32_e32 v46, vcc_lo, s1, v46, vcc_lo
	s_delay_alu instid0(VALU_DEP_3) | instskip(SKIP_3) | instid1(VALU_DEP_3)
	v_lshlrev_b64 v[17:18], 2, v[1:2]
	v_add_nc_u32_e32 v1, s4, v1
	v_add_co_u32 v83, vcc_lo, s0, v11
	v_add_co_ci_u32_e32 v84, vcc_lo, s1, v12, vcc_lo
	v_lshlrev_b64 v[19:20], 2, v[1:2]
	v_add_nc_u32_e32 v1, s4, v1
	v_lshlrev_b64 v[11:12], 2, v[21:22]
	s_delay_alu instid0(VALU_DEP_2) | instskip(SKIP_1) | instid1(VALU_DEP_1)
	v_lshlrev_b64 v[9:10], 2, v[1:2]
	v_add_nc_u32_e32 v1, s4, v1
	v_lshlrev_b64 v[3:4], 2, v[1:2]
	v_add_nc_u32_e32 v1, s4, v1
	s_delay_alu instid0(VALU_DEP_1) | instskip(SKIP_1) | instid1(VALU_DEP_1)
	v_lshlrev_b64 v[5:6], 2, v[1:2]
	v_add_nc_u32_e32 v1, s5, v1
	v_lshlrev_b64 v[25:26], 2, v[1:2]
	v_add_nc_u32_e32 v1, s4, v1
	s_delay_alu instid0(VALU_DEP_1) | instskip(SKIP_1) | instid1(VALU_DEP_1)
	;; [unrolled: 5-line block ×5, first 2 shown]
	v_lshlrev_b64 v[39:40], 2, v[1:2]
	v_add_nc_u32_e32 v1, s4, v1
	v_lshlrev_b64 v[41:42], 2, v[1:2]
	v_add_nc_u32_e32 v1, s4, v1
	s_delay_alu instid0(VALU_DEP_1) | instskip(SKIP_2) | instid1(VALU_DEP_1)
	v_lshlrev_b64 v[43:44], 2, v[1:2]
	s_waitcnt vmcnt(1)
	v_dual_mul_f32 v92, v59, v66 :: v_dual_add_nc_u32 v1, s4, v1
	v_mad_u64_u32 v[67:68], null, 0xffffffe9, s4, v[1:2]
	v_mov_b32_e32 v68, v2
	s_delay_alu instid0(VALU_DEP_1)
	v_mad_u64_u32 v[47:48], null, s4, 24, v[67:68]
	v_lshlrev_b64 v[48:49], 2, v[1:2]
	v_lshlrev_b64 v[21:22], 2, v[67:68]
	v_add_co_u32 v67, vcc_lo, s0, v17
	v_add_co_ci_u32_e32 v68, vcc_lo, s1, v18, vcc_lo
	v_add_nc_u32_e32 v1, s4, v47
	s_delay_alu instid0(VALU_DEP_4) | instskip(SKIP_1) | instid1(VALU_DEP_3)
	v_add_co_u32 v88, vcc_lo, s0, v21
	v_add_co_ci_u32_e32 v89, vcc_lo, s1, v22, vcc_lo
	v_lshlrev_b64 v[50:51], 2, v[1:2]
	v_add_nc_u32_e32 v1, s4, v1
	s_delay_alu instid0(VALU_DEP_1) | instskip(SKIP_1) | instid1(VALU_DEP_1)
	v_lshlrev_b64 v[52:53], 2, v[1:2]
	v_add_nc_u32_e32 v1, s4, v1
	v_lshlrev_b64 v[54:55], 2, v[1:2]
	v_add_nc_u32_e32 v1, s4, v1
	s_delay_alu instid0(VALU_DEP_1) | instskip(SKIP_1) | instid1(VALU_DEP_1)
	v_lshlrev_b64 v[56:57], 2, v[1:2]
	v_add_nc_u32_e32 v1, s4, v1
	;; [unrolled: 5-line block ×5, first 2 shown]
	v_lshlrev_b64 v[81:82], 2, v[1:2]
	v_add_nc_u32_e32 v1, s4, v1
	s_delay_alu instid0(VALU_DEP_1) | instskip(SKIP_1) | instid1(VALU_DEP_1)
	v_mad_u64_u32 v[85:86], null, 0xffffffd9, s4, v[1:2]
	v_mov_b32_e32 v86, v2
	v_lshlrev_b64 v[86:87], 2, v[85:86]
	s_delay_alu instid0(VALU_DEP_1) | instskip(NEXT) | instid1(VALU_DEP_2)
	v_add_co_u32 v86, vcc_lo, s0, v86
	v_add_co_ci_u32_e32 v87, vcc_lo, s1, v87, vcc_lo
	v_add_co_u32 v90, vcc_lo, s0, v19
	v_add_co_ci_u32_e32 v91, vcc_lo, s1, v20, vcc_lo
	s_clause 0x6
	global_load_b32 v23, v[23:24], off
	global_load_b32 v22, v[45:46], off
	;; [unrolled: 1-line block ×7, first 2 shown]
	v_add_co_u32 v67, vcc_lo, s2, v11
	s_waitcnt vmcnt(7)
	v_mul_f32_e32 v83, v92, v0
	v_add_co_ci_u32_e32 v68, vcc_lo, s3, v12, vcc_lo
	global_store_b32 v[15:16], v83, off
	global_load_b32 v15, v[67:68], off
	s_waitcnt vmcnt(0)
	v_mul_f32_e32 v83, v15, v23
	v_add_co_u32 v15, vcc_lo, s2, v17
	v_add_co_ci_u32_e32 v16, vcc_lo, s3, v18, vcc_lo
	global_store_b32 v[67:68], v83, off
	global_load_b32 v17, v[15:16], off
	s_waitcnt vmcnt(0)
	v_mul_f32_e32 v17, v64, v17
	s_delay_alu instid0(VALU_DEP_1)
	v_mul_f32_e32 v67, v60, v17
	v_add_co_u32 v17, vcc_lo, s2, v19
	v_add_co_ci_u32_e32 v18, vcc_lo, s3, v20, vcc_lo
	global_store_b32 v[15:16], v67, off
	global_load_b32 v15, v[17:18], off
	s_waitcnt vmcnt(0)
	v_mul_f32_e32 v15, v63, v15
	s_delay_alu instid0(VALU_DEP_1)
	;; [unrolled: 8-line block ×4, first 2 shown]
	v_mul_f32_e32 v19, v63, v15
	v_add_co_u32 v15, vcc_lo, s2, v5
	v_add_co_ci_u32_e32 v16, vcc_lo, s3, v6, vcc_lo
	global_store_b32 v[17:18], v19, off
	v_add_co_u32 v13, vcc_lo, s2, v13
	global_load_b32 v17, v[15:16], off
	v_add_co_ci_u32_e32 v14, vcc_lo, s3, v14, vcc_lo
	s_waitcnt vmcnt(0)
	v_mul_f32_e32 v17, v63, v17
	s_delay_alu instid0(VALU_DEP_1) | instskip(SKIP_4) | instid1(VALU_DEP_1)
	v_mul_f32_e32 v17, v60, v17
	global_store_b32 v[15:16], v17, off
	global_load_b32 v15, v[13:14], off
	s_waitcnt vmcnt(0)
	v_mul_f32_e32 v15, v63, v15
	v_mul_f32_e32 v17, v23, v15
	v_add_co_u32 v15, vcc_lo, s2, v25
	v_add_co_ci_u32_e32 v16, vcc_lo, s3, v26, vcc_lo
	global_store_b32 v[13:14], v17, off
	global_load_b32 v13, v[15:16], off
	s_waitcnt vmcnt(0)
	v_mul_f32_e32 v13, v63, v13
	s_delay_alu instid0(VALU_DEP_1)
	v_mul_f32_e32 v17, v23, v13
	v_add_co_u32 v13, vcc_lo, s2, v27
	v_add_co_ci_u32_e32 v14, vcc_lo, s3, v28, vcc_lo
	global_store_b32 v[15:16], v17, off
	global_load_b32 v15, v[13:14], off
	s_waitcnt vmcnt(0)
	v_mul_f32_e32 v15, v59, v15
	s_delay_alu instid0(VALU_DEP_1)
	;; [unrolled: 8-line block ×7, first 2 shown]
	v_mul_f32_e32 v17, v62, v13
	v_add_co_u32 v13, vcc_lo, s2, v39
	v_add_co_ci_u32_e32 v14, vcc_lo, s3, v40, vcc_lo
	global_store_b32 v[15:16], v17, off
	global_load_b32 v15, v[13:14], off
	s_waitcnt vmcnt(0)
	v_mul_f32_e32 v17, v15, v22
	v_add_co_u32 v15, vcc_lo, s2, v41
	v_add_co_ci_u32_e32 v16, vcc_lo, s3, v42, vcc_lo
	global_store_b32 v[13:14], v17, off
	global_load_b32 v13, v[15:16], off
	s_waitcnt vmcnt(0)
	v_mul_f32_e32 v13, v65, v13
	s_delay_alu instid0(VALU_DEP_1)
	v_mul_f32_e32 v17, v64, v13
	v_add_co_u32 v13, vcc_lo, s2, v43
	v_add_co_ci_u32_e32 v14, vcc_lo, s3, v44, vcc_lo
	global_store_b32 v[15:16], v17, off
	global_load_b32 v15, v[13:14], off
	s_waitcnt vmcnt(0)
	v_mul_f32_e32 v15, v65, v15
	s_delay_alu instid0(VALU_DEP_1)
	v_mul_f32_e32 v17, v58, v15
	v_add_co_u32 v15, vcc_lo, s2, v48
	v_add_co_ci_u32_e32 v16, vcc_lo, s3, v49, vcc_lo
	global_store_b32 v[13:14], v17, off
	v_mov_b32_e32 v48, v2
	global_load_b32 v13, v[15:16], off
	s_waitcnt vmcnt(0)
	v_mul_f32_e32 v17, v13, v45
	v_lshlrev_b64 v[13:14], 2, v[47:48]
	s_delay_alu instid0(VALU_DEP_2) | instskip(NEXT) | instid1(VALU_DEP_2)
	v_mul_f32_e32 v17, v62, v17
	v_add_co_u32 v13, vcc_lo, s2, v13
	s_delay_alu instid0(VALU_DEP_3)
	v_add_co_ci_u32_e32 v14, vcc_lo, s3, v14, vcc_lo
	global_store_b32 v[15:16], v17, off
	global_load_b32 v15, v[13:14], off
	s_waitcnt vmcnt(0)
	v_mul_f32_e32 v17, v62, v15
	v_add_co_u32 v15, vcc_lo, s2, v50
	v_add_co_ci_u32_e32 v16, vcc_lo, s3, v51, vcc_lo
	global_store_b32 v[13:14], v17, off
	global_load_b32 v13, v[15:16], off
	s_waitcnt vmcnt(0)
	v_mul_f32_e32 v17, v62, v13
	v_add_co_u32 v13, vcc_lo, s2, v52
	v_add_co_ci_u32_e32 v14, vcc_lo, s3, v53, vcc_lo
	global_store_b32 v[15:16], v17, off
	global_load_b32 v15, v[13:14], off
	s_waitcnt vmcnt(0)
	v_mul_f32_e32 v15, v22, v15
	s_delay_alu instid0(VALU_DEP_1)
	v_mul_f32_e32 v17, v62, v15
	v_add_co_u32 v15, vcc_lo, s2, v54
	v_add_co_ci_u32_e32 v16, vcc_lo, s3, v55, vcc_lo
	global_store_b32 v[13:14], v17, off
	global_load_b32 v13, v[15:16], off
	s_waitcnt vmcnt(0)
	v_mul_f32_e32 v17, v64, v13
	v_add_co_u32 v13, vcc_lo, s2, v56
	v_add_co_ci_u32_e32 v14, vcc_lo, s3, v57, vcc_lo
	global_store_b32 v[15:16], v17, off
	global_load_b32 v15, v[13:14], off
	s_waitcnt vmcnt(0)
	;; [unrolled: 6-line block ×5, first 2 shown]
	v_mul_f32_e32 v13, v45, v13
	s_delay_alu instid0(VALU_DEP_1)
	v_mul_f32_e32 v17, v61, v13
	v_add_co_u32 v13, vcc_lo, s2, v75
	v_add_co_ci_u32_e32 v14, vcc_lo, s3, v76, vcc_lo
	global_store_b32 v[15:16], v17, off
	global_load_b32 v15, v[13:14], off
	s_waitcnt vmcnt(0)
	v_mul_f32_e32 v15, v45, v15
	s_delay_alu instid0(VALU_DEP_1)
	v_mul_f32_e32 v17, v58, v15
	v_add_co_u32 v15, vcc_lo, s2, v77
	v_add_co_ci_u32_e32 v16, vcc_lo, s3, v78, vcc_lo
	global_store_b32 v[13:14], v17, off
	global_load_b32 v13, v[15:16], off
	s_waitcnt vmcnt(0)
	;; [unrolled: 8-line block ×4, first 2 shown]
	v_mul_f32_e32 v17, v45, v13
	v_lshlrev_b64 v[13:14], 2, v[1:2]
	s_delay_alu instid0(VALU_DEP_2) | instskip(NEXT) | instid1(VALU_DEP_2)
	v_mul_f32_e32 v1, v59, v17
	v_add_co_u32 v13, vcc_lo, s2, v13
	s_delay_alu instid0(VALU_DEP_3) | instskip(SKIP_4) | instid1(VALU_DEP_1)
	v_add_co_ci_u32_e32 v14, vcc_lo, s3, v14, vcc_lo
	global_store_b32 v[15:16], v1, off
	v_mad_u64_u32 v[15:16], null, s4, 40, v[85:86]
	global_load_b32 v1, v[13:14], off
	v_mov_b32_e32 v16, v2
	v_lshlrev_b64 v[16:17], 2, v[15:16]
	s_delay_alu instid0(VALU_DEP_1) | instskip(NEXT) | instid1(VALU_DEP_2)
	v_add_co_u32 v16, vcc_lo, s2, v16
	v_add_co_ci_u32_e32 v17, vcc_lo, s3, v17, vcc_lo
	s_waitcnt vmcnt(0)
	v_mul_f32_e32 v1, v1, v21
	global_store_b32 v[13:14], v1, off
	global_load_b32 v13, v[16:17], off
	v_add_nc_u32_e32 v1, s4, v15
	s_waitcnt vmcnt(0)
	v_mul_f32_e32 v15, v62, v13
	s_delay_alu instid0(VALU_DEP_2) | instskip(SKIP_1) | instid1(VALU_DEP_3)
	v_lshlrev_b64 v[13:14], 2, v[1:2]
	v_add_nc_u32_e32 v1, s4, v1
	v_mul_f32_e32 v15, v21, v15
	s_delay_alu instid0(VALU_DEP_3) | instskip(NEXT) | instid1(VALU_DEP_4)
	v_add_co_u32 v13, vcc_lo, s2, v13
	v_add_co_ci_u32_e32 v14, vcc_lo, s3, v14, vcc_lo
	global_store_b32 v[16:17], v15, off
	v_lshlrev_b64 v[15:16], 2, v[1:2]
	v_add_nc_u32_e32 v1, s4, v1
	global_load_b32 v17, v[13:14], off
	v_add_co_u32 v15, vcc_lo, s2, v15
	v_add_co_ci_u32_e32 v16, vcc_lo, s3, v16, vcc_lo
	s_waitcnt vmcnt(0)
	v_mul_f32_e32 v17, v62, v17
	global_store_b32 v[13:14], v17, off
	global_load_b32 v17, v[15:16], off
	v_lshlrev_b64 v[13:14], 2, v[1:2]
	v_add_nc_u32_e32 v1, s4, v1
	s_delay_alu instid0(VALU_DEP_2) | instskip(NEXT) | instid1(VALU_DEP_3)
	v_add_co_u32 v13, vcc_lo, s2, v13
	v_add_co_ci_u32_e32 v14, vcc_lo, s3, v14, vcc_lo
	s_waitcnt vmcnt(0)
	v_mul_f32_e32 v17, v58, v17
	global_store_b32 v[15:16], v17, off
	global_load_b32 v15, v[13:14], off
	s_waitcnt vmcnt(0)
	v_mul_f32_e32 v15, v65, v15
	s_delay_alu instid0(VALU_DEP_1) | instskip(SKIP_2) | instid1(VALU_DEP_3)
	v_mul_f32_e32 v17, v62, v15
	v_lshlrev_b64 v[15:16], 2, v[1:2]
	v_add_nc_u32_e32 v1, s4, v1
	v_mul_f32_e32 v17, v62, v17
	s_delay_alu instid0(VALU_DEP_3) | instskip(NEXT) | instid1(VALU_DEP_4)
	v_add_co_u32 v15, vcc_lo, s2, v15
	v_add_co_ci_u32_e32 v16, vcc_lo, s3, v16, vcc_lo
	global_store_b32 v[13:14], v17, off
	global_load_b32 v13, v[15:16], off
	s_waitcnt vmcnt(0)
	v_mul_f32_e32 v17, v22, v13
	v_lshlrev_b64 v[13:14], 2, v[1:2]
	v_add_nc_u32_e32 v1, s4, v1
	s_delay_alu instid0(VALU_DEP_3) | instskip(NEXT) | instid1(VALU_DEP_3)
	v_mul_f32_e32 v17, v62, v17
	v_add_co_u32 v13, vcc_lo, s2, v13
	s_delay_alu instid0(VALU_DEP_4)
	v_add_co_ci_u32_e32 v14, vcc_lo, s3, v14, vcc_lo
	global_store_b32 v[15:16], v17, off
	v_lshlrev_b64 v[15:16], 2, v[1:2]
	v_add_nc_u32_e32 v1, s4, v1
	global_load_b32 v17, v[13:14], off
	v_add_co_u32 v15, vcc_lo, s2, v15
	v_add_co_ci_u32_e32 v16, vcc_lo, s3, v16, vcc_lo
	s_waitcnt vmcnt(0)
	v_mul_f32_e32 v17, v60, v17
	global_store_b32 v[13:14], v17, off
	global_load_b32 v13, v[15:16], off
	s_waitcnt vmcnt(0)
	v_mul_f32_e32 v17, v22, v13
	v_lshlrev_b64 v[13:14], 2, v[1:2]
	v_add_nc_u32_e32 v1, s4, v1
	s_delay_alu instid0(VALU_DEP_3) | instskip(NEXT) | instid1(VALU_DEP_3)
	v_mul_f32_e32 v17, v58, v17
	v_add_co_u32 v13, vcc_lo, s2, v13
	s_delay_alu instid0(VALU_DEP_4)
	v_add_co_ci_u32_e32 v14, vcc_lo, s3, v14, vcc_lo
	global_store_b32 v[15:16], v17, off
	v_lshlrev_b64 v[15:16], 2, v[1:2]
	v_add_nc_u32_e32 v1, s4, v1
	global_load_b32 v17, v[13:14], off
	v_add_co_u32 v15, vcc_lo, s2, v15
	v_add_co_ci_u32_e32 v16, vcc_lo, s3, v16, vcc_lo
	s_waitcnt vmcnt(0)
	v_mul_f32_e32 v17, v17, v24
	global_store_b32 v[13:14], v17, off
	global_load_b32 v13, v[15:16], off
	s_waitcnt vmcnt(0)
	v_mul_f32_e32 v17, v13, v46
	v_lshlrev_b64 v[13:14], 2, v[1:2]
	v_add_nc_u32_e32 v1, s4, v1
	s_delay_alu instid0(VALU_DEP_3) | instskip(NEXT) | instid1(VALU_DEP_3)
	v_mul_f32_e32 v17, v62, v17
	v_add_co_u32 v13, vcc_lo, s2, v13
	s_delay_alu instid0(VALU_DEP_4)
	v_add_co_ci_u32_e32 v14, vcc_lo, s3, v14, vcc_lo
	global_store_b32 v[15:16], v17, off
	global_load_b32 v15, v[13:14], off
	s_waitcnt vmcnt(0)
	v_mul_f32_e32 v17, v46, v15
	v_lshlrev_b64 v[15:16], 2, v[1:2]
	v_add_nc_u32_e32 v1, s4, v1
	s_delay_alu instid0(VALU_DEP_3) | instskip(NEXT) | instid1(VALU_DEP_3)
	v_mul_f32_e32 v17, v61, v17
	v_add_co_u32 v15, vcc_lo, s2, v15
	s_delay_alu instid0(VALU_DEP_4)
	v_add_co_ci_u32_e32 v16, vcc_lo, s3, v16, vcc_lo
	global_store_b32 v[13:14], v17, off
	v_lshlrev_b64 v[13:14], 2, v[1:2]
	v_add_nc_u32_e32 v1, s4, v1
	global_load_b32 v17, v[15:16], off
	v_add_co_u32 v13, vcc_lo, s2, v13
	v_add_co_ci_u32_e32 v14, vcc_lo, s3, v14, vcc_lo
	s_waitcnt vmcnt(0)
	v_mul_f32_e32 v0, v0, v17
	global_store_b32 v[15:16], v0, off
	global_load_b32 v0, v[13:14], off
	v_lshlrev_b64 v[15:16], 2, v[1:2]
	v_add_nc_u32_e32 v1, s4, v1
	s_delay_alu instid0(VALU_DEP_2) | instskip(NEXT) | instid1(VALU_DEP_3)
	v_add_co_u32 v15, vcc_lo, s2, v15
	v_add_co_ci_u32_e32 v16, vcc_lo, s3, v16, vcc_lo
	s_waitcnt vmcnt(0)
	v_mul_f32_e32 v0, v61, v0
	global_store_b32 v[13:14], v0, off
	global_load_b32 v0, v[15:16], off
	v_lshlrev_b64 v[13:14], 2, v[1:2]
	v_add_nc_u32_e32 v1, s4, v1
	s_delay_alu instid0(VALU_DEP_2) | instskip(NEXT) | instid1(VALU_DEP_3)
	v_add_co_u32 v13, vcc_lo, s2, v13
	v_add_co_ci_u32_e32 v14, vcc_lo, s3, v14, vcc_lo
	s_waitcnt vmcnt(0)
	v_mul_f32_e32 v0, v45, v0
	s_delay_alu instid0(VALU_DEP_1) | instskip(SKIP_4) | instid1(VALU_DEP_2)
	v_mul_f32_e32 v0, v61, v0
	global_store_b32 v[15:16], v0, off
	global_load_b32 v0, v[13:14], off
	v_lshlrev_b64 v[15:16], 2, v[1:2]
	v_add_nc_u32_e32 v1, s4, v1
	v_add_co_u32 v15, vcc_lo, s2, v15
	s_delay_alu instid0(VALU_DEP_3)
	v_add_co_ci_u32_e32 v16, vcc_lo, s3, v16, vcc_lo
	s_waitcnt vmcnt(0)
	v_mul_f32_e32 v0, v62, v0
	global_store_b32 v[13:14], v0, off
	global_load_b32 v0, v[15:16], off
	v_lshlrev_b64 v[13:14], 2, v[1:2]
	v_add_nc_u32_e32 v1, s4, v1
	s_delay_alu instid0(VALU_DEP_2) | instskip(NEXT) | instid1(VALU_DEP_3)
	v_add_co_u32 v13, vcc_lo, s2, v13
	v_add_co_ci_u32_e32 v14, vcc_lo, s3, v14, vcc_lo
	s_waitcnt vmcnt(0)
	v_mul_f32_e32 v0, v22, v0
	s_delay_alu instid0(VALU_DEP_1) | instskip(SKIP_4) | instid1(VALU_DEP_2)
	v_mul_f32_e32 v0, v62, v0
	global_store_b32 v[15:16], v0, off
	global_load_b32 v0, v[13:14], off
	v_lshlrev_b64 v[15:16], 2, v[1:2]
	v_add_nc_u32_e32 v1, s4, v1
	v_add_co_u32 v15, vcc_lo, s2, v15
	s_delay_alu instid0(VALU_DEP_3) | instskip(SKIP_2) | instid1(VALU_DEP_1)
	v_add_co_ci_u32_e32 v16, vcc_lo, s3, v16, vcc_lo
	s_waitcnt vmcnt(0)
	v_mul_f32_e32 v0, v21, v0
	v_mul_f32_e32 v0, v62, v0
	global_store_b32 v[13:14], v0, off
	global_load_b32 v0, v[15:16], off
	v_lshlrev_b64 v[13:14], 2, v[1:2]
	v_add_nc_u32_e32 v1, s4, v1
	s_delay_alu instid0(VALU_DEP_2) | instskip(NEXT) | instid1(VALU_DEP_3)
	v_add_co_u32 v13, vcc_lo, s2, v13
	v_add_co_ci_u32_e32 v14, vcc_lo, s3, v14, vcc_lo
	s_waitcnt vmcnt(0)
	v_mul_f32_e32 v0, v62, v0
	s_delay_alu instid0(VALU_DEP_1) | instskip(NEXT) | instid1(VALU_DEP_1)
	v_mul_f32_e32 v0, v58, v0
	v_mul_f32_e32 v0, v45, v0
	global_store_b32 v[15:16], v0, off
	global_load_b32 v0, v[13:14], off
	v_lshlrev_b64 v[15:16], 2, v[1:2]
	v_add_nc_u32_e32 v1, s4, v1
	s_delay_alu instid0(VALU_DEP_2) | instskip(NEXT) | instid1(VALU_DEP_3)
	v_add_co_u32 v15, vcc_lo, s2, v15
	v_add_co_ci_u32_e32 v16, vcc_lo, s3, v16, vcc_lo
	s_waitcnt vmcnt(0)
	v_mul_f32_e32 v0, v45, v0
	s_delay_alu instid0(VALU_DEP_1) | instskip(SKIP_4) | instid1(VALU_DEP_2)
	v_mul_f32_e32 v0, v60, v0
	global_store_b32 v[13:14], v0, off
	global_load_b32 v0, v[15:16], off
	v_lshlrev_b64 v[13:14], 2, v[1:2]
	v_add_nc_u32_e32 v1, s4, v1
	v_add_co_u32 v13, vcc_lo, s2, v13
	s_delay_alu instid0(VALU_DEP_3)
	v_add_co_ci_u32_e32 v14, vcc_lo, s3, v14, vcc_lo
	s_waitcnt vmcnt(0)
	v_mul_f32_e32 v0, v60, v0
	global_store_b32 v[15:16], v0, off
	global_load_b32 v0, v[13:14], off
	v_lshlrev_b64 v[15:16], 2, v[1:2]
	v_add_nc_u32_e32 v1, s4, v1
	s_delay_alu instid0(VALU_DEP_2) | instskip(NEXT) | instid1(VALU_DEP_3)
	v_add_co_u32 v15, vcc_lo, s2, v15
	v_add_co_ci_u32_e32 v16, vcc_lo, s3, v16, vcc_lo
	s_waitcnt vmcnt(0)
	v_mul_f32_e32 v0, v45, v0
	global_store_b32 v[13:14], v0, off
	global_load_b32 v0, v[15:16], off
	v_lshlrev_b64 v[13:14], 2, v[1:2]
	v_add_nc_u32_e32 v1, s5, v1
	s_delay_alu instid0(VALU_DEP_2) | instskip(NEXT) | instid1(VALU_DEP_3)
	v_add_co_u32 v13, vcc_lo, s2, v13
	;; [unrolled: 9-line block ×3, first 2 shown]
	v_add_co_ci_u32_e32 v16, vcc_lo, s3, v16, vcc_lo
	s_waitcnt vmcnt(0)
	v_mul_f32_e32 v0, v22, v0
	s_delay_alu instid0(VALU_DEP_1) | instskip(SKIP_4) | instid1(VALU_DEP_2)
	v_mul_f32_e32 v0, v45, v0
	global_store_b32 v[13:14], v0, off
	global_load_b32 v0, v[15:16], off
	v_lshlrev_b64 v[13:14], 2, v[1:2]
	v_add_nc_u32_e32 v1, s4, v1
	v_add_co_u32 v13, vcc_lo, s2, v13
	s_delay_alu instid0(VALU_DEP_3)
	v_add_co_ci_u32_e32 v14, vcc_lo, s3, v14, vcc_lo
	s_waitcnt vmcnt(0)
	v_mul_f32_e32 v0, v61, v0
	global_store_b32 v[15:16], v0, off
	global_load_b32 v0, v[13:14], off
	v_lshlrev_b64 v[15:16], 2, v[1:2]
	v_add_nc_u32_e32 v1, s4, v1
	s_delay_alu instid0(VALU_DEP_2) | instskip(NEXT) | instid1(VALU_DEP_3)
	v_add_co_u32 v15, vcc_lo, s2, v15
	v_add_co_ci_u32_e32 v16, vcc_lo, s3, v16, vcc_lo
	s_waitcnt vmcnt(0)
	v_mul_f32_e32 v0, v58, v0
	global_store_b32 v[13:14], v0, off
	global_load_b32 v0, v[15:16], off
	v_lshlrev_b64 v[13:14], 2, v[1:2]
	v_add_nc_u32_e32 v1, s4, v1
	s_delay_alu instid0(VALU_DEP_2) | instskip(NEXT) | instid1(VALU_DEP_3)
	v_add_co_u32 v13, vcc_lo, s2, v13
	;; [unrolled: 9-line block ×4, first 2 shown]
	v_add_co_ci_u32_e32 v14, vcc_lo, s3, v14, vcc_lo
	s_delay_alu instid0(VALU_DEP_3)
	v_mad_u64_u32 v[17:18], null, 0xffffffbc, s4, v[1:2]
	v_mov_b32_e32 v18, v2
	s_waitcnt vmcnt(0)
	v_mul_f32_e32 v0, v23, v0
	global_store_b32 v[15:16], v0, off
	global_load_b32 v19, v[13:14], off
	v_lshlrev_b64 v[15:16], 2, v[17:18]
	v_lshlrev_b64 v[0:1], 2, v[1:2]
	s_delay_alu instid0(VALU_DEP_2) | instskip(NEXT) | instid1(VALU_DEP_3)
	v_add_co_u32 v15, vcc_lo, s0, v15
	v_add_co_ci_u32_e32 v16, vcc_lo, s1, v16, vcc_lo
	s_delay_alu instid0(VALU_DEP_3) | instskip(NEXT) | instid1(VALU_DEP_4)
	v_add_co_u32 v0, vcc_lo, s2, v0
	v_add_co_ci_u32_e32 v1, vcc_lo, s3, v1, vcc_lo
	global_load_b32 v15, v[15:16], off
	v_add_co_u32 v7, vcc_lo, s0, v7
	v_add_co_ci_u32_e32 v8, vcc_lo, s1, v8, vcc_lo
	v_add_co_u32 v11, vcc_lo, s0, v11
	v_add_co_ci_u32_e32 v12, vcc_lo, s1, v12, vcc_lo
	s_waitcnt vmcnt(1)
	v_mul_f32_e32 v18, v24, v19
	s_delay_alu instid0(VALU_DEP_1)
	v_mul_f32_e32 v18, v62, v18
	global_store_b32 v[13:14], v18, off
	global_load_b32 v16, v[0:1], off
	v_add_co_u32 v13, vcc_lo, s0, v9
	v_add_co_ci_u32_e32 v14, vcc_lo, s1, v10, vcc_lo
	v_mad_u64_u32 v[9:10], null, 0x45, s4, v[17:18]
	v_mov_b32_e32 v10, v2
	v_add_co_u32 v17, vcc_lo, s0, v3
	v_add_co_ci_u32_e32 v18, vcc_lo, s1, v4, vcc_lo
	v_add_co_u32 v3, vcc_lo, s0, v5
	s_delay_alu instid0(VALU_DEP_4)
	v_lshlrev_b64 v[19:20], 2, v[9:10]
	v_add_co_ci_u32_e32 v4, vcc_lo, s1, v6, vcc_lo
	s_clause 0x4
	global_load_b32 v10, v[13:14], off
	global_load_b32 v5, v[7:8], off
	;; [unrolled: 1-line block ×5, first 2 shown]
	v_add_co_u32 v7, vcc_lo, s2, v19
	v_add_co_ci_u32_e32 v8, vcc_lo, s3, v20, vcc_lo
	s_waitcnt vmcnt(5)
	v_mul_f32_e32 v11, v16, v15
	global_store_b32 v[0:1], v11, off
	global_load_b32 v0, v[7:8], off
	v_add_nc_u32_e32 v1, s4, v9
	s_delay_alu instid0(VALU_DEP_1) | instskip(SKIP_1) | instid1(VALU_DEP_2)
	v_lshlrev_b64 v[11:12], 2, v[1:2]
	v_add_nc_u32_e32 v1, s4, v1
	v_add_co_u32 v11, vcc_lo, s2, v11
	s_delay_alu instid0(VALU_DEP_3) | instskip(SKIP_2) | instid1(VALU_DEP_1)
	v_add_co_ci_u32_e32 v12, vcc_lo, s3, v12, vcc_lo
	s_waitcnt vmcnt(0)
	v_mul_f32_e32 v0, v22, v0
	v_mul_f32_e32 v0, v62, v0
	global_store_b32 v[7:8], v0, off
	global_load_b32 v0, v[11:12], off
	v_lshlrev_b64 v[7:8], 2, v[1:2]
	v_add_nc_u32_e32 v1, s4, v1
	s_delay_alu instid0(VALU_DEP_2) | instskip(NEXT) | instid1(VALU_DEP_3)
	v_add_co_u32 v7, vcc_lo, s2, v7
	v_add_co_ci_u32_e32 v8, vcc_lo, s3, v8, vcc_lo
	s_waitcnt vmcnt(0)
	v_mul_f32_e32 v0, v60, v0
	global_store_b32 v[11:12], v0, off
	global_load_b32 v0, v[7:8], off
	v_lshlrev_b64 v[11:12], 2, v[1:2]
	v_add_nc_u32_e32 v1, s4, v1
	s_delay_alu instid0(VALU_DEP_2) | instskip(NEXT) | instid1(VALU_DEP_3)
	v_add_co_u32 v11, vcc_lo, s2, v11
	v_add_co_ci_u32_e32 v12, vcc_lo, s3, v12, vcc_lo
	s_waitcnt vmcnt(0)
	;; [unrolled: 9-line block ×4, first 2 shown]
	v_mul_f32_e32 v0, v58, v0
	s_delay_alu instid0(VALU_DEP_1) | instskip(SKIP_4) | instid1(VALU_DEP_2)
	v_mul_f32_e32 v0, v22, v0
	global_store_b32 v[7:8], v0, off
	global_load_b32 v0, v[11:12], off
	v_lshlrev_b64 v[7:8], 2, v[1:2]
	v_add_nc_u32_e32 v1, s4, v1
	v_add_co_u32 v7, vcc_lo, s2, v7
	s_delay_alu instid0(VALU_DEP_3) | instskip(SKIP_2) | instid1(VALU_DEP_1)
	v_add_co_ci_u32_e32 v8, vcc_lo, s3, v8, vcc_lo
	s_waitcnt vmcnt(0)
	v_mul_f32_e32 v0, v15, v0
	v_mul_f32_e32 v0, v63, v0
	global_store_b32 v[11:12], v0, off
	global_load_b32 v0, v[7:8], off
	v_lshlrev_b64 v[11:12], 2, v[1:2]
	v_add_nc_u32_e32 v1, s4, v1
	s_delay_alu instid0(VALU_DEP_2) | instskip(NEXT) | instid1(VALU_DEP_3)
	v_add_co_u32 v11, vcc_lo, s2, v11
	v_add_co_ci_u32_e32 v12, vcc_lo, s3, v12, vcc_lo
	s_waitcnt vmcnt(0)
	v_mul_f32_e32 v0, v58, v0
	global_store_b32 v[7:8], v0, off
	global_load_b32 v0, v[11:12], off
	v_lshlrev_b64 v[7:8], 2, v[1:2]
	v_add_nc_u32_e32 v1, s4, v1
	s_delay_alu instid0(VALU_DEP_2) | instskip(NEXT) | instid1(VALU_DEP_3)
	v_add_co_u32 v7, vcc_lo, s2, v7
	v_add_co_ci_u32_e32 v8, vcc_lo, s3, v8, vcc_lo
	s_waitcnt vmcnt(0)
	v_mul_f32_e32 v0, v15, v0
	s_delay_alu instid0(VALU_DEP_1) | instskip(SKIP_4) | instid1(VALU_DEP_2)
	v_mul_f32_e32 v0, v59, v0
	global_store_b32 v[11:12], v0, off
	global_load_b32 v0, v[7:8], off
	v_lshlrev_b64 v[11:12], 2, v[1:2]
	v_add_nc_u32_e32 v1, s4, v1
	v_add_co_u32 v11, vcc_lo, s2, v11
	s_delay_alu instid0(VALU_DEP_3)
	v_add_co_ci_u32_e32 v12, vcc_lo, s3, v12, vcc_lo
	s_waitcnt vmcnt(0)
	v_mul_f32_e32 v0, v62, v0
	global_store_b32 v[7:8], v0, off
	global_load_b32 v0, v[11:12], off
	v_lshlrev_b64 v[7:8], 2, v[1:2]
	v_add_nc_u32_e32 v1, s4, v1
	s_delay_alu instid0(VALU_DEP_2) | instskip(NEXT) | instid1(VALU_DEP_3)
	v_add_co_u32 v7, vcc_lo, s2, v7
	v_add_co_ci_u32_e32 v8, vcc_lo, s3, v8, vcc_lo
	s_waitcnt vmcnt(0)
	v_mul_f32_e32 v0, v15, v0
	s_delay_alu instid0(VALU_DEP_1) | instskip(SKIP_4) | instid1(VALU_DEP_2)
	v_mul_f32_e32 v0, v45, v0
	global_store_b32 v[11:12], v0, off
	global_load_b32 v0, v[7:8], off
	v_lshlrev_b64 v[11:12], 2, v[1:2]
	v_add_nc_u32_e32 v1, s4, v1
	v_add_co_u32 v11, vcc_lo, s2, v11
	s_delay_alu instid0(VALU_DEP_3)
	v_add_co_ci_u32_e32 v12, vcc_lo, s3, v12, vcc_lo
	s_waitcnt vmcnt(0)
	v_mul_f32_e32 v0, v0, v10
	global_store_b32 v[7:8], v0, off
	global_load_b32 v0, v[11:12], off
	v_lshlrev_b64 v[7:8], 2, v[1:2]
	v_add_nc_u32_e32 v1, s4, v1
	s_delay_alu instid0(VALU_DEP_2) | instskip(NEXT) | instid1(VALU_DEP_3)
	v_add_co_u32 v7, vcc_lo, s2, v7
	v_add_co_ci_u32_e32 v8, vcc_lo, s3, v8, vcc_lo
	s_waitcnt vmcnt(0)
	v_mul_f32_e32 v0, v15, v0
	global_store_b32 v[11:12], v0, off
	global_load_b32 v0, v[7:8], off
	v_lshlrev_b64 v[11:12], 2, v[1:2]
	v_add_nc_u32_e32 v1, s4, v1
	s_delay_alu instid0(VALU_DEP_2) | instskip(NEXT) | instid1(VALU_DEP_3)
	v_add_co_u32 v11, vcc_lo, s2, v11
	v_add_co_ci_u32_e32 v12, vcc_lo, s3, v12, vcc_lo
	s_waitcnt vmcnt(0)
	v_mul_f32_e32 v0, v0, v5
	s_delay_alu instid0(VALU_DEP_1) | instskip(SKIP_4) | instid1(VALU_DEP_2)
	v_mul_f32_e32 v0, v62, v0
	global_store_b32 v[7:8], v0, off
	global_load_b32 v0, v[11:12], off
	v_lshlrev_b64 v[7:8], 2, v[1:2]
	v_add_nc_u32_e32 v1, s4, v1
	v_add_co_u32 v7, vcc_lo, s2, v7
	s_delay_alu instid0(VALU_DEP_3) | instskip(SKIP_2) | instid1(VALU_DEP_1)
	v_add_co_ci_u32_e32 v8, vcc_lo, s3, v8, vcc_lo
	s_waitcnt vmcnt(0)
	v_mul_f32_e32 v0, v5, v0
	v_mul_f32_e32 v0, v62, v0
	global_store_b32 v[11:12], v0, off
	global_load_b32 v0, v[7:8], off
	v_lshlrev_b64 v[11:12], 2, v[1:2]
	v_add_nc_u32_e32 v1, s4, v1
	s_delay_alu instid0(VALU_DEP_2) | instskip(NEXT) | instid1(VALU_DEP_3)
	v_add_co_u32 v11, vcc_lo, s2, v11
	v_add_co_ci_u32_e32 v12, vcc_lo, s3, v12, vcc_lo
	s_waitcnt vmcnt(0)
	v_mul_f32_e32 v0, v0, v6
	global_store_b32 v[7:8], v0, off
	global_load_b32 v0, v[11:12], off
	v_lshlrev_b64 v[7:8], 2, v[1:2]
	v_add_nc_u32_e32 v1, s4, v1
	s_delay_alu instid0(VALU_DEP_2) | instskip(NEXT) | instid1(VALU_DEP_3)
	v_add_co_u32 v7, vcc_lo, s2, v7
	v_add_co_ci_u32_e32 v8, vcc_lo, s3, v8, vcc_lo
	s_waitcnt vmcnt(0)
	;; [unrolled: 9-line block ×3, first 2 shown]
	v_mul_f32_e32 v0, v5, v0
	s_delay_alu instid0(VALU_DEP_1) | instskip(SKIP_4) | instid1(VALU_DEP_2)
	v_mul_f32_e32 v0, v45, v0
	global_store_b32 v[7:8], v0, off
	global_load_b32 v0, v[11:12], off
	v_lshlrev_b64 v[7:8], 2, v[1:2]
	v_add_nc_u32_e32 v1, s4, v1
	v_add_co_u32 v7, vcc_lo, s2, v7
	s_delay_alu instid0(VALU_DEP_3) | instskip(SKIP_2) | instid1(VALU_DEP_1)
	v_add_co_ci_u32_e32 v8, vcc_lo, s3, v8, vcc_lo
	s_waitcnt vmcnt(0)
	v_mul_f32_e32 v0, v22, v0
	v_mul_f32_e32 v0, v61, v0
	global_store_b32 v[11:12], v0, off
	global_load_b32 v0, v[7:8], off
	v_lshlrev_b64 v[11:12], 2, v[1:2]
	v_add_nc_u32_e32 v1, s4, v1
	s_delay_alu instid0(VALU_DEP_2) | instskip(NEXT) | instid1(VALU_DEP_3)
	v_add_co_u32 v11, vcc_lo, s2, v11
	v_add_co_ci_u32_e32 v12, vcc_lo, s3, v12, vcc_lo
	s_waitcnt vmcnt(0)
	v_mul_f32_e32 v0, v21, v0
	s_delay_alu instid0(VALU_DEP_1) | instskip(SKIP_4) | instid1(VALU_DEP_2)
	v_mul_f32_e32 v0, v58, v0
	global_store_b32 v[7:8], v0, off
	global_load_b32 v0, v[11:12], off
	v_lshlrev_b64 v[7:8], 2, v[1:2]
	v_add_nc_u32_e32 v1, s4, v1
	v_add_co_u32 v7, vcc_lo, s2, v7
	s_delay_alu instid0(VALU_DEP_3)
	v_add_co_ci_u32_e32 v8, vcc_lo, s3, v8, vcc_lo
	s_waitcnt vmcnt(0)
	v_mul_f32_e32 v0, v60, v0
	global_store_b32 v[11:12], v0, off
	global_load_b32 v0, v[7:8], off
	v_lshlrev_b64 v[11:12], 2, v[1:2]
	v_add_nc_u32_e32 v1, s4, v1
	s_delay_alu instid0(VALU_DEP_2) | instskip(NEXT) | instid1(VALU_DEP_3)
	v_add_co_u32 v11, vcc_lo, s2, v11
	v_add_co_ci_u32_e32 v12, vcc_lo, s3, v12, vcc_lo
	s_waitcnt vmcnt(0)
	v_mul_f32_e32 v0, v22, v0
	s_delay_alu instid0(VALU_DEP_1) | instskip(SKIP_4) | instid1(VALU_DEP_2)
	v_mul_f32_e32 v0, v58, v0
	global_store_b32 v[7:8], v0, off
	global_load_b32 v0, v[11:12], off
	v_lshlrev_b64 v[7:8], 2, v[1:2]
	v_add_nc_u32_e32 v1, s4, v1
	v_add_co_u32 v7, vcc_lo, s2, v7
	s_delay_alu instid0(VALU_DEP_3) | instskip(SKIP_2) | instid1(VALU_DEP_1)
	v_add_co_ci_u32_e32 v8, vcc_lo, s3, v8, vcc_lo
	s_waitcnt vmcnt(0)
	v_mul_f32_e32 v0, v22, v0
	v_mul_f32_e32 v0, v60, v0
	global_store_b32 v[11:12], v0, off
	global_load_b32 v0, v[7:8], off
	v_lshlrev_b64 v[11:12], 2, v[1:2]
	v_add_nc_u32_e32 v1, s4, v1
	s_delay_alu instid0(VALU_DEP_2) | instskip(NEXT) | instid1(VALU_DEP_3)
	v_add_co_u32 v11, vcc_lo, s2, v11
	v_add_co_ci_u32_e32 v12, vcc_lo, s3, v12, vcc_lo
	s_waitcnt vmcnt(0)
	v_mul_f32_e32 v0, v22, v0
	s_delay_alu instid0(VALU_DEP_1) | instskip(SKIP_4) | instid1(VALU_DEP_2)
	v_mul_f32_e32 v0, v59, v0
	global_store_b32 v[7:8], v0, off
	global_load_b32 v0, v[11:12], off
	v_lshlrev_b64 v[7:8], 2, v[1:2]
	v_add_nc_u32_e32 v1, s4, v1
	v_add_co_u32 v7, vcc_lo, s2, v7
	s_delay_alu instid0(VALU_DEP_3) | instskip(SKIP_2) | instid1(VALU_DEP_1)
	v_add_co_ci_u32_e32 v8, vcc_lo, s3, v8, vcc_lo
	s_waitcnt vmcnt(0)
	v_mul_f32_e32 v0, v21, v0
	;; [unrolled: 21-line block ×4, first 2 shown]
	v_mul_f32_e32 v0, v21, v0
	global_store_b32 v[11:12], v0, off
	global_load_b32 v0, v[7:8], off
	v_lshlrev_b64 v[11:12], 2, v[1:2]
	v_add_nc_u32_e32 v1, s4, v1
	s_delay_alu instid0(VALU_DEP_2) | instskip(NEXT) | instid1(VALU_DEP_3)
	v_add_co_u32 v11, vcc_lo, s2, v11
	v_add_co_ci_u32_e32 v12, vcc_lo, s3, v12, vcc_lo
	s_waitcnt vmcnt(0)
	v_mul_f32_e32 v0, v21, v0
	s_delay_alu instid0(VALU_DEP_1) | instskip(SKIP_4) | instid1(VALU_DEP_2)
	v_mul_f32_e32 v0, v21, v0
	global_store_b32 v[7:8], v0, off
	global_load_b32 v0, v[11:12], off
	v_lshlrev_b64 v[7:8], 2, v[1:2]
	v_add_nc_u32_e32 v1, s4, v1
	v_add_co_u32 v7, vcc_lo, s2, v7
	s_delay_alu instid0(VALU_DEP_3)
	v_add_co_ci_u32_e32 v8, vcc_lo, s3, v8, vcc_lo
	s_waitcnt vmcnt(0)
	v_mul_f32_e32 v0, v45, v0
	global_store_b32 v[11:12], v0, off
	global_load_b32 v0, v[7:8], off
	v_lshlrev_b64 v[11:12], 2, v[1:2]
	v_add_nc_u32_e32 v1, s4, v1
	s_delay_alu instid0(VALU_DEP_2) | instskip(NEXT) | instid1(VALU_DEP_3)
	v_add_co_u32 v11, vcc_lo, s2, v11
	v_add_co_ci_u32_e32 v12, vcc_lo, s3, v12, vcc_lo
	s_waitcnt vmcnt(0)
	v_mul_f32_e32 v0, v62, v0
	s_delay_alu instid0(VALU_DEP_1) | instskip(NEXT) | instid1(VALU_DEP_1)
	v_mul_f32_e32 v0, v45, v0
	v_mul_f32_e32 v0, v45, v0
	global_store_b32 v[7:8], v0, off
	global_load_b32 v0, v[11:12], off
	v_lshlrev_b64 v[7:8], 2, v[1:2]
	v_add_nc_u32_e32 v1, s4, v1
	s_delay_alu instid0(VALU_DEP_2) | instskip(NEXT) | instid1(VALU_DEP_3)
	v_add_co_u32 v7, vcc_lo, s2, v7
	v_add_co_ci_u32_e32 v8, vcc_lo, s3, v8, vcc_lo
	s_waitcnt vmcnt(0)
	v_mul_f32_e32 v0, v58, v0
	s_delay_alu instid0(VALU_DEP_1) | instskip(NEXT) | instid1(VALU_DEP_1)
	v_mul_f32_e32 v0, v45, v0
	v_mul_f32_e32 v0, v45, v0
	global_store_b32 v[11:12], v0, off
	global_load_b32 v0, v[7:8], off
	v_lshlrev_b64 v[11:12], 2, v[1:2]
	v_add_nc_u32_e32 v1, s4, v1
	s_delay_alu instid0(VALU_DEP_2) | instskip(NEXT) | instid1(VALU_DEP_3)
	v_add_co_u32 v11, vcc_lo, s2, v11
	v_add_co_ci_u32_e32 v12, vcc_lo, s3, v12, vcc_lo
	s_waitcnt vmcnt(0)
	v_mul_f32_e32 v0, v46, v0
	s_delay_alu instid0(VALU_DEP_1) | instskip(SKIP_4) | instid1(VALU_DEP_2)
	v_mul_f32_e32 v0, v45, v0
	global_store_b32 v[7:8], v0, off
	global_load_b32 v0, v[11:12], off
	v_lshlrev_b64 v[7:8], 2, v[1:2]
	v_add_nc_u32_e32 v1, s5, v1
	v_add_co_u32 v7, vcc_lo, s2, v7
	s_delay_alu instid0(VALU_DEP_3)
	v_add_co_ci_u32_e32 v8, vcc_lo, s3, v8, vcc_lo
	s_waitcnt vmcnt(0)
	v_mul_f32_e32 v0, v45, v0
	global_store_b32 v[11:12], v0, off
	global_load_b32 v0, v[7:8], off
	v_lshlrev_b64 v[11:12], 2, v[1:2]
	v_add_nc_u32_e32 v1, s4, v1
	s_delay_alu instid0(VALU_DEP_2) | instskip(NEXT) | instid1(VALU_DEP_3)
	v_add_co_u32 v11, vcc_lo, s2, v11
	v_add_co_ci_u32_e32 v12, vcc_lo, s3, v12, vcc_lo
	s_waitcnt vmcnt(0)
	v_mul_f32_e32 v0, v46, v0
	s_delay_alu instid0(VALU_DEP_1) | instskip(NEXT) | instid1(VALU_DEP_1)
	v_mul_f32_e32 v0, v45, v0
	v_mul_f32_e32 v0, v45, v0
	global_store_b32 v[7:8], v0, off
	global_load_b32 v0, v[11:12], off
	v_lshlrev_b64 v[7:8], 2, v[1:2]
	v_add_nc_u32_e32 v1, s4, v1
	s_delay_alu instid0(VALU_DEP_2) | instskip(NEXT) | instid1(VALU_DEP_3)
	v_add_co_u32 v7, vcc_lo, s2, v7
	v_add_co_ci_u32_e32 v8, vcc_lo, s3, v8, vcc_lo
	s_waitcnt vmcnt(0)
	v_mul_f32_e32 v0, v46, v0
	s_delay_alu instid0(VALU_DEP_1) | instskip(SKIP_4) | instid1(VALU_DEP_2)
	v_mul_f32_e32 v0, v62, v0
	global_store_b32 v[11:12], v0, off
	global_load_b32 v0, v[7:8], off
	v_lshlrev_b64 v[11:12], 2, v[1:2]
	v_add_nc_u32_e32 v1, s4, v1
	v_add_co_u32 v11, vcc_lo, s2, v11
	s_delay_alu instid0(VALU_DEP_3) | instskip(SKIP_2) | instid1(VALU_DEP_1)
	v_add_co_ci_u32_e32 v12, vcc_lo, s3, v12, vcc_lo
	s_waitcnt vmcnt(0)
	v_mul_f32_e32 v0, v66, v0
	v_mul_f32_e32 v0, v62, v0
	global_store_b32 v[7:8], v0, off
	global_load_b32 v0, v[11:12], off
	v_lshlrev_b64 v[7:8], 2, v[1:2]
	v_add_nc_u32_e32 v1, s4, v1
	s_delay_alu instid0(VALU_DEP_2) | instskip(NEXT) | instid1(VALU_DEP_3)
	v_add_co_u32 v7, vcc_lo, s2, v7
	v_add_co_ci_u32_e32 v8, vcc_lo, s3, v8, vcc_lo
	s_waitcnt vmcnt(0)
	v_mul_f32_e32 v0, v45, v0
	global_store_b32 v[11:12], v0, off
	global_load_b32 v0, v[7:8], off
	v_lshlrev_b64 v[11:12], 2, v[1:2]
	v_add_nc_u32_e32 v1, s4, v1
	s_delay_alu instid0(VALU_DEP_2) | instskip(NEXT) | instid1(VALU_DEP_3)
	v_add_co_u32 v11, vcc_lo, s2, v11
	v_add_co_ci_u32_e32 v12, vcc_lo, s3, v12, vcc_lo
	s_waitcnt vmcnt(0)
	v_mul_f32_e32 v0, v24, v0
	s_delay_alu instid0(VALU_DEP_1) | instskip(SKIP_4) | instid1(VALU_DEP_2)
	v_mul_f32_e32 v0, v62, v0
	global_store_b32 v[7:8], v0, off
	global_load_b32 v0, v[11:12], off
	v_lshlrev_b64 v[7:8], 2, v[1:2]
	v_add_nc_u32_e32 v1, s5, v1
	v_add_co_u32 v7, vcc_lo, s2, v7
	s_delay_alu instid0(VALU_DEP_3) | instskip(SKIP_2) | instid1(VALU_DEP_1)
	v_add_co_ci_u32_e32 v8, vcc_lo, s3, v8, vcc_lo
	s_waitcnt vmcnt(0)
	v_mul_f32_e32 v0, v21, v0
	v_mul_f32_e32 v0, v45, v0
	global_store_b32 v[11:12], v0, off
	global_load_b32 v0, v[7:8], off
	v_lshlrev_b64 v[11:12], 2, v[1:2]
	v_add_nc_u32_e32 v1, s4, v1
	s_delay_alu instid0(VALU_DEP_2) | instskip(NEXT) | instid1(VALU_DEP_3)
	v_add_co_u32 v11, vcc_lo, s2, v11
	v_add_co_ci_u32_e32 v12, vcc_lo, s3, v12, vcc_lo
	s_waitcnt vmcnt(0)
	v_mul_f32_e32 v0, v45, v0
	global_store_b32 v[7:8], v0, off
	global_load_b32 v0, v[11:12], off
	v_lshlrev_b64 v[7:8], 2, v[1:2]
	v_add_nc_u32_e32 v1, s4, v1
	s_delay_alu instid0(VALU_DEP_2) | instskip(NEXT) | instid1(VALU_DEP_3)
	v_add_co_u32 v7, vcc_lo, s2, v7
	v_add_co_ci_u32_e32 v8, vcc_lo, s3, v8, vcc_lo
	s_waitcnt vmcnt(0)
	v_mul_f32_e32 v0, v46, v0
	s_delay_alu instid0(VALU_DEP_1) | instskip(SKIP_4) | instid1(VALU_DEP_2)
	v_mul_f32_e32 v0, v62, v0
	global_store_b32 v[11:12], v0, off
	global_load_b32 v0, v[7:8], off
	v_lshlrev_b64 v[11:12], 2, v[1:2]
	v_add_nc_u32_e32 v1, s4, v1
	v_add_co_u32 v11, vcc_lo, s2, v11
	s_delay_alu instid0(VALU_DEP_3)
	v_add_co_ci_u32_e32 v12, vcc_lo, s3, v12, vcc_lo
	s_waitcnt vmcnt(0)
	v_mul_f32_e32 v0, v45, v0
	global_store_b32 v[7:8], v0, off
	global_load_b32 v0, v[11:12], off
	v_lshlrev_b64 v[7:8], 2, v[1:2]
	v_add_nc_u32_e32 v1, s5, v1
	s_delay_alu instid0(VALU_DEP_2) | instskip(NEXT) | instid1(VALU_DEP_3)
	v_add_co_u32 v7, vcc_lo, s2, v7
	v_add_co_ci_u32_e32 v8, vcc_lo, s3, v8, vcc_lo
	s_waitcnt vmcnt(0)
	v_mul_f32_e32 v0, v24, v0
	s_delay_alu instid0(VALU_DEP_1) | instskip(SKIP_4) | instid1(VALU_DEP_2)
	v_mul_f32_e32 v0, v62, v0
	global_store_b32 v[11:12], v0, off
	global_load_b32 v0, v[7:8], off
	v_lshlrev_b64 v[11:12], 2, v[1:2]
	v_add_nc_u32_e32 v1, s4, v1
	v_add_co_u32 v11, vcc_lo, s2, v11
	s_delay_alu instid0(VALU_DEP_3)
	v_add_co_ci_u32_e32 v12, vcc_lo, s3, v12, vcc_lo
	s_waitcnt vmcnt(0)
	v_mul_f32_e32 v0, v65, v0
	global_store_b32 v[7:8], v0, off
	global_load_b32 v0, v[11:12], off
	v_lshlrev_b64 v[7:8], 2, v[1:2]
	v_add_nc_u32_e32 v1, s4, v1
	s_delay_alu instid0(VALU_DEP_2) | instskip(NEXT) | instid1(VALU_DEP_3)
	v_add_co_u32 v7, vcc_lo, s2, v7
	v_add_co_ci_u32_e32 v8, vcc_lo, s3, v8, vcc_lo
	s_waitcnt vmcnt(0)
	v_mul_f32_e32 v0, v66, v0
	s_delay_alu instid0(VALU_DEP_1) | instskip(SKIP_4) | instid1(VALU_DEP_2)
	v_mul_f32_e32 v0, v61, v0
	global_store_b32 v[11:12], v0, off
	global_load_b32 v0, v[7:8], off
	v_lshlrev_b64 v[11:12], 2, v[1:2]
	v_add_nc_u32_e32 v1, s4, v1
	v_add_co_u32 v11, vcc_lo, s2, v11
	s_delay_alu instid0(VALU_DEP_3) | instskip(SKIP_2) | instid1(VALU_DEP_1)
	v_add_co_ci_u32_e32 v12, vcc_lo, s3, v12, vcc_lo
	s_waitcnt vmcnt(0)
	v_mul_f32_e32 v0, v21, v0
	v_mul_f32_e32 v0, v45, v0
	global_store_b32 v[7:8], v0, off
	global_load_b32 v0, v[11:12], off
	v_lshlrev_b64 v[7:8], 2, v[1:2]
	v_add_nc_u32_e32 v1, s4, v1
	s_delay_alu instid0(VALU_DEP_2) | instskip(NEXT) | instid1(VALU_DEP_3)
	v_add_co_u32 v7, vcc_lo, s2, v7
	v_add_co_ci_u32_e32 v8, vcc_lo, s3, v8, vcc_lo
	s_waitcnt vmcnt(0)
	v_mul_f32_e32 v0, v66, v0
	s_delay_alu instid0(VALU_DEP_1) | instskip(SKIP_4) | instid1(VALU_DEP_2)
	v_mul_f32_e32 v0, v58, v0
	global_store_b32 v[11:12], v0, off
	global_load_b32 v0, v[7:8], off
	v_lshlrev_b64 v[11:12], 2, v[1:2]
	v_add_nc_u32_e32 v1, s4, v1
	v_add_co_u32 v11, vcc_lo, s2, v11
	s_delay_alu instid0(VALU_DEP_3)
	v_add_co_ci_u32_e32 v12, vcc_lo, s3, v12, vcc_lo
	s_waitcnt vmcnt(0)
	v_mul_f32_e32 v0, v65, v0
	global_store_b32 v[7:8], v0, off
	global_load_b32 v0, v[11:12], off
	v_lshlrev_b64 v[7:8], 2, v[1:2]
	v_add_nc_u32_e32 v1, s4, v1
	s_delay_alu instid0(VALU_DEP_2) | instskip(NEXT) | instid1(VALU_DEP_3)
	v_add_co_u32 v7, vcc_lo, s2, v7
	v_add_co_ci_u32_e32 v8, vcc_lo, s3, v8, vcc_lo
	s_waitcnt vmcnt(0)
	v_mul_f32_e32 v0, v66, v0
	s_delay_alu instid0(VALU_DEP_1) | instskip(SKIP_4) | instid1(VALU_DEP_2)
	v_mul_f32_e32 v0, v60, v0
	global_store_b32 v[11:12], v0, off
	global_load_b32 v0, v[7:8], off
	v_lshlrev_b64 v[11:12], 2, v[1:2]
	v_add_nc_u32_e32 v1, s4, v1
	v_add_co_u32 v11, vcc_lo, s2, v11
	s_delay_alu instid0(VALU_DEP_3)
	v_add_co_ci_u32_e32 v12, vcc_lo, s3, v12, vcc_lo
	s_waitcnt vmcnt(0)
	;; [unrolled: 20-line block ×3, first 2 shown]
	v_mul_f32_e32 v0, v61, v0
	global_store_b32 v[7:8], v0, off
	global_load_b32 v0, v[11:12], off
	v_lshlrev_b64 v[7:8], 2, v[1:2]
	v_add_nc_u32_e32 v1, s4, v1
	s_delay_alu instid0(VALU_DEP_2) | instskip(NEXT) | instid1(VALU_DEP_3)
	v_add_co_u32 v7, vcc_lo, s2, v7
	v_add_co_ci_u32_e32 v8, vcc_lo, s3, v8, vcc_lo
	s_waitcnt vmcnt(0)
	v_mul_f32_e32 v0, v24, v0
	s_delay_alu instid0(VALU_DEP_1) | instskip(SKIP_4) | instid1(VALU_DEP_2)
	v_mul_f32_e32 v0, v62, v0
	global_store_b32 v[11:12], v0, off
	global_load_b32 v0, v[7:8], off
	v_lshlrev_b64 v[11:12], 2, v[1:2]
	v_add_nc_u32_e32 v1, s4, v1
	v_add_co_u32 v11, vcc_lo, s2, v11
	s_delay_alu instid0(VALU_DEP_3) | instskip(SKIP_2) | instid1(VALU_DEP_1)
	v_add_co_ci_u32_e32 v12, vcc_lo, s3, v12, vcc_lo
	s_waitcnt vmcnt(0)
	v_mul_f32_e32 v0, v21, v0
	v_mul_f32_e32 v0, v45, v0
	global_store_b32 v[7:8], v0, off
	global_load_b32 v0, v[11:12], off
	v_lshlrev_b64 v[7:8], 2, v[1:2]
	v_add_nc_u32_e32 v1, s4, v1
	s_delay_alu instid0(VALU_DEP_2) | instskip(NEXT) | instid1(VALU_DEP_3)
	v_add_co_u32 v7, vcc_lo, s2, v7
	v_add_co_ci_u32_e32 v8, vcc_lo, s3, v8, vcc_lo
	s_waitcnt vmcnt(0)
	v_mul_f32_e32 v0, v46, v0
	s_delay_alu instid0(VALU_DEP_1) | instskip(SKIP_4) | instid1(VALU_DEP_2)
	v_mul_f32_e32 v0, v60, v0
	global_store_b32 v[11:12], v0, off
	global_load_b32 v0, v[7:8], off
	v_lshlrev_b64 v[11:12], 2, v[1:2]
	v_add_nc_u32_e32 v1, s4, v1
	v_add_co_u32 v11, vcc_lo, s2, v11
	s_delay_alu instid0(VALU_DEP_3) | instskip(SKIP_2) | instid1(VALU_DEP_1)
	v_add_co_ci_u32_e32 v12, vcc_lo, s3, v12, vcc_lo
	s_waitcnt vmcnt(0)
	v_mul_f32_e32 v0, v46, v0
	v_mul_f32_e32 v0, v59, v0
	global_store_b32 v[7:8], v0, off
	global_load_b32 v0, v[11:12], off
	v_lshlrev_b64 v[7:8], 2, v[1:2]
	v_add_nc_u32_e32 v1, s4, v1
	s_delay_alu instid0(VALU_DEP_2) | instskip(NEXT) | instid1(VALU_DEP_3)
	v_add_co_u32 v7, vcc_lo, s2, v7
	v_add_co_ci_u32_e32 v8, vcc_lo, s3, v8, vcc_lo
	s_waitcnt vmcnt(0)
	v_mul_f32_e32 v0, v64, v0
	global_store_b32 v[11:12], v0, off
	global_load_b32 v0, v[7:8], off
	v_lshlrev_b64 v[11:12], 2, v[1:2]
	v_add_nc_u32_e32 v1, s4, v1
	s_delay_alu instid0(VALU_DEP_2) | instskip(NEXT) | instid1(VALU_DEP_3)
	v_add_co_u32 v11, vcc_lo, s2, v11
	v_add_co_ci_u32_e32 v12, vcc_lo, s3, v12, vcc_lo
	s_waitcnt vmcnt(0)
	;; [unrolled: 9-line block ×4, first 2 shown]
	v_mul_f32_e32 v0, v5, v0
	s_delay_alu instid0(VALU_DEP_1) | instskip(SKIP_4) | instid1(VALU_DEP_2)
	v_mul_f32_e32 v0, v59, v0
	global_store_b32 v[7:8], v0, off
	global_load_b32 v0, v[11:12], off
	v_lshlrev_b64 v[7:8], 2, v[1:2]
	v_add_nc_u32_e32 v1, s4, v1
	v_add_co_u32 v7, vcc_lo, s2, v7
	s_delay_alu instid0(VALU_DEP_3) | instskip(SKIP_2) | instid1(VALU_DEP_1)
	v_add_co_ci_u32_e32 v8, vcc_lo, s3, v8, vcc_lo
	s_waitcnt vmcnt(0)
	v_mul_f32_e32 v0, v5, v0
	v_mul_f32_e32 v0, v45, v0
	global_store_b32 v[11:12], v0, off
	global_load_b32 v0, v[7:8], off
	v_lshlrev_b64 v[11:12], 2, v[1:2]
	v_add_nc_u32_e32 v1, s4, v1
	s_delay_alu instid0(VALU_DEP_2) | instskip(NEXT) | instid1(VALU_DEP_3)
	v_add_co_u32 v11, vcc_lo, s2, v11
	v_add_co_ci_u32_e32 v12, vcc_lo, s3, v12, vcc_lo
	s_waitcnt vmcnt(0)
	v_mul_f32_e32 v0, v46, v0
	s_delay_alu instid0(VALU_DEP_1) | instskip(SKIP_4) | instid1(VALU_DEP_2)
	v_mul_f32_e32 v0, v15, v0
	global_store_b32 v[7:8], v0, off
	global_load_b32 v0, v[11:12], off
	v_lshlrev_b64 v[7:8], 2, v[1:2]
	v_add_nc_u32_e32 v1, s4, v1
	v_add_co_u32 v7, vcc_lo, s2, v7
	s_delay_alu instid0(VALU_DEP_3)
	v_add_co_ci_u32_e32 v8, vcc_lo, s3, v8, vcc_lo
	s_waitcnt vmcnt(0)
	v_mul_f32_e32 v0, v0, v4
	global_store_b32 v[11:12], v0, off
	global_load_b32 v0, v[7:8], off
	v_lshlrev_b64 v[11:12], 2, v[1:2]
	v_add_nc_u32_e32 v1, s4, v1
	s_delay_alu instid0(VALU_DEP_2) | instskip(NEXT) | instid1(VALU_DEP_3)
	v_add_co_u32 v11, vcc_lo, s2, v11
	v_add_co_ci_u32_e32 v12, vcc_lo, s3, v12, vcc_lo
	s_waitcnt vmcnt(0)
	v_mul_f32_e32 v0, v0, v3
	s_delay_alu instid0(VALU_DEP_1) | instskip(SKIP_4) | instid1(VALU_DEP_2)
	v_mul_f32_e32 v0, v62, v0
	global_store_b32 v[7:8], v0, off
	global_load_b32 v0, v[11:12], off
	v_lshlrev_b64 v[7:8], 2, v[1:2]
	v_add_nc_u32_e32 v1, s4, v1
	v_add_co_u32 v7, vcc_lo, s2, v7
	s_delay_alu instid0(VALU_DEP_3) | instskip(SKIP_2) | instid1(VALU_DEP_1)
	v_add_co_ci_u32_e32 v8, vcc_lo, s3, v8, vcc_lo
	s_waitcnt vmcnt(0)
	v_mul_f32_e32 v0, v21, v0
	v_mul_f32_e32 v0, v45, v0
	global_store_b32 v[11:12], v0, off
	global_load_b32 v0, v[7:8], off
	v_lshlrev_b64 v[11:12], 2, v[1:2]
	v_add_nc_u32_e32 v1, s4, v1
	s_delay_alu instid0(VALU_DEP_2) | instskip(NEXT) | instid1(VALU_DEP_3)
	v_add_co_u32 v11, vcc_lo, s2, v11
	v_add_co_ci_u32_e32 v12, vcc_lo, s3, v12, vcc_lo
	s_waitcnt vmcnt(0)
	v_mul_f32_e32 v0, v10, v0
	global_store_b32 v[7:8], v0, off
	global_load_b32 v0, v[11:12], off
	v_lshlrev_b64 v[7:8], 2, v[1:2]
	v_add_nc_u32_e32 v1, s4, v1
	s_delay_alu instid0(VALU_DEP_2) | instskip(NEXT) | instid1(VALU_DEP_3)
	v_add_co_u32 v7, vcc_lo, s2, v7
	v_add_co_ci_u32_e32 v8, vcc_lo, s3, v8, vcc_lo
	s_waitcnt vmcnt(0)
	;; [unrolled: 9-line block ×3, first 2 shown]
	v_mul_f32_e32 v0, v24, v0
	s_delay_alu instid0(VALU_DEP_1) | instskip(SKIP_4) | instid1(VALU_DEP_2)
	v_mul_f32_e32 v0, v61, v0
	global_store_b32 v[7:8], v0, off
	global_load_b32 v0, v[11:12], off
	v_lshlrev_b64 v[7:8], 2, v[1:2]
	v_add_nc_u32_e32 v1, s4, v1
	v_add_co_u32 v7, vcc_lo, s2, v7
	s_delay_alu instid0(VALU_DEP_3) | instskip(SKIP_2) | instid1(VALU_DEP_1)
	v_add_co_ci_u32_e32 v8, vcc_lo, s3, v8, vcc_lo
	s_waitcnt vmcnt(0)
	v_mul_f32_e32 v0, v24, v0
	v_mul_f32_e32 v0, v58, v0
	global_store_b32 v[11:12], v0, off
	global_load_b32 v0, v[7:8], off
	v_lshlrev_b64 v[11:12], 2, v[1:2]
	v_add_nc_u32_e32 v1, s4, v1
	s_delay_alu instid0(VALU_DEP_2) | instskip(NEXT) | instid1(VALU_DEP_3)
	v_add_co_u32 v11, vcc_lo, s2, v11
	v_add_co_ci_u32_e32 v12, vcc_lo, s3, v12, vcc_lo
	s_waitcnt vmcnt(0)
	v_mul_f32_e32 v0, v24, v0
	s_delay_alu instid0(VALU_DEP_1) | instskip(SKIP_4) | instid1(VALU_DEP_2)
	v_mul_f32_e32 v0, v60, v0
	global_store_b32 v[7:8], v0, off
	global_load_b32 v0, v[11:12], off
	v_lshlrev_b64 v[7:8], 2, v[1:2]
	v_add_nc_u32_e32 v1, s4, v1
	v_add_co_u32 v7, vcc_lo, s2, v7
	s_delay_alu instid0(VALU_DEP_3) | instskip(SKIP_2) | instid1(VALU_DEP_1)
	v_add_co_ci_u32_e32 v8, vcc_lo, s3, v8, vcc_lo
	s_waitcnt vmcnt(0)
	v_mul_f32_e32 v0, v24, v0
	v_mul_f32_e32 v0, v59, v0
	global_store_b32 v[11:12], v0, off
	global_load_b32 v0, v[7:8], off
	v_lshlrev_b64 v[11:12], 2, v[1:2]
	v_add_nc_u32_e32 v1, s5, v1
	s_delay_alu instid0(VALU_DEP_2) | instskip(NEXT) | instid1(VALU_DEP_3)
	v_add_co_u32 v11, vcc_lo, s2, v11
	v_add_co_ci_u32_e32 v12, vcc_lo, s3, v12, vcc_lo
	s_waitcnt vmcnt(0)
	v_mul_f32_e32 v0, v22, v0
	s_delay_alu instid0(VALU_DEP_1) | instskip(NEXT) | instid1(VALU_DEP_1)
	v_mul_f32_e32 v0, v45, v0
	v_mul_f32_e32 v0, v58, v0
	global_store_b32 v[7:8], v0, off
	global_load_b32 v0, v[11:12], off
	v_lshlrev_b64 v[7:8], 2, v[1:2]
	v_add_nc_u32_e32 v1, s4, v1
	s_delay_alu instid0(VALU_DEP_2) | instskip(NEXT) | instid1(VALU_DEP_3)
	v_add_co_u32 v7, vcc_lo, s2, v7
	v_add_co_ci_u32_e32 v8, vcc_lo, s3, v8, vcc_lo
	s_waitcnt vmcnt(0)
	v_mul_f32_e32 v0, v61, v0
	global_store_b32 v[11:12], v0, off
	global_load_b32 v0, v[7:8], off
	v_lshlrev_b64 v[11:12], 2, v[1:2]
	v_add_nc_u32_e32 v1, s4, v1
	s_delay_alu instid0(VALU_DEP_2) | instskip(NEXT) | instid1(VALU_DEP_3)
	v_add_co_u32 v11, vcc_lo, s2, v11
	v_add_co_ci_u32_e32 v12, vcc_lo, s3, v12, vcc_lo
	s_waitcnt vmcnt(0)
	;; [unrolled: 9-line block ×8, first 2 shown]
	v_mul_f32_e32 v0, v10, v0
	s_delay_alu instid0(VALU_DEP_1) | instskip(SKIP_4) | instid1(VALU_DEP_2)
	v_mul_f32_e32 v0, v58, v0
	global_store_b32 v[7:8], v0, off
	global_load_b32 v0, v[11:12], off
	v_lshlrev_b64 v[7:8], 2, v[1:2]
	v_add_nc_u32_e32 v1, s4, v1
	v_add_co_u32 v7, vcc_lo, s2, v7
	s_delay_alu instid0(VALU_DEP_3)
	v_add_co_ci_u32_e32 v8, vcc_lo, s3, v8, vcc_lo
	s_waitcnt vmcnt(0)
	v_mul_f32_e32 v0, v45, v0
	global_store_b32 v[11:12], v0, off
	global_load_b32 v0, v[7:8], off
	v_lshlrev_b64 v[11:12], 2, v[1:2]
	v_add_nc_u32_e32 v1, s4, v1
	s_delay_alu instid0(VALU_DEP_2) | instskip(NEXT) | instid1(VALU_DEP_3)
	v_add_co_u32 v11, vcc_lo, s2, v11
	v_add_co_ci_u32_e32 v12, vcc_lo, s3, v12, vcc_lo
	s_waitcnt vmcnt(0)
	v_mul_f32_e32 v0, v3, v0
	s_delay_alu instid0(VALU_DEP_1) | instskip(SKIP_4) | instid1(VALU_DEP_2)
	v_mul_f32_e32 v0, v62, v0
	global_store_b32 v[7:8], v0, off
	global_load_b32 v0, v[11:12], off
	v_lshlrev_b64 v[7:8], 2, v[1:2]
	v_add_nc_u32_e32 v1, s4, v1
	v_add_co_u32 v7, vcc_lo, s2, v7
	s_delay_alu instid0(VALU_DEP_3)
	v_add_co_ci_u32_e32 v8, vcc_lo, s3, v8, vcc_lo
	s_waitcnt vmcnt(0)
	v_mul_f32_e32 v0, v15, v0
	global_store_b32 v[11:12], v0, off
	global_load_b32 v0, v[7:8], off
	v_lshlrev_b64 v[11:12], 2, v[1:2]
	v_add_nc_u32_e32 v1, s5, v1
	s_delay_alu instid0(VALU_DEP_2) | instskip(NEXT) | instid1(VALU_DEP_3)
	v_add_co_u32 v11, vcc_lo, s2, v11
	v_add_co_ci_u32_e32 v12, vcc_lo, s3, v12, vcc_lo
	s_waitcnt vmcnt(0)
	;; [unrolled: 20-line block ×3, first 2 shown]
	v_mul_f32_e32 v0, v6, v0
	global_store_b32 v[7:8], v0, off
	global_load_b32 v0, v[11:12], off
	v_lshlrev_b64 v[7:8], 2, v[1:2]
	v_add_nc_u32_e32 v1, s4, v1
	s_delay_alu instid0(VALU_DEP_2) | instskip(NEXT) | instid1(VALU_DEP_3)
	v_add_co_u32 v7, vcc_lo, s2, v7
	v_add_co_ci_u32_e32 v8, vcc_lo, s3, v8, vcc_lo
	s_waitcnt vmcnt(0)
	v_mul_f32_e32 v0, v5, v0
	s_delay_alu instid0(VALU_DEP_1) | instskip(SKIP_4) | instid1(VALU_DEP_2)
	v_mul_f32_e32 v0, v61, v0
	global_store_b32 v[11:12], v0, off
	global_load_b32 v0, v[7:8], off
	v_lshlrev_b64 v[11:12], 2, v[1:2]
	v_add_nc_u32_e32 v1, s4, v1
	v_add_co_u32 v11, vcc_lo, s2, v11
	s_delay_alu instid0(VALU_DEP_3) | instskip(SKIP_2) | instid1(VALU_DEP_1)
	v_add_co_ci_u32_e32 v12, vcc_lo, s3, v12, vcc_lo
	s_waitcnt vmcnt(0)
	v_mul_f32_e32 v0, v21, v0
	v_mul_f32_e32 v0, v22, v0
	global_store_b32 v[7:8], v0, off
	global_load_b32 v0, v[11:12], off
	v_lshlrev_b64 v[7:8], 2, v[1:2]
	v_add_nc_u32_e32 v1, s4, v1
	s_delay_alu instid0(VALU_DEP_2) | instskip(NEXT) | instid1(VALU_DEP_3)
	v_add_co_u32 v7, vcc_lo, s2, v7
	v_add_co_ci_u32_e32 v8, vcc_lo, s3, v8, vcc_lo
	s_waitcnt vmcnt(0)
	v_mul_f32_e32 v0, v10, v0
	v_lshlrev_b64 v[9:10], 2, v[1:2]
	s_delay_alu instid0(VALU_DEP_2) | instskip(NEXT) | instid1(VALU_DEP_2)
	v_dual_mul_f32 v0, v62, v0 :: v_dual_add_nc_u32 v1, s4, v1
	v_add_co_u32 v9, vcc_lo, s2, v9
	s_delay_alu instid0(VALU_DEP_3) | instskip(SKIP_4) | instid1(VALU_DEP_1)
	v_add_co_ci_u32_e32 v10, vcc_lo, s3, v10, vcc_lo
	global_store_b32 v[11:12], v0, off
	global_load_b32 v0, v[7:8], off
	s_waitcnt vmcnt(0)
	v_mul_f32_e32 v0, v5, v0
	v_mul_f32_e32 v0, v59, v0
	global_store_b32 v[7:8], v0, off
	global_load_b32 v0, v[9:10], off
	v_lshlrev_b64 v[7:8], 2, v[1:2]
	v_add_nc_u32_e32 v1, s4, v1
	s_delay_alu instid0(VALU_DEP_2) | instskip(NEXT) | instid1(VALU_DEP_3)
	v_add_co_u32 v7, vcc_lo, s2, v7
	v_add_co_ci_u32_e32 v8, vcc_lo, s3, v8, vcc_lo
	s_waitcnt vmcnt(0)
	v_mul_f32_e32 v0, v6, v0
	s_delay_alu instid0(VALU_DEP_1) | instskip(SKIP_4) | instid1(VALU_DEP_2)
	v_mul_f32_e32 v0, v63, v0
	global_store_b32 v[9:10], v0, off
	global_load_b32 v0, v[7:8], off
	v_lshlrev_b64 v[9:10], 2, v[1:2]
	v_add_nc_u32_e32 v1, s4, v1
	v_add_co_u32 v9, vcc_lo, s2, v9
	s_delay_alu instid0(VALU_DEP_3) | instskip(SKIP_2) | instid1(VALU_DEP_1)
	v_add_co_ci_u32_e32 v10, vcc_lo, s3, v10, vcc_lo
	s_waitcnt vmcnt(0)
	v_mul_f32_e32 v0, v5, v0
	v_mul_f32_e32 v0, v23, v0
	global_store_b32 v[7:8], v0, off
	global_load_b32 v0, v[9:10], off
	v_lshlrev_b64 v[7:8], 2, v[1:2]
	v_add_nc_u32_e32 v1, s4, v1
	s_delay_alu instid0(VALU_DEP_2) | instskip(NEXT) | instid1(VALU_DEP_3)
	v_add_co_u32 v7, vcc_lo, s2, v7
	v_add_co_ci_u32_e32 v8, vcc_lo, s3, v8, vcc_lo
	s_waitcnt vmcnt(0)
	v_mul_f32_e32 v0, v21, v0
	s_delay_alu instid0(VALU_DEP_1) | instskip(NEXT) | instid1(VALU_DEP_1)
	v_mul_f32_e32 v0, v22, v0
	v_mul_f32_e32 v0, v58, v0
	global_store_b32 v[9:10], v0, off
	global_load_b32 v0, v[7:8], off
	v_lshlrev_b64 v[9:10], 2, v[1:2]
	v_add_nc_u32_e32 v1, s4, v1
	s_delay_alu instid0(VALU_DEP_2) | instskip(NEXT) | instid1(VALU_DEP_3)
	v_add_co_u32 v9, vcc_lo, s2, v9
	v_add_co_ci_u32_e32 v10, vcc_lo, s3, v10, vcc_lo
	s_waitcnt vmcnt(0)
	v_mul_f32_e32 v0, v6, v0
	s_delay_alu instid0(VALU_DEP_1)
	v_mul_f32_e32 v0, v59, v0
	global_store_b32 v[7:8], v0, off
	global_load_b32 v0, v[9:10], off
	s_waitcnt vmcnt(0)
	v_mul_f32_e32 v0, v6, v0
	v_lshlrev_b64 v[6:7], 2, v[1:2]
	s_delay_alu instid0(VALU_DEP_2) | instskip(NEXT) | instid1(VALU_DEP_2)
	v_dual_mul_f32 v0, v45, v0 :: v_dual_add_nc_u32 v1, s4, v1
	v_add_co_u32 v6, vcc_lo, s2, v6
	s_delay_alu instid0(VALU_DEP_3)
	v_add_co_ci_u32_e32 v7, vcc_lo, s3, v7, vcc_lo
	global_store_b32 v[9:10], v0, off
	v_lshlrev_b64 v[8:9], 2, v[1:2]
	v_add_nc_u32_e32 v1, s4, v1
	global_load_b32 v0, v[6:7], off
	v_add_co_u32 v8, vcc_lo, s2, v8
	v_add_co_ci_u32_e32 v9, vcc_lo, s3, v9, vcc_lo
	s_waitcnt vmcnt(0)
	v_mul_f32_e32 v0, v61, v0
	global_store_b32 v[6:7], v0, off
	global_load_b32 v0, v[8:9], off
	v_lshlrev_b64 v[6:7], 2, v[1:2]
	v_add_nc_u32_e32 v1, s4, v1
	s_delay_alu instid0(VALU_DEP_2) | instskip(NEXT) | instid1(VALU_DEP_3)
	v_add_co_u32 v6, vcc_lo, s2, v6
	v_add_co_ci_u32_e32 v7, vcc_lo, s3, v7, vcc_lo
	s_waitcnt vmcnt(0)
	v_mul_f32_e32 v0, v58, v0
	global_store_b32 v[8:9], v0, off
	global_load_b32 v0, v[6:7], off
	v_lshlrev_b64 v[8:9], 2, v[1:2]
	v_add_nc_u32_e32 v1, s4, v1
	s_delay_alu instid0(VALU_DEP_2) | instskip(NEXT) | instid1(VALU_DEP_3)
	;; [unrolled: 9-line block ×7, first 2 shown]
	v_add_co_u32 v6, vcc_lo, s2, v6
	v_add_co_ci_u32_e32 v7, vcc_lo, s3, v7, vcc_lo
	s_waitcnt vmcnt(0)
	v_mul_f32_e32 v0, v4, v0
	s_delay_alu instid0(VALU_DEP_1) | instskip(SKIP_4) | instid1(VALU_DEP_2)
	v_mul_f32_e32 v0, v63, v0
	global_store_b32 v[8:9], v0, off
	global_load_b32 v0, v[6:7], off
	v_lshlrev_b64 v[8:9], 2, v[1:2]
	v_add_nc_u32_e32 v1, s5, v1
	v_add_co_u32 v8, vcc_lo, s2, v8
	s_delay_alu instid0(VALU_DEP_3) | instskip(SKIP_2) | instid1(VALU_DEP_1)
	v_add_co_ci_u32_e32 v9, vcc_lo, s3, v9, vcc_lo
	s_waitcnt vmcnt(0)
	v_mul_f32_e32 v0, v58, v0
	v_mul_f32_e32 v0, v22, v0
	global_store_b32 v[6:7], v0, off
	global_load_b32 v0, v[8:9], off
	v_lshlrev_b64 v[6:7], 2, v[1:2]
	v_add_nc_u32_e32 v1, s4, v1
	s_delay_alu instid0(VALU_DEP_2) | instskip(NEXT) | instid1(VALU_DEP_3)
	v_add_co_u32 v6, vcc_lo, s2, v6
	v_add_co_ci_u32_e32 v7, vcc_lo, s3, v7, vcc_lo
	s_waitcnt vmcnt(0)
	v_mul_f32_e32 v0, v4, v0
	s_delay_alu instid0(VALU_DEP_1) | instskip(SKIP_4) | instid1(VALU_DEP_2)
	v_mul_f32_e32 v0, v45, v0
	global_store_b32 v[8:9], v0, off
	global_load_b32 v0, v[6:7], off
	v_lshlrev_b64 v[8:9], 2, v[1:2]
	v_add_nc_u32_e32 v1, s4, v1
	v_add_co_u32 v8, vcc_lo, s2, v8
	s_delay_alu instid0(VALU_DEP_3) | instskip(SKIP_2) | instid1(VALU_DEP_1)
	v_add_co_ci_u32_e32 v9, vcc_lo, s3, v9, vcc_lo
	s_waitcnt vmcnt(0)
	v_mul_f32_e32 v0, v5, v0
	v_mul_f32_e32 v0, v21, v0
	global_store_b32 v[6:7], v0, off
	global_load_b32 v0, v[8:9], off
	v_lshlrev_b64 v[5:6], 2, v[1:2]
	v_add_nc_u32_e32 v1, s5, v1
	s_delay_alu instid0(VALU_DEP_2) | instskip(NEXT) | instid1(VALU_DEP_3)
	v_add_co_u32 v5, vcc_lo, s2, v5
	v_add_co_ci_u32_e32 v6, vcc_lo, s3, v6, vcc_lo
	s_waitcnt vmcnt(0)
	v_mul_f32_e32 v0, v3, v0
	s_delay_alu instid0(VALU_DEP_1) | instskip(SKIP_4) | instid1(VALU_DEP_2)
	v_mul_f32_e32 v0, v61, v0
	global_store_b32 v[8:9], v0, off
	global_load_b32 v0, v[5:6], off
	v_lshlrev_b64 v[7:8], 2, v[1:2]
	v_add_nc_u32_e32 v1, s4, v1
	v_add_co_u32 v7, vcc_lo, s2, v7
	s_delay_alu instid0(VALU_DEP_3) | instskip(SKIP_2) | instid1(VALU_DEP_1)
	v_add_co_ci_u32_e32 v8, vcc_lo, s3, v8, vcc_lo
	s_waitcnt vmcnt(0)
	v_mul_f32_e32 v0, v24, v0
	v_mul_f32_e32 v0, v21, v0
	s_delay_alu instid0(VALU_DEP_1) | instskip(SKIP_4) | instid1(VALU_DEP_2)
	v_mul_f32_e32 v0, v62, v0
	global_store_b32 v[5:6], v0, off
	global_load_b32 v0, v[7:8], off
	v_lshlrev_b64 v[5:6], 2, v[1:2]
	v_add_nc_u32_e32 v1, s4, v1
	v_add_co_u32 v5, vcc_lo, s2, v5
	s_delay_alu instid0(VALU_DEP_3) | instskip(SKIP_2) | instid1(VALU_DEP_1)
	v_add_co_ci_u32_e32 v6, vcc_lo, s3, v6, vcc_lo
	s_waitcnt vmcnt(0)
	v_mul_f32_e32 v0, v3, v0
	v_mul_f32_e32 v0, v58, v0
	global_store_b32 v[7:8], v0, off
	global_load_b32 v0, v[5:6], off
	v_lshlrev_b64 v[7:8], 2, v[1:2]
	v_add_nc_u32_e32 v1, s4, v1
	s_delay_alu instid0(VALU_DEP_2) | instskip(NEXT) | instid1(VALU_DEP_3)
	v_add_co_u32 v7, vcc_lo, s2, v7
	v_add_co_ci_u32_e32 v8, vcc_lo, s3, v8, vcc_lo
	s_waitcnt vmcnt(0)
	v_mul_f32_e32 v0, v3, v0
	s_delay_alu instid0(VALU_DEP_1) | instskip(SKIP_4) | instid1(VALU_DEP_2)
	v_mul_f32_e32 v0, v60, v0
	global_store_b32 v[5:6], v0, off
	global_load_b32 v0, v[7:8], off
	v_lshlrev_b64 v[5:6], 2, v[1:2]
	v_add_nc_u32_e32 v1, s4, v1
	v_add_co_u32 v5, vcc_lo, s2, v5
	s_delay_alu instid0(VALU_DEP_3) | instskip(SKIP_2) | instid1(VALU_DEP_1)
	v_add_co_ci_u32_e32 v6, vcc_lo, s3, v6, vcc_lo
	s_waitcnt vmcnt(0)
	v_mul_f32_e32 v0, v3, v0
	v_mul_f32_e32 v0, v23, v0
	global_store_b32 v[7:8], v0, off
	global_load_b32 v0, v[5:6], off
	v_lshlrev_b64 v[7:8], 2, v[1:2]
	v_add_nc_u32_e32 v1, s4, v1
	s_delay_alu instid0(VALU_DEP_2) | instskip(NEXT) | instid1(VALU_DEP_3)
	v_add_co_u32 v7, vcc_lo, s2, v7
	v_add_co_ci_u32_e32 v8, vcc_lo, s3, v8, vcc_lo
	s_waitcnt vmcnt(0)
	v_mul_f32_e32 v0, v3, v0
	s_delay_alu instid0(VALU_DEP_1) | instskip(SKIP_4) | instid1(VALU_DEP_2)
	v_mul_f32_e32 v0, v15, v0
	global_store_b32 v[5:6], v0, off
	global_load_b32 v0, v[7:8], off
	v_lshlrev_b64 v[5:6], 2, v[1:2]
	v_add_nc_u32_e32 v1, s4, v1
	v_add_co_u32 v5, vcc_lo, s2, v5
	s_delay_alu instid0(VALU_DEP_3)
	v_add_co_ci_u32_e32 v6, vcc_lo, s3, v6, vcc_lo
	s_waitcnt vmcnt(0)
	v_mul_f32_e32 v0, v21, v0
	global_store_b32 v[7:8], v0, off
	global_load_b32 v0, v[5:6], off
	v_lshlrev_b64 v[7:8], 2, v[1:2]
	v_add_nc_u32_e32 v1, s4, v1
	s_delay_alu instid0(VALU_DEP_2) | instskip(NEXT) | instid1(VALU_DEP_3)
	v_add_co_u32 v7, vcc_lo, s2, v7
	v_add_co_ci_u32_e32 v8, vcc_lo, s3, v8, vcc_lo
	s_waitcnt vmcnt(0)
	v_mul_f32_e32 v0, v4, v0
	s_delay_alu instid0(VALU_DEP_1) | instskip(SKIP_4) | instid1(VALU_DEP_2)
	v_mul_f32_e32 v0, v61, v0
	global_store_b32 v[5:6], v0, off
	global_load_b32 v0, v[7:8], off
	v_lshlrev_b64 v[5:6], 2, v[1:2]
	v_add_nc_u32_e32 v1, s4, v1
	v_add_co_u32 v5, vcc_lo, s2, v5
	s_delay_alu instid0(VALU_DEP_3)
	v_add_co_ci_u32_e32 v6, vcc_lo, s3, v6, vcc_lo
	s_waitcnt vmcnt(0)
	v_mul_f32_e32 v0, v22, v0
	global_store_b32 v[7:8], v0, off
	global_load_b32 v0, v[5:6], off
	v_lshlrev_b64 v[7:8], 2, v[1:2]
	s_delay_alu instid0(VALU_DEP_1) | instskip(NEXT) | instid1(VALU_DEP_2)
	v_add_co_u32 v7, vcc_lo, s2, v7
	v_add_co_ci_u32_e32 v8, vcc_lo, s3, v8, vcc_lo
	s_waitcnt vmcnt(0)
	v_mul_f32_e32 v0, v4, v0
	s_delay_alu instid0(VALU_DEP_1) | instskip(SKIP_4) | instid1(VALU_DEP_1)
	v_mul_f32_e32 v0, v60, v0
	global_store_b32 v[5:6], v0, off
	global_load_b32 v0, v[7:8], off
	s_waitcnt vmcnt(0)
	v_mul_f32_e32 v0, v4, v0
	v_dual_mul_f32 v0, v59, v0 :: v_dual_add_nc_u32 v1, s4, v1
	global_store_b32 v[7:8], v0, off
	v_lshlrev_b64 v[5:6], 2, v[1:2]
	s_delay_alu instid0(VALU_DEP_1) | instskip(NEXT) | instid1(VALU_DEP_2)
	v_add_co_u32 v5, vcc_lo, s2, v5
	v_add_co_ci_u32_e32 v6, vcc_lo, s3, v6, vcc_lo
	global_load_b32 v0, v[5:6], off
	s_waitcnt vmcnt(0)
	v_dual_mul_f32 v0, v58, v0 :: v_dual_add_nc_u32 v1, s4, v1
	s_delay_alu instid0(VALU_DEP_1) | instskip(NEXT) | instid1(VALU_DEP_2)
	v_mul_f32_e32 v0, v22, v0
	v_lshlrev_b64 v[7:8], 2, v[1:2]
	v_add_nc_u32_e32 v1, s4, v1
	global_store_b32 v[5:6], v0, off
	v_add_co_u32 v7, vcc_lo, s2, v7
	v_add_co_ci_u32_e32 v8, vcc_lo, s3, v8, vcc_lo
	global_load_b32 v0, v[7:8], off
	s_waitcnt vmcnt(0)
	v_mul_f32_e32 v5, v15, v0
	v_lshlrev_b64 v[0:1], 2, v[1:2]
	s_delay_alu instid0(VALU_DEP_2) | instskip(NEXT) | instid1(VALU_DEP_2)
	v_mul_f32_e32 v2, v4, v5
	v_add_co_u32 v0, vcc_lo, s2, v0
	s_delay_alu instid0(VALU_DEP_3) | instskip(SKIP_4) | instid1(VALU_DEP_1)
	v_add_co_ci_u32_e32 v1, vcc_lo, s3, v1, vcc_lo
	global_store_b32 v[7:8], v2, off
	global_load_b32 v2, v[0:1], off
	s_waitcnt vmcnt(0)
	v_mul_f32_e32 v2, v3, v2
	v_mul_f32_e32 v2, v21, v2
	global_store_b32 v[0:1], v2, off
	s_nop 0
	s_sendmsg sendmsg(MSG_DEALLOC_VGPRS)
	s_endpgm
	.section	.rodata,"a",@progbits
	.p2align	6, 0x0
	.amdhsa_kernel _Z12ratx4_kernelIfEvPKT_PS0_S3_
		.amdhsa_group_segment_fixed_size 0
		.amdhsa_private_segment_fixed_size 0
		.amdhsa_kernarg_size 280
		.amdhsa_user_sgpr_count 15
		.amdhsa_user_sgpr_dispatch_ptr 0
		.amdhsa_user_sgpr_queue_ptr 0
		.amdhsa_user_sgpr_kernarg_segment_ptr 1
		.amdhsa_user_sgpr_dispatch_id 0
		.amdhsa_user_sgpr_private_segment_size 0
		.amdhsa_wavefront_size32 1
		.amdhsa_uses_dynamic_stack 0
		.amdhsa_enable_private_segment 0
		.amdhsa_system_sgpr_workgroup_id_x 1
		.amdhsa_system_sgpr_workgroup_id_y 0
		.amdhsa_system_sgpr_workgroup_id_z 0
		.amdhsa_system_sgpr_workgroup_info 0
		.amdhsa_system_vgpr_workitem_id 0
		.amdhsa_next_free_vgpr 93
		.amdhsa_next_free_sgpr 16
		.amdhsa_reserve_vcc 1
		.amdhsa_float_round_mode_32 0
		.amdhsa_float_round_mode_16_64 0
		.amdhsa_float_denorm_mode_32 3
		.amdhsa_float_denorm_mode_16_64 3
		.amdhsa_dx10_clamp 1
		.amdhsa_ieee_mode 1
		.amdhsa_fp16_overflow 0
		.amdhsa_workgroup_processor_mode 1
		.amdhsa_memory_ordered 1
		.amdhsa_forward_progress 0
		.amdhsa_shared_vgpr_count 0
		.amdhsa_exception_fp_ieee_invalid_op 0
		.amdhsa_exception_fp_denorm_src 0
		.amdhsa_exception_fp_ieee_div_zero 0
		.amdhsa_exception_fp_ieee_overflow 0
		.amdhsa_exception_fp_ieee_underflow 0
		.amdhsa_exception_fp_ieee_inexact 0
		.amdhsa_exception_int_div_zero 0
	.end_amdhsa_kernel
	.section	.text._Z12ratx4_kernelIfEvPKT_PS0_S3_,"axG",@progbits,_Z12ratx4_kernelIfEvPKT_PS0_S3_,comdat
.Lfunc_end15:
	.size	_Z12ratx4_kernelIfEvPKT_PS0_S3_, .Lfunc_end15-_Z12ratx4_kernelIfEvPKT_PS0_S3_
                                        ; -- End function
	.section	.AMDGPU.csdata,"",@progbits
; Kernel info:
; codeLenInByte = 11448
; NumSgprs: 18
; NumVgprs: 93
; ScratchSize: 0
; MemoryBound: 0
; FloatMode: 240
; IeeeMode: 1
; LDSByteSize: 0 bytes/workgroup (compile time only)
; SGPRBlocks: 2
; VGPRBlocks: 11
; NumSGPRsForWavesPerEU: 18
; NumVGPRsForWavesPerEU: 93
; Occupancy: 16
; WaveLimiterHint : 0
; COMPUTE_PGM_RSRC2:SCRATCH_EN: 0
; COMPUTE_PGM_RSRC2:USER_SGPR: 15
; COMPUTE_PGM_RSRC2:TRAP_HANDLER: 0
; COMPUTE_PGM_RSRC2:TGID_X_EN: 1
; COMPUTE_PGM_RSRC2:TGID_Y_EN: 0
; COMPUTE_PGM_RSRC2:TGID_Z_EN: 0
; COMPUTE_PGM_RSRC2:TIDIG_COMP_CNT: 0
	.section	.text._Z11qssa_kernelIfEvPT_S1_S1_,"axG",@progbits,_Z11qssa_kernelIfEvPT_S1_S1_,comdat
	.protected	_Z11qssa_kernelIfEvPT_S1_S1_ ; -- Begin function _Z11qssa_kernelIfEvPT_S1_S1_
	.globl	_Z11qssa_kernelIfEvPT_S1_S1_
	.p2align	8
	.type	_Z11qssa_kernelIfEvPT_S1_S1_,@function
_Z11qssa_kernelIfEvPT_S1_S1_:           ; @_Z11qssa_kernelIfEvPT_S1_S1_
; %bb.0:
	s_clause 0x3
	s_load_b32 s2, s[0:1], 0x24
	s_load_b32 s3, s[0:1], 0x18
	s_load_b128 s[4:7], s[0:1], 0x0
	s_load_b64 s[0:1], s[0:1], 0x10
	s_waitcnt lgkmcnt(0)
	s_and_b32 s8, s2, 0xffff
	s_delay_alu instid0(SALU_CYCLE_1)
	s_mul_i32 s2, s3, s8
	s_mul_i32 s15, s15, s8
	;; [unrolled: 1-line block ×4, first 2 shown]
	v_add3_u32 v0, s3, s15, v0
	v_mov_b32_e32 v1, 0
	s_mul_i32 s10, s2, 37
	s_mul_i32 s11, s2, 10
	;; [unrolled: 1-line block ×4, first 2 shown]
	v_lshlrev_b64 v[4:5], 2, v[0:1]
	v_add_nc_u32_e32 v0, s2, v0
	s_lshl_b32 s13, s2, 1
	s_mul_i32 s14, s2, 3
	s_mul_i32 s16, s2, 30
	s_lshl_b32 s12, s2, 3
	v_mad_u64_u32 v[8:9], null, 0x55, s2, v[0:1]
	v_add_co_u32 v6, vcc_lo, s4, v4
	v_mov_b32_e32 v9, v1
	v_add_co_ci_u32_e32 v7, vcc_lo, s5, v5, vcc_lo
	v_add_co_u32 v24, vcc_lo, s6, v4
	v_add_co_ci_u32_e32 v25, vcc_lo, s7, v5, vcc_lo
	s_delay_alu instid0(VALU_DEP_4)
	v_mad_u64_u32 v[4:5], null, s2, 36, v[8:9]
	v_lshlrev_b64 v[2:3], 2, v[0:1]
	v_mov_b32_e32 v5, v1
	global_store_b32 v[6:7], v1, off
	s_mul_i32 s15, s2, 11
	s_mul_i32 s17, s2, 17
	;; [unrolled: 1-line block ×3, first 2 shown]
	v_add_nc_u32_e32 v0, s8, v4
	v_lshlrev_b64 v[12:13], 2, v[8:9]
	v_lshlrev_b64 v[10:11], 2, v[4:5]
	v_add_co_u32 v8, vcc_lo, s4, v2
	s_delay_alu instid0(VALU_DEP_4) | instskip(SKIP_4) | instid1(VALU_DEP_4)
	v_mad_u64_u32 v[4:5], null, s2, 12, v[0:1]
	v_mov_b32_e32 v5, v1
	v_add_co_ci_u32_e32 v9, vcc_lo, s5, v3, vcc_lo
	v_add_co_u32 v14, vcc_lo, s4, v12
	v_add_co_ci_u32_e32 v15, vcc_lo, s5, v13, vcc_lo
	v_mad_u64_u32 v[22:23], null, 0xffffff54, s2, v[4:5]
	global_store_b32 v[8:9], v1, off
	v_lshlrev_b64 v[8:9], 2, v[0:1]
	global_store_b32 v[14:15], v1, off
	v_add_co_u32 v14, vcc_lo, s4, v10
	v_add_co_ci_u32_e32 v15, vcc_lo, s5, v11, vcc_lo
	v_add_co_u32 v16, vcc_lo, s6, v8
	v_add_nc_u32_e32 v0, s2, v22
	v_add_co_ci_u32_e32 v17, vcc_lo, s7, v9, vcc_lo
	global_store_b32 v[14:15], v1, off
	global_store_b32 v[16:17], v1, off
	v_lshlrev_b64 v[14:15], 2, v[0:1]
	v_add_nc_u32_e32 v0, s2, v0
	v_lshlrev_b64 v[6:7], 2, v[4:5]
	v_mov_b32_e32 v23, v1
	s_delay_alu instid0(VALU_DEP_2) | instskip(NEXT) | instid1(VALU_DEP_3)
	v_add_co_u32 v4, vcc_lo, s4, v6
	v_add_co_ci_u32_e32 v5, vcc_lo, s5, v7, vcc_lo
	s_delay_alu instid0(VALU_DEP_3) | instskip(SKIP_3) | instid1(VALU_DEP_1)
	v_lshlrev_b64 v[22:23], 2, v[22:23]
	global_store_b32 v[4:5], v1, off
	v_lshlrev_b64 v[4:5], 2, v[0:1]
	v_add_nc_u32_e32 v0, s2, v0
	v_lshlrev_b64 v[20:21], 2, v[0:1]
	v_add_nc_u32_e32 v0, s2, v0
	s_delay_alu instid0(VALU_DEP_4) | instskip(SKIP_1) | instid1(VALU_DEP_3)
	v_add_co_u32 v46, vcc_lo, s4, v4
	v_add_co_ci_u32_e32 v47, vcc_lo, s5, v5, vcc_lo
	v_lshlrev_b64 v[18:19], 2, v[0:1]
	v_add_nc_u32_e32 v0, s2, v0
	v_add_co_u32 v30, vcc_lo, s6, v4
	v_add_co_ci_u32_e32 v31, vcc_lo, s7, v5, vcc_lo
	s_delay_alu instid0(VALU_DEP_3) | instskip(SKIP_1) | instid1(VALU_DEP_1)
	v_lshlrev_b64 v[16:17], 2, v[0:1]
	v_add_nc_u32_e32 v0, s2, v0
	v_lshlrev_b64 v[26:27], 2, v[0:1]
	v_add_nc_u32_e32 v0, s10, v0
	s_delay_alu instid0(VALU_DEP_1) | instskip(SKIP_1) | instid1(VALU_DEP_1)
	v_lshlrev_b64 v[4:5], 2, v[0:1]
	v_add_nc_u32_e32 v0, s11, v0
	v_mad_u64_u32 v[32:33], null, s2, 18, v[0:1]
	v_mov_b32_e32 v33, v1
	v_lshlrev_b64 v[28:29], 2, v[0:1]
	s_delay_alu instid0(VALU_DEP_3) | instskip(NEXT) | instid1(VALU_DEP_3)
	v_add_nc_u32_e32 v0, s9, v32
	v_lshlrev_b64 v[32:33], 2, v[32:33]
	s_delay_alu instid0(VALU_DEP_1) | instskip(NEXT) | instid1(VALU_DEP_2)
	v_add_co_u32 v42, vcc_lo, s4, v32
	v_add_co_ci_u32_e32 v43, vcc_lo, s5, v33, vcc_lo
	v_add_co_u32 v36, vcc_lo, s6, v32
	v_add_co_ci_u32_e32 v37, vcc_lo, s7, v33, vcc_lo
	v_lshlrev_b64 v[32:33], 2, v[0:1]
	v_add_nc_u32_e32 v0, s3, v0
	s_delay_alu instid0(VALU_DEP_2) | instskip(NEXT) | instid1(VALU_DEP_2)
	v_add_co_u32 v44, vcc_lo, s4, v32
	v_lshlrev_b64 v[34:35], 2, v[0:1]
	v_add_nc_u32_e32 v0, s9, v0
	v_add_co_ci_u32_e32 v45, vcc_lo, s5, v33, vcc_lo
	v_add_co_u32 v40, vcc_lo, s6, v32
	v_add_co_ci_u32_e32 v41, vcc_lo, s7, v33, vcc_lo
	s_delay_alu instid0(VALU_DEP_4) | instskip(SKIP_1) | instid1(VALU_DEP_1)
	v_mad_u64_u32 v[32:33], null, 0xffffffcf, s2, v[0:1]
	v_mov_b32_e32 v33, v1
	v_lshlrev_b64 v[38:39], 2, v[32:33]
	s_delay_alu instid0(VALU_DEP_1) | instskip(NEXT) | instid1(VALU_DEP_2)
	v_add_co_u32 v38, vcc_lo, s0, v38
	v_add_co_ci_u32_e32 v39, vcc_lo, s1, v39, vcc_lo
	v_add_co_u32 v48, vcc_lo, s4, v22
	v_add_co_ci_u32_e32 v49, vcc_lo, s5, v23, vcc_lo
	s_clause 0x1
	global_load_b32 v48, v[48:49], off
	global_load_b32 v82, v[46:47], off
	v_add_co_u32 v46, vcc_lo, s4, v20
	v_add_co_ci_u32_e32 v47, vcc_lo, s5, v21, vcc_lo
	global_load_b32 v49, v[46:47], off
	v_add_co_u32 v46, vcc_lo, s4, v16
	v_add_co_ci_u32_e32 v47, vcc_lo, s5, v17, vcc_lo
	;; [unrolled: 3-line block ×3, first 2 shown]
	s_clause 0x1
	global_load_b32 v50, v[46:47], off
	global_load_b32 v83, v[46:47], off
	v_add_co_u32 v46, vcc_lo, s4, v14
	v_add_co_ci_u32_e32 v47, vcc_lo, s5, v15, vcc_lo
	s_clause 0x1
	global_load_b32 v51, v[46:47], off
	global_load_b32 v84, v[46:47], off
	s_waitcnt vmcnt(1)
	v_add_f32_e32 v46, v48, v51
	s_delay_alu instid0(VALU_DEP_1) | instskip(NEXT) | instid1(VALU_DEP_1)
	v_add_f32_e32 v46, v46, v82
	v_add_f32_e32 v48, v46, v49
	v_add_co_u32 v46, vcc_lo, s4, v4
	v_add_co_ci_u32_e32 v47, vcc_lo, s5, v5, vcc_lo
	s_clause 0x2
	global_load_b32 v47, v[46:47], off
	global_load_b32 v46, v[42:43], off
	;; [unrolled: 1-line block ×3, first 2 shown]
	v_add_co_u32 v42, vcc_lo, s4, v28
	v_add_co_ci_u32_e32 v43, vcc_lo, s5, v29, vcc_lo
	s_clause 0x1
	global_load_b32 v45, v[42:43], off
	global_load_b32 v85, v[42:43], off
	v_add_co_u32 v42, vcc_lo, s4, v26
	v_add_f32_e32 v48, v48, v50
	v_add_co_ci_u32_e32 v43, vcc_lo, s5, v27, vcc_lo
	s_delay_alu instid0(VALU_DEP_2)
	v_add_f32_e32 v33, v48, v33
	s_clause 0x1
	global_load_b32 v48, v[42:43], off
	global_load_b32 v87, v[42:43], off
	v_add_co_u32 v42, vcc_lo, s6, v20
	v_add_co_ci_u32_e32 v43, vcc_lo, s7, v21, vcc_lo
	s_waitcnt vmcnt(1)
	v_add_f32_e32 v33, v33, v48
	global_load_b32 v48, v[42:43], off
	v_add_co_u32 v42, vcc_lo, s6, v16
	v_add_co_ci_u32_e32 v43, vcc_lo, s7, v17, vcc_lo
	v_add_f32_e32 v33, v33, v47
	s_clause 0x1
	global_load_b32 v47, v[42:43], off
	global_load_b32 v97, v[24:25], off
	v_add_co_u32 v24, vcc_lo, s6, v4
	v_add_co_ci_u32_e32 v25, vcc_lo, s7, v5, vcc_lo
	v_add_f32_e32 v33, v33, v45
	global_load_b32 v45, v[24:25], off
	v_add_co_u32 v24, vcc_lo, s6, v34
	v_add_co_ci_u32_e32 v25, vcc_lo, s7, v35, vcc_lo
	v_add_f32_e32 v33, v33, v46
	global_load_b32 v91, v[24:25], off
	v_lshlrev_b64 v[24:25], 2, v[0:1]
	v_add_f32_e32 v33, v33, v44
	s_delay_alu instid0(VALU_DEP_2) | instskip(NEXT) | instid1(VALU_DEP_3)
	v_add_co_u32 v42, vcc_lo, s6, v24
	v_add_co_ci_u32_e32 v43, vcc_lo, s7, v25, vcc_lo
	s_clause 0x1
	global_load_b32 v0, v[42:43], off
	global_load_b32 v96, v[42:43], off
	s_waitcnt vmcnt(2)
	v_add_f32_e32 v33, v33, v91
	s_waitcnt vmcnt(1)
	s_delay_alu instid0(VALU_DEP_1) | instskip(NEXT) | instid1(VALU_DEP_1)
	v_add_f32_e32 v0, v33, v0
	v_div_scale_f32 v33, null, v0, v0, 1.0
	s_delay_alu instid0(VALU_DEP_1) | instskip(SKIP_2) | instid1(VALU_DEP_1)
	v_rcp_f32_e32 v42, v33
	s_waitcnt_depctr 0xfff
	v_fma_f32 v43, -v33, v42, 1.0
	v_fmac_f32_e32 v42, v43, v42
	v_div_scale_f32 v43, vcc_lo, 1.0, v0, 1.0
	s_delay_alu instid0(VALU_DEP_1) | instskip(NEXT) | instid1(VALU_DEP_1)
	v_mul_f32_e32 v44, v43, v42
	v_fma_f32 v46, -v33, v44, v43
	s_delay_alu instid0(VALU_DEP_1) | instskip(NEXT) | instid1(VALU_DEP_1)
	v_fmac_f32_e32 v44, v46, v42
	v_fma_f32 v33, -v33, v44, v43
	s_delay_alu instid0(VALU_DEP_1)
	v_div_fmas_f32 v33, v33, v42, v44
	v_add_co_u32 v42, vcc_lo, s6, v22
	v_add_co_ci_u32_e32 v43, vcc_lo, s7, v23, vcc_lo
	s_clause 0x3
	global_load_b32 v42, v[42:43], off
	global_load_b32 v36, v[36:37], off
	;; [unrolled: 1-line block ×4, first 2 shown]
	s_waitcnt vmcnt(3)
	v_add_f32_e32 v40, v42, v48
	s_delay_alu instid0(VALU_DEP_1) | instskip(NEXT) | instid1(VALU_DEP_1)
	v_add_f32_e32 v40, v40, v47
	v_add_f32_e32 v40, v40, v97
	s_delay_alu instid0(VALU_DEP_1) | instskip(SKIP_1) | instid1(VALU_DEP_1)
	v_add_f32_e32 v40, v40, v45
	s_waitcnt vmcnt(2)
	v_add_f32_e32 v30, v40, v36
	v_div_fixup_f32 v36, v33, v0, 1.0
	s_waitcnt vmcnt(1)
	s_delay_alu instid0(VALU_DEP_2) | instskip(NEXT) | instid1(VALU_DEP_1)
	v_add_f32_e32 v30, v30, v37
	v_mul_f32_e32 v0, v36, v30
	v_add_co_u32 v30, vcc_lo, s4, v34
	v_add_co_ci_u32_e32 v31, vcc_lo, s5, v35, vcc_lo
	v_add_co_u32 v24, vcc_lo, s4, v24
	v_add_co_ci_u32_e32 v25, vcc_lo, s5, v25, vcc_lo
	global_store_b32 v[38:39], v0, off
	s_clause 0x1
	global_load_b32 v104, v[30:31], off
	global_load_b32 v92, v[24:25], off
	v_add_nc_u32_e32 v0, s13, v32
	s_delay_alu instid0(VALU_DEP_1) | instskip(SKIP_1) | instid1(VALU_DEP_2)
	v_lshlrev_b64 v[32:33], 2, v[0:1]
	v_add_nc_u32_e32 v0, s2, v0
	v_add_co_u32 v32, vcc_lo, s0, v32
	s_delay_alu instid0(VALU_DEP_3) | instskip(SKIP_4) | instid1(VALU_DEP_2)
	v_add_co_ci_u32_e32 v33, vcc_lo, s1, v33, vcc_lo
	s_waitcnt vmcnt(1)
	v_add_f32_e32 v24, v90, v104
	s_waitcnt vmcnt(0)
	v_mul_f32_e32 v30, v36, v92
	v_mul_f32_e32 v24, v36, v24
	global_store_b32 v[32:33], v24, off
	v_lshlrev_b64 v[24:25], 2, v[0:1]
	v_add_nc_u32_e32 v0, s2, v0
	s_delay_alu instid0(VALU_DEP_2) | instskip(NEXT) | instid1(VALU_DEP_3)
	v_add_co_u32 v24, vcc_lo, s0, v24
	v_add_co_ci_u32_e32 v25, vcc_lo, s1, v25, vcc_lo
	global_store_b32 v[24:25], v30, off
	v_add_co_u32 v24, vcc_lo, s6, v26
	v_add_co_ci_u32_e32 v25, vcc_lo, s7, v27, vcc_lo
	v_add_co_u32 v26, vcc_lo, s6, v28
	v_add_co_ci_u32_e32 v27, vcc_lo, s7, v29, vcc_lo
	v_lshlrev_b64 v[28:29], 2, v[0:1]
	s_clause 0x2
	global_load_b32 v30, v[24:25], off
	global_load_b32 v86, v[26:27], off
	;; [unrolled: 1-line block ×3, first 2 shown]
	v_add_nc_u32_e32 v0, s14, v0
	v_add_co_u32 v28, vcc_lo, s0, v28
	v_add_co_ci_u32_e32 v29, vcc_lo, s1, v29, vcc_lo
	v_add_co_u32 v24, vcc_lo, s6, v18
	v_add_co_ci_u32_e32 v25, vcc_lo, s7, v19, vcc_lo
	s_clause 0x1
	global_load_b32 v31, v[24:25], off
	global_load_b32 v94, v[24:25], off
	v_add_co_u32 v24, vcc_lo, s6, v14
	v_add_co_ci_u32_e32 v25, vcc_lo, s7, v15, vcc_lo
	s_clause 0x2
	global_load_b32 v32, v[24:25], off
	global_load_b32 v95, v[24:25], off
	;; [unrolled: 1-line block ×3, first 2 shown]
	s_waitcnt vmcnt(2)
	v_add_f32_e32 v24, v32, v31
	s_waitcnt vmcnt(0)
	v_mul_f32_e32 v26, v36, v26
	s_delay_alu instid0(VALU_DEP_2) | instskip(NEXT) | instid1(VALU_DEP_1)
	v_add_f32_e32 v24, v24, v30
	v_mul_f32_e32 v24, v36, v24
	global_store_b32 v[28:29], v24, off
	v_lshlrev_b64 v[24:25], 2, v[0:1]
	v_add_nc_u32_e32 v0, s16, v0
	s_delay_alu instid0(VALU_DEP_2) | instskip(NEXT) | instid1(VALU_DEP_3)
	v_add_co_u32 v24, vcc_lo, s0, v24
	v_add_co_ci_u32_e32 v25, vcc_lo, s1, v25, vcc_lo
	global_store_b32 v[24:25], v26, off
	v_lshlrev_b64 v[24:25], 2, v[0:1]
	v_add_nc_u32_e32 v0, s2, v0
	s_delay_alu instid0(VALU_DEP_2) | instskip(NEXT) | instid1(VALU_DEP_3)
	v_add_co_u32 v26, vcc_lo, s4, v24
	v_add_co_ci_u32_e32 v27, vcc_lo, s5, v25, vcc_lo
	v_add_co_u32 v50, vcc_lo, s6, v24
	v_add_co_ci_u32_e32 v51, vcc_lo, s7, v25, vcc_lo
	v_lshlrev_b64 v[24:25], 2, v[0:1]
	v_add_nc_u32_e32 v0, s2, v0
	s_delay_alu instid0(VALU_DEP_1) | instskip(SKIP_1) | instid1(VALU_DEP_4)
	v_lshlrev_b64 v[30:31], 2, v[0:1]
	v_add_nc_u32_e32 v0, s2, v0
	v_add_co_u32 v80, vcc_lo, s4, v24
	v_add_co_ci_u32_e32 v81, vcc_lo, s5, v25, vcc_lo
	s_delay_alu instid0(VALU_DEP_3) | instskip(SKIP_3) | instid1(VALU_DEP_3)
	v_lshlrev_b64 v[42:43], 2, v[0:1]
	v_add_nc_u32_e32 v0, s2, v0
	v_add_co_u32 v52, vcc_lo, s6, v24
	v_add_co_ci_u32_e32 v53, vcc_lo, s7, v25, vcc_lo
	v_lshlrev_b64 v[40:41], 2, v[0:1]
	v_add_nc_u32_e32 v0, s2, v0
	s_delay_alu instid0(VALU_DEP_1) | instskip(SKIP_1) | instid1(VALU_DEP_1)
	v_lshlrev_b64 v[38:39], 2, v[0:1]
	v_add_nc_u32_e32 v0, s13, v0
	v_lshlrev_b64 v[36:37], 2, v[0:1]
	v_add_nc_u32_e32 v0, s2, v0
	s_delay_alu instid0(VALU_DEP_1) | instskip(SKIP_2) | instid1(VALU_DEP_2)
	v_mad_u64_u32 v[100:101], null, s2, 35, v[0:1]
	v_lshlrev_b64 v[24:25], 2, v[0:1]
	v_mov_b32_e32 v101, v1
	v_add_co_u32 v98, vcc_lo, s4, v24
	s_delay_alu instid0(VALU_DEP_4) | instskip(NEXT) | instid1(VALU_DEP_4)
	v_add_nc_u32_e32 v0, s8, v100
	v_add_co_ci_u32_e32 v99, vcc_lo, s5, v25, vcc_lo
	v_add_co_u32 v56, vcc_lo, s6, v24
	v_add_co_ci_u32_e32 v57, vcc_lo, s7, v25, vcc_lo
	s_delay_alu instid0(VALU_DEP_4) | instskip(SKIP_1) | instid1(VALU_DEP_1)
	v_lshlrev_b64 v[24:25], 2, v[0:1]
	v_add_nc_u32_e32 v0, s9, v0
	v_mad_u64_u32 v[28:29], null, s2, 53, v[0:1]
	v_mov_b32_e32 v29, v1
	s_delay_alu instid0(VALU_DEP_1) | instskip(SKIP_2) | instid1(VALU_DEP_3)
	v_mad_u64_u32 v[70:71], null, 0xffffff96, s2, v[28:29]
	v_lshlrev_b64 v[32:33], 2, v[28:29]
	v_lshlrev_b64 v[28:29], 2, v[0:1]
	v_add_nc_u32_e32 v0, s12, v70
	s_delay_alu instid0(VALU_DEP_3) | instskip(NEXT) | instid1(VALU_DEP_4)
	v_add_co_u32 v102, vcc_lo, s4, v32
	v_add_co_ci_u32_e32 v103, vcc_lo, s5, v33, vcc_lo
	s_delay_alu instid0(VALU_DEP_3) | instskip(SKIP_3) | instid1(VALU_DEP_3)
	v_lshlrev_b64 v[48:49], 2, v[0:1]
	v_add_nc_u32_e32 v0, s2, v0
	v_add_co_u32 v54, vcc_lo, s6, v32
	v_add_co_ci_u32_e32 v55, vcc_lo, s7, v33, vcc_lo
	v_lshlrev_b64 v[34:35], 2, v[0:1]
	v_add_nc_u32_e32 v0, s2, v0
	s_delay_alu instid0(VALU_DEP_1) | instskip(SKIP_1) | instid1(VALU_DEP_1)
	v_lshlrev_b64 v[32:33], 2, v[0:1]
	v_add_nc_u32_e32 v0, s15, v0
	v_lshlrev_b64 v[44:45], 2, v[0:1]
	v_add_nc_u32_e32 v0, s10, v0
	s_delay_alu instid0(VALU_DEP_2) | instskip(NEXT) | instid1(VALU_DEP_3)
	v_add_co_u32 v72, vcc_lo, s6, v44
	v_add_co_ci_u32_e32 v73, vcc_lo, s7, v45, vcc_lo
	v_add_co_u32 v62, vcc_lo, s4, v44
	v_add_co_ci_u32_e32 v63, vcc_lo, s5, v45, vcc_lo
	v_lshlrev_b64 v[44:45], 2, v[0:1]
	v_add_nc_u32_e32 v0, s9, v0
	s_delay_alu instid0(VALU_DEP_2) | instskip(NEXT) | instid1(VALU_DEP_3)
	v_add_co_u32 v74, vcc_lo, s6, v44
	v_add_co_ci_u32_e32 v75, vcc_lo, s7, v45, vcc_lo
	v_add_co_u32 v60, vcc_lo, s4, v44
	v_add_co_ci_u32_e32 v61, vcc_lo, s5, v45, vcc_lo
	v_lshlrev_b64 v[44:45], 2, v[0:1]
	v_add_nc_u32_e32 v0, s13, v0
	s_delay_alu instid0(VALU_DEP_1) | instskip(SKIP_2) | instid1(VALU_DEP_3)
	v_mad_u64_u32 v[58:59], null, s2, 5, v[0:1]
	v_mov_b32_e32 v59, v1
	v_lshlrev_b64 v[46:47], 2, v[0:1]
	v_add_nc_u32_e32 v0, s16, v58
	s_delay_alu instid0(VALU_DEP_3) | instskip(SKIP_1) | instid1(VALU_DEP_1)
	v_lshlrev_b64 v[58:59], 2, v[58:59]
	s_lshl_b32 s16, s2, 2
	v_add_co_u32 v76, vcc_lo, s6, v58
	s_delay_alu instid0(VALU_DEP_2) | instskip(SKIP_3) | instid1(VALU_DEP_1)
	v_add_co_ci_u32_e32 v77, vcc_lo, s7, v59, vcc_lo
	v_add_co_u32 v66, vcc_lo, s4, v58
	v_add_co_ci_u32_e32 v67, vcc_lo, s5, v59, vcc_lo
	v_lshlrev_b64 v[58:59], 2, v[0:1]
	v_add_co_u32 v78, vcc_lo, s6, v58
	s_delay_alu instid0(VALU_DEP_2) | instskip(SKIP_4) | instid1(VALU_DEP_1)
	v_add_co_ci_u32_e32 v79, vcc_lo, s7, v59, vcc_lo
	v_add_co_u32 v68, vcc_lo, s4, v58
	v_add_co_ci_u32_e32 v69, vcc_lo, s5, v59, vcc_lo
	v_mad_u64_u32 v[58:59], null, 0xffffff76, s2, v[0:1]
	v_mov_b32_e32 v59, v1
	v_lshlrev_b64 v[64:65], 2, v[58:59]
	s_clause 0x1
	global_load_b32 v0, v[26:27], off
	global_load_b32 v59, v[80:81], off
	v_add_co_u32 v64, vcc_lo, s0, v64
	v_add_co_ci_u32_e32 v65, vcc_lo, s1, v65, vcc_lo
	v_add_co_u32 v26, vcc_lo, s4, v40
	v_add_co_ci_u32_e32 v27, vcc_lo, s5, v41, vcc_lo
	global_load_b32 v80, v[26:27], off
	v_add_co_u32 v26, vcc_lo, s4, v38
	v_add_co_ci_u32_e32 v27, vcc_lo, s5, v39, vcc_lo
	global_load_b32 v105, v[26:27], off
	v_add_co_u32 v26, vcc_lo, s4, v42
	v_add_co_ci_u32_e32 v27, vcc_lo, s5, v43, vcc_lo
	s_clause 0x1
	global_load_b32 v71, v[26:27], off
	global_load_b32 v88, v[26:27], off
	v_add_co_u32 v26, vcc_lo, s4, v30
	v_add_co_ci_u32_e32 v27, vcc_lo, s5, v31, vcc_lo
	s_clause 0x1
	global_load_b32 v81, v[26:27], off
	global_load_b32 v89, v[26:27], off
	v_add_co_u32 v26, vcc_lo, s4, v36
	v_add_co_ci_u32_e32 v27, vcc_lo, s5, v37, vcc_lo
	s_waitcnt vmcnt(6)
	v_add_f32_e32 v0, v0, v59
	s_waitcnt vmcnt(1)
	s_delay_alu instid0(VALU_DEP_1) | instskip(NEXT) | instid1(VALU_DEP_1)
	v_add_f32_e32 v0, v0, v81
	v_add_f32_e32 v0, v0, v71
	s_clause 0x1
	global_load_b32 v59, v[26:27], off
	global_load_b32 v71, v[98:99], off
	v_lshlrev_b64 v[26:27], 2, v[100:101]
	v_add_f32_e32 v0, v0, v80
	s_delay_alu instid0(VALU_DEP_2) | instskip(NEXT) | instid1(VALU_DEP_3)
	v_add_co_u32 v80, vcc_lo, s4, v26
	v_add_co_ci_u32_e32 v81, vcc_lo, s5, v27, vcc_lo
	s_delay_alu instid0(VALU_DEP_3)
	v_add_f32_e32 v100, v0, v105
	global_load_b32 v98, v[80:81], off
	v_add_co_u32 v80, vcc_lo, s4, v24
	v_add_co_ci_u32_e32 v81, vcc_lo, s5, v25, vcc_lo
	s_clause 0x1
	global_load_b32 v99, v[80:81], off
	global_load_b32 v0, v[102:103], off
	v_add_co_u32 v80, vcc_lo, s4, v28
	v_add_co_ci_u32_e32 v81, vcc_lo, s5, v29, vcc_lo
	v_add_f32_e32 v101, v104, v100
	s_clause 0x1
	global_load_b32 v100, v[80:81], off
	global_load_b32 v80, v[80:81], off
	s_waitcnt vmcnt(6)
	v_add_f32_e32 v59, v59, v101
	s_waitcnt vmcnt(5)
	s_delay_alu instid0(VALU_DEP_1) | instskip(SKIP_1) | instid1(VALU_DEP_1)
	v_add_f32_e32 v59, v71, v59
	v_mov_b32_e32 v71, v1
	v_lshlrev_b64 v[70:71], 2, v[70:71]
	s_waitcnt vmcnt(4)
	s_delay_alu instid0(VALU_DEP_3) | instskip(SKIP_2) | instid1(VALU_DEP_2)
	v_add_f32_e32 v59, v98, v59
	v_add_co_u32 v98, vcc_lo, s6, v32
	s_waitcnt vmcnt(3)
	v_add_f32_e32 v59, v99, v59
	v_add_co_ci_u32_e32 v99, vcc_lo, s7, v33, vcc_lo
	s_clause 0x1
	global_load_b32 v104, v[98:99], off
	global_load_b32 v99, v[98:99], off
	s_waitcnt vmcnt(3)
	v_add_f32_e32 v59, v100, v59
	v_add_co_u32 v100, vcc_lo, s6, v34
	v_add_co_ci_u32_e32 v101, vcc_lo, s7, v35, vcc_lo
	s_clause 0x1
	global_load_b32 v81, v[100:101], off
	global_load_b32 v100, v[100:101], off
	v_add_co_u32 v101, vcc_lo, s6, v48
	v_add_co_ci_u32_e32 v102, vcc_lo, s7, v49, vcc_lo
	v_add_f32_e32 v0, v0, v59
	s_clause 0x1
	global_load_b32 v59, v[101:102], off
	global_load_b32 v101, v[101:102], off
	v_add_co_u32 v102, vcc_lo, s6, v70
	v_add_co_ci_u32_e32 v103, vcc_lo, s7, v71, vcc_lo
	v_add_f32_e32 v0, v90, v0
	s_clause 0x1
	global_load_b32 v90, v[102:103], off
	global_load_b32 v102, v[102:103], off
	s_waitcnt vmcnt(1)
	v_add_f32_e32 v0, v90, v0
	s_delay_alu instid0(VALU_DEP_1)
	v_add_f32_e32 v0, v59, v0
	s_clause 0x3
	global_load_b32 v59, v[72:73], off
	global_load_b32 v74, v[74:75], off
	;; [unrolled: 1-line block ×4, first 2 shown]
	v_add_co_u32 v72, vcc_lo, s6, v46
	v_add_co_ci_u32_e32 v73, vcc_lo, s7, v47, vcc_lo
	v_add_f32_e32 v0, v81, v0
	s_clause 0x1
	global_load_b32 v77, v[72:73], off
	global_load_b32 v81, v[72:73], off
	v_add_co_u32 v72, vcc_lo, s6, v44
	v_add_co_ci_u32_e32 v73, vcc_lo, s7, v45, vcc_lo
	s_clause 0x1
	global_load_b32 v78, v[72:73], off
	global_load_b32 v90, v[72:73], off
	v_add_f32_e32 v0, v104, v0
	s_waitcnt vmcnt(7)
	s_delay_alu instid0(VALU_DEP_1) | instskip(SKIP_1) | instid1(VALU_DEP_1)
	v_add_f32_e32 v0, v59, v0
	s_waitcnt vmcnt(6)
	v_add_f32_e32 v0, v74, v0
	s_waitcnt vmcnt(1)
	s_delay_alu instid0(VALU_DEP_1) | instskip(NEXT) | instid1(VALU_DEP_1)
	v_add_f32_e32 v0, v78, v0
	v_add_f32_e32 v0, v77, v0
	s_delay_alu instid0(VALU_DEP_1) | instskip(NEXT) | instid1(VALU_DEP_1)
	v_add_f32_e32 v0, v75, v0
	v_add_f32_e32 v0, v76, v0
	s_delay_alu instid0(VALU_DEP_1) | instskip(NEXT) | instid1(VALU_DEP_1)
	v_div_scale_f32 v59, null, v0, v0, 1.0
	v_rcp_f32_e32 v72, v59
	s_waitcnt_depctr 0xfff
	v_fma_f32 v73, -v59, v72, 1.0
	s_delay_alu instid0(VALU_DEP_1) | instskip(SKIP_1) | instid1(VALU_DEP_1)
	v_fmac_f32_e32 v72, v73, v72
	v_div_scale_f32 v73, vcc_lo, 1.0, v0, 1.0
	v_mul_f32_e32 v74, v73, v72
	s_delay_alu instid0(VALU_DEP_1) | instskip(NEXT) | instid1(VALU_DEP_1)
	v_fma_f32 v75, -v59, v74, v73
	v_fmac_f32_e32 v74, v75, v72
	s_delay_alu instid0(VALU_DEP_1) | instskip(NEXT) | instid1(VALU_DEP_1)
	v_fma_f32 v59, -v59, v74, v73
	v_div_fmas_f32 v59, v59, v72, v74
	s_clause 0x1
	global_load_b32 v72, v[50:51], off
	global_load_b32 v52, v[52:53], off
	v_add_co_u32 v50, vcc_lo, s6, v40
	v_add_co_ci_u32_e32 v51, vcc_lo, s7, v41, vcc_lo
	global_load_b32 v53, v[50:51], off
	v_add_co_u32 v50, vcc_lo, s6, v38
	v_add_co_ci_u32_e32 v51, vcc_lo, s7, v39, vcc_lo
	;; [unrolled: 3-line block ×3, first 2 shown]
	s_clause 0x1
	global_load_b32 v74, v[50:51], off
	global_load_b32 v56, v[56:57], off
	v_add_co_u32 v50, vcc_lo, s6, v2
	v_add_co_ci_u32_e32 v51, vcc_lo, s7, v3, vcc_lo
	global_load_b32 v57, v[50:51], off
	global_load_b32 v62, v[62:63], off
	v_add_co_u32 v50, vcc_lo, s6, v26
	v_add_co_ci_u32_e32 v51, vcc_lo, s7, v27, vcc_lo
	global_load_b32 v63, v[50:51], off
	v_add_co_u32 v50, vcc_lo, s6, v24
	v_add_co_ci_u32_e32 v51, vcc_lo, s7, v25, vcc_lo
	global_load_b32 v50, v[50:51], off
	s_clause 0x2
	global_load_b32 v51, v[60:61], off
	global_load_b32 v60, v[66:67], off
	;; [unrolled: 1-line block ×4, first 2 shown]
	s_waitcnt vmcnt(12)
	v_add_f32_e32 v52, v72, v52
	s_waitcnt vmcnt(11)
	s_delay_alu instid0(VALU_DEP_1) | instskip(SKIP_1) | instid1(VALU_DEP_1)
	v_add_f32_e32 v52, v52, v53
	s_waitcnt vmcnt(10)
	v_add_f32_e32 v52, v52, v73
	s_waitcnt vmcnt(9)
	s_delay_alu instid0(VALU_DEP_1) | instskip(SKIP_1) | instid1(VALU_DEP_1)
	v_add_f32_e32 v52, v52, v74
	s_waitcnt vmcnt(8)
	v_add_f32_e32 v52, v52, v56
	s_delay_alu instid0(VALU_DEP_1) | instskip(SKIP_1) | instid1(VALU_DEP_1)
	v_add_f32_e32 v52, v97, v52
	s_waitcnt vmcnt(7)
	v_add_f32_e32 v52, v57, v52
	;; [unrolled: 4-line block ×3, first 2 shown]
	s_waitcnt vmcnt(5)
	s_delay_alu instid0(VALU_DEP_1) | instskip(SKIP_1) | instid1(VALU_DEP_1)
	v_add_f32_e32 v52, v63, v52
	s_waitcnt vmcnt(4)
	v_add_f32_e32 v50, v50, v52
	v_add_f32_e32 v52, v82, v91
	s_waitcnt vmcnt(3)
	s_delay_alu instid0(VALU_DEP_2) | instskip(SKIP_1) | instid1(VALU_DEP_1)
	v_add_f32_e32 v50, v51, v50
	s_waitcnt vmcnt(2)
	v_add_f32_e32 v50, v60, v50
	s_waitcnt vmcnt(1)
	s_delay_alu instid0(VALU_DEP_1) | instskip(SKIP_1) | instid1(VALU_DEP_1)
	v_add_f32_e32 v50, v61, v50
	s_waitcnt vmcnt(0)
	v_add_f32_e32 v50, v54, v50
	v_div_fixup_f32 v54, v59, v0, 1.0
	s_delay_alu instid0(VALU_DEP_1) | instskip(SKIP_3) | instid1(VALU_DEP_1)
	v_mul_f32_e32 v0, v54, v50
	v_mul_f32_e32 v52, v52, v54
	global_store_b32 v[64:65], v0, off
	v_add_nc_u32_e32 v0, s2, v58
	v_lshlrev_b64 v[50:51], 2, v[0:1]
	v_add_nc_u32_e32 v0, s13, v0
	s_delay_alu instid0(VALU_DEP_2) | instskip(NEXT) | instid1(VALU_DEP_3)
	v_add_co_u32 v50, vcc_lo, s0, v50
	v_add_co_ci_u32_e32 v51, vcc_lo, s1, v51, vcc_lo
	global_store_b32 v[50:51], v52, off
	v_add_co_u32 v50, vcc_lo, s4, v70
	v_lshlrev_b64 v[52:53], 2, v[0:1]
	v_add_co_ci_u32_e32 v51, vcc_lo, s5, v71, vcc_lo
	v_add_co_u32 v48, vcc_lo, s4, v48
	v_add_co_ci_u32_e32 v49, vcc_lo, s5, v49, vcc_lo
	s_delay_alu instid0(VALU_DEP_4)
	v_add_co_u32 v52, vcc_lo, s0, v52
	v_add_co_ci_u32_e32 v53, vcc_lo, s1, v53, vcc_lo
	s_clause 0x1
	global_load_b32 v109, v[50:51], off
	global_load_b32 v110, v[48:49], off
	v_add_co_u32 v48, vcc_lo, s4, v34
	v_add_co_ci_u32_e32 v49, vcc_lo, s5, v35, vcc_lo
	v_add_nc_u32_e32 v0, s2, v0
	global_load_b32 v111, v[48:49], off
	v_add_co_u32 v48, vcc_lo, s4, v32
	v_add_co_ci_u32_e32 v49, vcc_lo, s5, v33, vcc_lo
	v_add_co_u32 v30, vcc_lo, s6, v30
	v_add_co_ci_u32_e32 v31, vcc_lo, s7, v31, vcc_lo
	global_load_b32 v112, v[48:49], off
	s_waitcnt vmcnt(2)
	v_add_f32_e32 v48, v109, v110
	s_waitcnt vmcnt(1)
	s_delay_alu instid0(VALU_DEP_1) | instskip(SKIP_1) | instid1(VALU_DEP_1)
	v_add_f32_e32 v48, v48, v111
	s_waitcnt vmcnt(0)
	v_add_f32_e32 v48, v48, v112
	s_delay_alu instid0(VALU_DEP_1) | instskip(SKIP_3) | instid1(VALU_DEP_2)
	v_mul_f32_e32 v48, v54, v48
	global_store_b32 v[52:53], v48, off
	v_lshlrev_b64 v[48:49], 2, v[0:1]
	v_add_nc_u32_e32 v0, s13, v0
	v_add_co_u32 v48, vcc_lo, s0, v48
	s_delay_alu instid0(VALU_DEP_3)
	v_add_co_ci_u32_e32 v49, vcc_lo, s1, v49, vcc_lo
	v_add_co_u32 v50, vcc_lo, s6, v42
	v_add_co_ci_u32_e32 v51, vcc_lo, s7, v43, vcc_lo
	s_clause 0x3
	global_load_b32 v73, v[50:51], off
	global_load_b32 v50, v[50:51], off
	;; [unrolled: 1-line block ×4, first 2 shown]
	s_waitcnt vmcnt(1)
	v_add_f32_e32 v30, v51, v50
	s_delay_alu instid0(VALU_DEP_1)
	v_mul_f32_e32 v30, v54, v30
	global_store_b32 v[48:49], v30, off
	v_add_co_u32 v30, vcc_lo, s4, v44
	v_add_co_ci_u32_e32 v31, vcc_lo, s5, v45, vcc_lo
	v_add_co_u32 v44, vcc_lo, s4, v46
	v_add_co_ci_u32_e32 v45, vcc_lo, s5, v47, vcc_lo
	s_clause 0x3
	global_load_b32 v82, v[44:45], off
	global_load_b32 v44, v[44:45], off
	;; [unrolled: 1-line block ×4, first 2 shown]
	v_lshlrev_b64 v[46:47], 2, v[0:1]
	v_add_nc_u32_e32 v0, s2, v0
	s_delay_alu instid0(VALU_DEP_2) | instskip(NEXT) | instid1(VALU_DEP_3)
	v_add_co_u32 v46, vcc_lo, s0, v46
	v_add_co_ci_u32_e32 v47, vcc_lo, s1, v47, vcc_lo
	v_add_co_u32 v28, vcc_lo, s6, v28
	v_add_co_ci_u32_e32 v29, vcc_lo, s7, v29, vcc_lo
	s_waitcnt vmcnt(1)
	v_add_f32_e32 v30, v45, v44
	s_delay_alu instid0(VALU_DEP_1)
	v_mul_f32_e32 v30, v54, v30
	global_store_b32 v[46:47], v30, off
	s_clause 0x1
	global_load_b32 v44, v[28:29], off
	global_load_b32 v79, v[28:29], off
	v_lshlrev_b64 v[30:31], 2, v[0:1]
	v_lshl_add_u32 v0, s2, 5, v0
	s_delay_alu instid0(VALU_DEP_2) | instskip(NEXT) | instid1(VALU_DEP_3)
	v_add_co_u32 v30, vcc_lo, s0, v30
	v_add_co_ci_u32_e32 v31, vcc_lo, s1, v31, vcc_lo
	s_waitcnt vmcnt(1)
	v_mul_f32_e32 v28, v54, v44
	global_store_b32 v[30:31], v28, off
	v_lshlrev_b64 v[28:29], 2, v[0:1]
	v_add_nc_u32_e32 v0, s2, v0
	s_delay_alu instid0(VALU_DEP_2) | instskip(NEXT) | instid1(VALU_DEP_2)
	v_add_co_u32 v30, vcc_lo, s4, v28
	v_lshlrev_b64 v[50:51], 2, v[0:1]
	v_add_nc_u32_e32 v0, s2, v0
	v_add_co_ci_u32_e32 v31, vcc_lo, s5, v29, vcc_lo
	v_add_co_u32 v56, vcc_lo, s6, v28
	v_add_co_ci_u32_e32 v57, vcc_lo, s7, v29, vcc_lo
	s_delay_alu instid0(VALU_DEP_4) | instskip(SKIP_1) | instid1(VALU_DEP_2)
	v_lshlrev_b64 v[28:29], 2, v[0:1]
	v_add_nc_u32_e32 v0, s2, v0
	v_add_co_u32 v75, vcc_lo, s4, v28
	s_delay_alu instid0(VALU_DEP_3) | instskip(SKIP_4) | instid1(VALU_DEP_2)
	v_add_co_ci_u32_e32 v76, vcc_lo, s5, v29, vcc_lo
	v_add_co_u32 v58, vcc_lo, s6, v28
	v_add_co_ci_u32_e32 v59, vcc_lo, s7, v29, vcc_lo
	v_lshlrev_b64 v[28:29], 2, v[0:1]
	v_add_nc_u32_e32 v0, s2, v0
	v_add_co_u32 v77, vcc_lo, s4, v28
	s_delay_alu instid0(VALU_DEP_3) | instskip(SKIP_4) | instid1(VALU_DEP_1)
	v_add_co_ci_u32_e32 v78, vcc_lo, s5, v29, vcc_lo
	v_add_co_u32 v62, vcc_lo, s6, v28
	v_add_co_ci_u32_e32 v63, vcc_lo, s7, v29, vcc_lo
	v_lshlrev_b64 v[28:29], 2, v[0:1]
	v_add_nc_u32_e32 v0, s2, v0
	v_lshlrev_b64 v[44:45], 2, v[0:1]
	v_add_nc_u32_e32 v0, s16, v0
	s_delay_alu instid0(VALU_DEP_4) | instskip(SKIP_1) | instid1(VALU_DEP_3)
	v_add_co_u32 v97, vcc_lo, s4, v28
	v_add_co_ci_u32_e32 v98, vcc_lo, s5, v29, vcc_lo
	v_mad_u64_u32 v[105:106], null, s2, 22, v[0:1]
	v_add_co_u32 v66, vcc_lo, s6, v28
	v_add_co_ci_u32_e32 v67, vcc_lo, s7, v29, vcc_lo
	v_lshlrev_b64 v[28:29], 2, v[0:1]
	s_clause 0x3
	global_load_b32 v106, v[30:31], off
	global_load_b32 v75, v[75:76], off
	;; [unrolled: 1-line block ×4, first 2 shown]
	v_add_nc_u32_e32 v0, s8, v105
	v_add_co_u32 v103, vcc_lo, s4, v28
	s_delay_alu instid0(VALU_DEP_2)
	v_mad_u64_u32 v[70:71], null, s2, 59, v[0:1]
	v_add_co_ci_u32_e32 v104, vcc_lo, s5, v29, vcc_lo
	v_add_co_u32 v52, vcc_lo, s6, v28
	v_add_co_ci_u32_e32 v53, vcc_lo, s7, v29, vcc_lo
	v_lshlrev_b64 v[28:29], 2, v[0:1]
	v_add_nc_u32_e32 v0, s2, v70
	s_delay_alu instid0(VALU_DEP_1) | instskip(SKIP_1) | instid1(VALU_DEP_4)
	v_lshlrev_b64 v[64:65], 2, v[0:1]
	v_lshl_add_u32 v0, s2, 4, v0
	v_add_co_u32 v107, vcc_lo, s4, v28
	v_add_co_ci_u32_e32 v108, vcc_lo, s5, v29, vcc_lo
	s_delay_alu instid0(VALU_DEP_3) | instskip(SKIP_3) | instid1(VALU_DEP_4)
	v_mad_u64_u32 v[46:47], null, 0xffffff9a, s2, v[0:1]
	v_lshlrev_b64 v[48:49], 2, v[0:1]
	v_add_co_u32 v54, vcc_lo, s6, v28
	v_add_co_ci_u32_e32 v55, vcc_lo, s7, v29, vcc_lo
	v_dual_add_f32 v47, v92, v109 :: v_dual_add_nc_u32 v0, s17, v46
	s_delay_alu instid0(VALU_DEP_1) | instskip(SKIP_1) | instid1(VALU_DEP_1)
	v_lshlrev_b64 v[28:29], 2, v[0:1]
	v_add_nc_u32_e32 v0, s11, v0
	v_lshlrev_b64 v[60:61], 2, v[0:1]
	s_delay_alu instid0(VALU_DEP_1) | instskip(NEXT) | instid1(VALU_DEP_2)
	v_add_co_u32 v68, vcc_lo, s6, v60
	v_add_co_ci_u32_e32 v69, vcc_lo, s7, v61, vcc_lo
	v_add_co_u32 v60, vcc_lo, s4, v60
	v_add_co_ci_u32_e32 v61, vcc_lo, s5, v61, vcc_lo
	v_add_co_u32 v71, vcc_lo, s4, v64
	v_add_co_ci_u32_e32 v72, vcc_lo, s5, v65, vcc_lo
	v_add_co_u32 v64, vcc_lo, s6, v64
	v_add_co_ci_u32_e32 v65, vcc_lo, s7, v65, vcc_lo
	v_add_co_u32 v30, vcc_lo, s4, v44
	v_add_co_ci_u32_e32 v31, vcc_lo, s5, v45, vcc_lo
	s_clause 0x1
	global_load_b32 v78, v[30:31], off
	global_load_b32 v97, v[103:104], off
	v_add_co_u32 v30, vcc_lo, s4, v50
	v_add_co_ci_u32_e32 v31, vcc_lo, s5, v51, vcc_lo
	s_clause 0x1
	global_load_b32 v98, v[30:31], off
	global_load_b32 v92, v[30:31], off
	s_waitcnt vmcnt(7)
	v_add_f32_e32 v30, v47, v106
	v_mov_b32_e32 v106, v1
	s_waitcnt vmcnt(1)
	s_delay_alu instid0(VALU_DEP_2) | instskip(NEXT) | instid1(VALU_DEP_1)
	v_add_f32_e32 v30, v30, v98
	v_add_f32_e32 v30, v30, v75
	s_delay_alu instid0(VALU_DEP_1) | instskip(NEXT) | instid1(VALU_DEP_1)
	v_add_f32_e32 v30, v30, v76
	v_add_f32_e32 v30, v30, v77
	s_delay_alu instid0(VALU_DEP_1) | instskip(NEXT) | instid1(VALU_DEP_1)
	;; [unrolled: 3-line block ×3, first 2 shown]
	v_add_f32_e32 v30, v30, v111
	v_add_f32_e32 v30, v30, v112
	s_delay_alu instid0(VALU_DEP_1) | instskip(SKIP_1) | instid1(VALU_DEP_1)
	v_add_f32_e32 v47, v30, v97
	v_lshlrev_b64 v[30:31], 2, v[105:106]
	v_add_co_u32 v75, vcc_lo, s4, v30
	s_delay_alu instid0(VALU_DEP_2)
	v_add_co_ci_u32_e32 v76, vcc_lo, s5, v31, vcc_lo
	s_clause 0x2
	global_load_b32 v77, v[75:76], off
	global_load_b32 v78, v[107:108], off
	;; [unrolled: 1-line block ×3, first 2 shown]
	v_add_co_u32 v71, vcc_lo, s4, v48
	v_add_co_ci_u32_e32 v72, vcc_lo, s5, v49, vcc_lo
	s_clause 0x1
	global_load_b32 v98, v[71:72], off
	global_load_b32 v76, v[71:72], off
	v_mov_b32_e32 v71, v1
	s_delay_alu instid0(VALU_DEP_1) | instskip(NEXT) | instid1(VALU_DEP_1)
	v_lshlrev_b64 v[70:71], 2, v[70:71]
	v_add_co_u32 v103, vcc_lo, s4, v70
	s_delay_alu instid0(VALU_DEP_2)
	v_add_co_ci_u32_e32 v104, vcc_lo, s5, v71, vcc_lo
	s_clause 0x1
	global_load_b32 v72, v[103:104], off
	global_load_b32 v97, v[103:104], off
	s_waitcnt vmcnt(6)
	v_add_f32_e32 v47, v47, v77
	s_waitcnt vmcnt(5)
	s_delay_alu instid0(VALU_DEP_1) | instskip(SKIP_1) | instid1(VALU_DEP_1)
	v_add_f32_e32 v47, v47, v78
	s_waitcnt vmcnt(1)
	v_add_f32_e32 v47, v47, v72
	s_delay_alu instid0(VALU_DEP_1) | instskip(NEXT) | instid1(VALU_DEP_1)
	v_add_f32_e32 v47, v47, v75
	v_dual_add_f32 v72, v47, v98 :: v_dual_mov_b32 v47, v1
	s_delay_alu instid0(VALU_DEP_1) | instskip(NEXT) | instid1(VALU_DEP_1)
	v_lshlrev_b64 v[46:47], 2, v[46:47]
	v_add_co_u32 v77, vcc_lo, s6, v46
	s_delay_alu instid0(VALU_DEP_2)
	v_add_co_ci_u32_e32 v78, vcc_lo, s7, v47, vcc_lo
	s_clause 0x5
	global_load_b32 v75, v[77:78], off
	global_load_b32 v68, v[68:69], off
	;; [unrolled: 1-line block ×6, first 2 shown]
	v_add_co_u32 v56, vcc_lo, s6, v28
	v_add_co_ci_u32_e32 v57, vcc_lo, s7, v29, vcc_lo
	s_clause 0x1
	global_load_b32 v58, v[56:57], off
	global_load_b32 v98, v[56:57], off
	s_waitcnt vmcnt(7)
	v_add_f32_e32 v56, v72, v75
	s_waitcnt vmcnt(1)
	s_delay_alu instid0(VALU_DEP_1) | instskip(NEXT) | instid1(VALU_DEP_1)
	v_add_f32_e32 v56, v56, v58
	v_add_f32_e32 v67, v56, v68
	s_delay_alu instid0(VALU_DEP_1) | instskip(NEXT) | instid1(VALU_DEP_1)
	v_div_scale_f32 v56, null, v67, v67, 1.0
	v_rcp_f32_e32 v57, v56
	s_waitcnt_depctr 0xfff
	v_fma_f32 v58, -v56, v57, 1.0
	s_delay_alu instid0(VALU_DEP_1) | instskip(SKIP_1) | instid1(VALU_DEP_1)
	v_fmac_f32_e32 v57, v58, v57
	v_div_scale_f32 v58, vcc_lo, 1.0, v67, 1.0
	v_mul_f32_e32 v62, v58, v57
	s_delay_alu instid0(VALU_DEP_1) | instskip(NEXT) | instid1(VALU_DEP_1)
	v_fma_f32 v63, -v56, v62, v58
	v_fmac_f32_e32 v62, v63, v57
	s_delay_alu instid0(VALU_DEP_1) | instskip(NEXT) | instid1(VALU_DEP_1)
	v_fma_f32 v56, -v56, v62, v58
	v_div_fmas_f32 v68, v56, v57, v62
	v_mad_u64_u32 v[56:57], null, 0xffffffb5, s2, v[0:1]
	v_mov_b32_e32 v57, v1
	s_delay_alu instid0(VALU_DEP_1) | instskip(NEXT) | instid1(VALU_DEP_1)
	v_lshlrev_b64 v[57:58], 2, v[56:57]
	v_add_co_u32 v57, vcc_lo, s0, v57
	s_delay_alu instid0(VALU_DEP_2)
	v_add_co_ci_u32_e32 v58, vcc_lo, s1, v58, vcc_lo
	v_add_co_u32 v50, vcc_lo, s6, v50
	v_add_co_ci_u32_e32 v51, vcc_lo, s7, v51, vcc_lo
	v_add_co_u32 v62, vcc_lo, s6, v44
	v_add_co_ci_u32_e32 v63, vcc_lo, s7, v45, vcc_lo
	s_clause 0x1
	global_load_b32 v0, v[62:63], off
	global_load_b32 v62, v[52:53], off
	v_add_co_u32 v52, vcc_lo, s4, v46
	v_add_co_ci_u32_e32 v53, vcc_lo, s5, v47, vcc_lo
	global_load_b32 v63, v[52:53], off
	v_add_co_u32 v52, vcc_lo, s6, v30
	v_add_co_ci_u32_e32 v53, vcc_lo, s7, v31, vcc_lo
	s_clause 0x1
	global_load_b32 v52, v[52:53], off
	global_load_b32 v53, v[54:55], off
	;; [unrolled: 1-line block ×3, first 2 shown]
	s_clause 0x1
	global_load_b32 v55, v[64:65], off
	global_load_b32 v72, v[50:51], off
	v_add_f32_e32 v50, v69, v59
	v_add_co_u32 v22, vcc_lo, s0, v22
	v_add_co_ci_u32_e32 v23, vcc_lo, s1, v23, vcc_lo
	s_delay_alu instid0(VALU_DEP_3) | instskip(SKIP_2) | instid1(VALU_DEP_3)
	v_add_f32_e32 v50, v50, v77
	v_add_co_u32 v14, vcc_lo, s0, v14
	v_add_co_ci_u32_e32 v15, vcc_lo, s1, v15, vcc_lo
	v_add_f32_e32 v50, v50, v66
	s_waitcnt vmcnt(7)
	s_delay_alu instid0(VALU_DEP_1) | instskip(SKIP_2) | instid1(VALU_DEP_2)
	v_add_f32_e32 v0, v50, v0
	v_div_fixup_f32 v50, v68, v67, 1.0
	s_waitcnt vmcnt(6)
	v_add_f32_e32 v0, v0, v62
	s_waitcnt vmcnt(5)
	s_delay_alu instid0(VALU_DEP_1) | instskip(SKIP_1) | instid1(VALU_DEP_1)
	v_add_f32_e32 v0, v0, v63
	s_waitcnt vmcnt(4)
	v_add_f32_e32 v0, v0, v52
	s_waitcnt vmcnt(3)
	s_delay_alu instid0(VALU_DEP_1) | instskip(SKIP_1) | instid1(VALU_DEP_1)
	v_add_f32_e32 v0, v0, v53
	s_waitcnt vmcnt(2)
	v_add_f32_e32 v0, v0, v54
	s_waitcnt vmcnt(1)
	s_delay_alu instid0(VALU_DEP_1) | instskip(NEXT) | instid1(VALU_DEP_1)
	v_add_f32_e32 v0, v0, v55
	v_mul_f32_e32 v0, v50, v0
	global_store_b32 v[57:58], v0, off
	v_mul_f32_e32 v0, v50, v96
	global_store_b32 v[22:23], v0, off
	v_add_f32_e32 v0, v102, v101
	s_delay_alu instid0(VALU_DEP_1) | instskip(NEXT) | instid1(VALU_DEP_1)
	v_add_f32_e32 v0, v0, v100
	v_add_f32_e32 v0, v0, v99
	s_delay_alu instid0(VALU_DEP_1)
	v_mul_f32_e32 v0, v50, v0
	global_store_b32 v[14:15], v0, off
	v_add_co_u32 v14, vcc_lo, s0, v20
	v_add_co_ci_u32_e32 v15, vcc_lo, s1, v21, vcc_lo
	s_waitcnt vmcnt(0)
	v_mul_f32_e32 v0, v50, v72
	global_store_b32 v[14:15], v0, off
	v_add_co_u32 v14, vcc_lo, s0, v18
	v_add_co_ci_u32_e32 v15, vcc_lo, s1, v19, vcc_lo
	v_add_co_u32 v18, vcc_lo, s4, v28
	v_add_co_ci_u32_e32 v19, vcc_lo, s5, v29, vcc_lo
	s_clause 0x1
	global_load_b32 v0, v[18:19], off
	global_load_b32 v100, v[18:19], off
	s_waitcnt vmcnt(1)
	v_mul_f32_e32 v0, v50, v0
	global_store_b32 v[14:15], v0, off
	v_add_co_u32 v14, vcc_lo, s6, v70
	v_add_co_ci_u32_e32 v15, vcc_lo, s7, v71, vcc_lo
	v_add_co_u32 v16, vcc_lo, s0, v16
	v_add_co_ci_u32_e32 v17, vcc_lo, s1, v17, vcc_lo
	;; [unrolled: 2-line block ×3, first 2 shown]
	s_clause 0x3
	global_load_b32 v0, v[14:15], off
	global_load_b32 v77, v[18:19], off
	;; [unrolled: 1-line block ×4, first 2 shown]
	s_waitcnt vmcnt(3)
	v_mul_f32_e32 v0, v50, v0
	s_waitcnt vmcnt(0)
	v_mul_f32_e32 v18, v50, v14
	global_store_b32 v[16:17], v0, off
	v_add_nc_u32_e32 v0, s12, v56
	s_delay_alu instid0(VALU_DEP_1) | instskip(SKIP_1) | instid1(VALU_DEP_2)
	v_lshlrev_b64 v[14:15], 2, v[0:1]
	v_add_nc_u32_e32 v0, s2, v0
	v_add_co_u32 v16, vcc_lo, s0, v14
	s_delay_alu instid0(VALU_DEP_3)
	v_add_co_ci_u32_e32 v17, vcc_lo, s1, v15, vcc_lo
	v_add_co_u32 v70, vcc_lo, s4, v14
	v_add_co_ci_u32_e32 v71, vcc_lo, s5, v15, vcc_lo
	v_add_co_u32 v101, vcc_lo, s6, v14
	v_add_co_ci_u32_e32 v102, vcc_lo, s7, v15, vcc_lo
	v_lshlrev_b64 v[14:15], 2, v[0:1]
	v_add_nc_u32_e32 v0, s2, v0
	global_store_b32 v[16:17], v18, off
	v_add_co_u32 v103, vcc_lo, s4, v14
	v_add_co_ci_u32_e32 v104, vcc_lo, s5, v15, vcc_lo
	v_add_co_u32 v106, vcc_lo, s6, v14
	v_add_co_ci_u32_e32 v107, vcc_lo, s7, v15, vcc_lo
	v_lshlrev_b64 v[14:15], 2, v[0:1]
	v_add_nc_u32_e32 v0, s2, v0
	s_delay_alu instid0(VALU_DEP_1) | instskip(SKIP_1) | instid1(VALU_DEP_4)
	v_lshlrev_b64 v[48:49], 2, v[0:1]
	v_add_nc_u32_e32 v0, s2, v0
	v_add_co_u32 v108, vcc_lo, s4, v14
	v_add_co_ci_u32_e32 v109, vcc_lo, s5, v15, vcc_lo
	s_delay_alu instid0(VALU_DEP_3) | instskip(SKIP_3) | instid1(VALU_DEP_3)
	v_lshlrev_b64 v[20:21], 2, v[0:1]
	v_add_nc_u32_e32 v0, s2, v0
	v_add_co_u32 v110, vcc_lo, s6, v14
	v_add_co_ci_u32_e32 v111, vcc_lo, s7, v15, vcc_lo
	v_lshlrev_b64 v[18:19], 2, v[0:1]
	v_add_nc_u32_e32 v0, s2, v0
	s_clause 0x2
	global_load_b32 v70, v[70:71], off
	global_load_b32 v71, v[103:104], off
	;; [unrolled: 1-line block ×3, first 2 shown]
	v_mad_u64_u32 v[112:113], null, s2, 41, v[0:1]
	v_lshlrev_b64 v[16:17], 2, v[0:1]
	s_delay_alu instid0(VALU_DEP_2) | instskip(NEXT) | instid1(VALU_DEP_1)
	v_dual_mov_b32 v113, v1 :: v_dual_add_nc_u32 v0, s2, v112
	v_lshlrev_b64 v[56:57], 2, v[0:1]
	v_add_nc_u32_e32 v0, s18, v0
	s_delay_alu instid0(VALU_DEP_1) | instskip(SKIP_2) | instid1(VALU_DEP_2)
	v_mad_u64_u32 v[114:115], null, s2, 44, v[0:1]
	v_mov_b32_e32 v115, v1
	v_lshlrev_b64 v[22:23], 2, v[0:1]
	v_mad_u64_u32 v[62:63], null, s2, 25, v[114:115]
	v_mov_b32_e32 v63, v1
	s_delay_alu instid0(VALU_DEP_1) | instskip(NEXT) | instid1(VALU_DEP_1)
	v_mad_u64_u32 v[14:15], null, 0xffffff8b, s2, v[62:63]
	v_dual_mov_b32 v15, v1 :: v_dual_add_nc_u32 v0, s2, v14
	s_delay_alu instid0(VALU_DEP_1) | instskip(NEXT) | instid1(VALU_DEP_1)
	v_lshlrev_b64 v[14:15], 2, v[14:15]
	v_add_co_u32 v116, vcc_lo, s6, v14
	s_delay_alu instid0(VALU_DEP_2) | instskip(SKIP_4) | instid1(VALU_DEP_1)
	v_add_co_ci_u32_e32 v117, vcc_lo, s7, v15, vcc_lo
	v_add_co_u32 v50, vcc_lo, s4, v14
	v_add_co_ci_u32_e32 v51, vcc_lo, s5, v15, vcc_lo
	v_lshlrev_b64 v[14:15], 2, v[0:1]
	v_add_nc_u32_e32 v0, s2, v0
	v_lshlrev_b64 v[52:53], 2, v[0:1]
	v_add_nc_u32_e32 v0, s2, v0
	s_delay_alu instid0(VALU_DEP_2) | instskip(NEXT) | instid1(VALU_DEP_2)
	v_add_co_u32 v118, vcc_lo, s6, v52
	v_lshlrev_b64 v[54:55], 2, v[0:1]
	v_add_nc_u32_e32 v0, s2, v0
	v_add_co_ci_u32_e32 v119, vcc_lo, s7, v53, vcc_lo
	v_add_co_u32 v52, vcc_lo, s4, v52
	v_add_co_ci_u32_e32 v53, vcc_lo, s5, v53, vcc_lo
	v_add_co_u32 v120, vcc_lo, s6, v54
	v_lshlrev_b64 v[58:59], 2, v[0:1]
	v_add_co_ci_u32_e32 v121, vcc_lo, s7, v55, vcc_lo
	v_add_co_u32 v54, vcc_lo, s4, v54
	v_add_co_ci_u32_e32 v55, vcc_lo, s5, v55, vcc_lo
	s_delay_alu instid0(VALU_DEP_4)
	v_add_co_u32 v122, vcc_lo, s6, v58
	v_add_co_ci_u32_e32 v123, vcc_lo, s7, v59, vcc_lo
	v_add_co_u32 v58, vcc_lo, s4, v58
	v_add_co_ci_u32_e32 v59, vcc_lo, s5, v59, vcc_lo
	;; [unrolled: 2-line block ×4, first 2 shown]
	v_mad_u64_u32 v[56:57], null, s2, 14, v[0:1]
	v_mov_b32_e32 v57, v1
	s_delay_alu instid0(VALU_DEP_1) | instskip(SKIP_2) | instid1(VALU_DEP_2)
	v_mad_u64_u32 v[128:129], null, s2, 50, v[56:57]
	v_mov_b32_e32 v129, v1
	v_lshlrev_b64 v[64:65], 2, v[56:57]
	v_mad_u64_u32 v[130:131], null, s2, 9, v[128:129]
	s_delay_alu instid0(VALU_DEP_2) | instskip(NEXT) | instid1(VALU_DEP_3)
	v_add_co_u32 v126, vcc_lo, s6, v64
	v_add_co_ci_u32_e32 v127, vcc_lo, s7, v65, vcc_lo
	v_add_co_u32 v68, vcc_lo, s4, v64
	s_delay_alu instid0(VALU_DEP_4) | instskip(SKIP_2) | instid1(VALU_DEP_3)
	v_add_nc_u32_e32 v0, s11, v130
	v_add_co_ci_u32_e32 v69, vcc_lo, s5, v65, vcc_lo
	v_add_co_u32 v12, vcc_lo, s6, v12
	v_lshlrev_b64 v[56:57], 2, v[0:1]
	v_add_co_ci_u32_e32 v13, vcc_lo, s7, v13, vcc_lo
	s_mul_i32 s11, s2, 20
	s_delay_alu instid0(VALU_DEP_2) | instskip(NEXT) | instid1(VALU_DEP_3)
	v_add_co_u32 v131, vcc_lo, s6, v56
	v_add_co_ci_u32_e32 v132, vcc_lo, s7, v57, vcc_lo
	v_add_co_u32 v64, vcc_lo, s4, v56
	v_add_co_ci_u32_e32 v65, vcc_lo, s5, v57, vcc_lo
	;; [unrolled: 2-line block ×3, first 2 shown]
	v_lshlrev_b64 v[10:11], 2, v[62:63]
	s_delay_alu instid0(VALU_DEP_1) | instskip(NEXT) | instid1(VALU_DEP_2)
	v_add_co_u32 v133, vcc_lo, s4, v10
	v_add_co_ci_u32_e32 v134, vcc_lo, s5, v11, vcc_lo
	v_add_co_u32 v66, vcc_lo, s6, v10
	v_add_co_ci_u32_e32 v67, vcc_lo, s7, v11, vcc_lo
	;; [unrolled: 2-line block ×4, first 2 shown]
	global_load_b32 v78, v[8:9], off
	v_add_co_u32 v8, vcc_lo, s4, v20
	v_add_co_ci_u32_e32 v9, vcc_lo, s5, v21, vcc_lo
	global_load_b32 v96, v[8:9], off
	v_add_co_u32 v8, vcc_lo, s4, v18
	v_add_co_ci_u32_e32 v9, vcc_lo, s5, v19, vcc_lo
	;; [unrolled: 3-line block ×3, first 2 shown]
	global_load_b32 v104, v[8:9], off
	v_lshlrev_b64 v[8:9], 2, v[112:113]
	s_delay_alu instid0(VALU_DEP_1) | instskip(NEXT) | instid1(VALU_DEP_2)
	v_add_co_u32 v10, vcc_lo, s4, v8
	v_add_co_ci_u32_e32 v11, vcc_lo, s5, v9, vcc_lo
	global_load_b32 v10, v[10:11], off
	s_waitcnt vmcnt(6)
	v_add_f32_e32 v11, v70, v71
	s_waitcnt vmcnt(5)
	s_delay_alu instid0(VALU_DEP_1) | instskip(SKIP_1) | instid1(VALU_DEP_1)
	v_add_f32_e32 v11, v11, v75
	s_waitcnt vmcnt(4)
	v_add_f32_e32 v11, v11, v78
	s_waitcnt vmcnt(3)
	s_delay_alu instid0(VALU_DEP_1) | instskip(SKIP_1) | instid1(VALU_DEP_1)
	v_add_f32_e32 v11, v11, v96
	s_waitcnt vmcnt(2)
	v_add_f32_e32 v11, v11, v103
	s_waitcnt vmcnt(1)
	s_delay_alu instid0(VALU_DEP_1)
	v_add_f32_e32 v11, v11, v104
	s_clause 0x1
	global_load_b32 v103, v[124:125], off
	global_load_b32 v104, v[133:134], off
	s_waitcnt vmcnt(2)
	v_add_f32_e32 v75, v11, v10
	v_lshlrev_b64 v[10:11], 2, v[114:115]
	s_delay_alu instid0(VALU_DEP_1) | instskip(NEXT) | instid1(VALU_DEP_2)
	v_add_co_u32 v70, vcc_lo, s4, v10
	v_add_co_ci_u32_e32 v71, vcc_lo, s5, v11, vcc_lo
	s_clause 0x1
	global_load_b32 v105, v[70:71], off
	global_load_b32 v78, v[70:71], off
	v_add_co_u32 v70, vcc_lo, s4, v22
	v_add_co_ci_u32_e32 v71, vcc_lo, s5, v23, vcc_lo
	s_clause 0x1
	global_load_b32 v108, v[70:71], off
	global_load_b32 v96, v[70:71], off
	s_waitcnt vmcnt(5)
	v_add_f32_e32 v70, v75, v103
	global_load_b32 v75, v[116:117], off
	s_waitcnt vmcnt(2)
	v_add_f32_e32 v70, v70, v108
	s_delay_alu instid0(VALU_DEP_1) | instskip(NEXT) | instid1(VALU_DEP_1)
	v_add_f32_e32 v70, v70, v105
	v_add_f32_e32 v70, v70, v104
	s_delay_alu instid0(VALU_DEP_1) | instskip(NEXT) | instid1(VALU_DEP_1)
	v_add_f32_e32 v70, v70, v95
	;; [unrolled: 3-line block ×3, first 2 shown]
	v_add_f32_e32 v74, v70, v74
	v_add_co_u32 v70, vcc_lo, s6, v14
	v_add_co_ci_u32_e32 v71, vcc_lo, s7, v15, vcc_lo
	global_load_b32 v94, v[70:71], off
	v_add_f32_e32 v70, v74, v73
	s_clause 0x3
	global_load_b32 v74, v[118:119], off
	global_load_b32 v103, v[120:121], off
	;; [unrolled: 1-line block ×4, first 2 shown]
	v_add_f32_e32 v95, v70, v72
	v_lshlrev_b64 v[70:71], 2, v[128:129]
	s_delay_alu instid0(VALU_DEP_1) | instskip(NEXT) | instid1(VALU_DEP_2)
	v_add_co_u32 v72, vcc_lo, s6, v70
	v_add_co_ci_u32_e32 v73, vcc_lo, s7, v71, vcc_lo
	s_clause 0x1
	global_load_b32 v108, v[72:73], off
	global_load_b32 v93, v[72:73], off
	s_waitcnt vmcnt(7)
	v_add_f32_e32 v72, v95, v75
	s_waitcnt vmcnt(6)
	s_delay_alu instid0(VALU_DEP_1) | instskip(SKIP_1) | instid1(VALU_DEP_1)
	v_add_f32_e32 v72, v72, v94
	s_waitcnt vmcnt(5)
	v_add_f32_e32 v72, v72, v74
	s_waitcnt vmcnt(4)
	s_delay_alu instid0(VALU_DEP_1) | instskip(SKIP_1) | instid1(VALU_DEP_1)
	v_add_f32_e32 v72, v72, v103
	s_waitcnt vmcnt(3)
	v_add_f32_e32 v72, v72, v104
	s_waitcnt vmcnt(2)
	s_delay_alu instid0(VALU_DEP_1)
	v_add_f32_e32 v72, v72, v105
	s_clause 0x3
	global_load_b32 v105, v[131:132], off
	global_load_b32 v94, v[101:102], off
	;; [unrolled: 1-line block ×4, first 2 shown]
	s_waitcnt vmcnt(5)
	v_dual_mov_b32 v131, v1 :: v_dual_add_f32 v104, v72, v108
	v_add_co_u32 v72, vcc_lo, s6, v48
	v_add_co_ci_u32_e32 v73, vcc_lo, s7, v49, vcc_lo
	global_load_b32 v102, v[72:73], off
	v_add_co_u32 v72, vcc_lo, s6, v20
	v_add_co_ci_u32_e32 v73, vcc_lo, s7, v21, vcc_lo
	global_load_b32 v103, v[72:73], off
	v_lshlrev_b64 v[72:73], 2, v[130:131]
	s_delay_alu instid0(VALU_DEP_1) | instskip(NEXT) | instid1(VALU_DEP_2)
	v_add_co_u32 v74, vcc_lo, s6, v72
	v_add_co_ci_u32_e32 v75, vcc_lo, s7, v73, vcc_lo
	s_clause 0x1
	global_load_b32 v106, v[74:75], off
	global_load_b32 v74, v[74:75], off
	s_waitcnt vmcnt(1)
	v_add_f32_e32 v75, v104, v106
	s_delay_alu instid0(VALU_DEP_1) | instskip(NEXT) | instid1(VALU_DEP_1)
	v_add_f32_e32 v75, v75, v105
	v_div_scale_f32 v104, null, v75, v75, 1.0
	s_delay_alu instid0(VALU_DEP_1) | instskip(SKIP_2) | instid1(VALU_DEP_1)
	v_rcp_f32_e32 v105, v104
	s_waitcnt_depctr 0xfff
	v_fma_f32 v106, -v104, v105, 1.0
	v_fmac_f32_e32 v105, v106, v105
	v_div_scale_f32 v106, vcc_lo, 1.0, v75, 1.0
	s_delay_alu instid0(VALU_DEP_1) | instskip(NEXT) | instid1(VALU_DEP_1)
	v_mul_f32_e32 v107, v106, v105
	v_fma_f32 v108, -v104, v107, v106
	s_delay_alu instid0(VALU_DEP_1) | instskip(NEXT) | instid1(VALU_DEP_1)
	v_fmac_f32_e32 v107, v108, v105
	v_fma_f32 v104, -v104, v107, v106
	s_delay_alu instid0(VALU_DEP_1)
	v_div_fmas_f32 v106, v104, v105, v107
	v_add_co_u32 v104, vcc_lo, s0, v48
	v_add_co_ci_u32_e32 v105, vcc_lo, s1, v49, vcc_lo
	v_add_co_u32 v48, vcc_lo, s6, v18
	v_add_co_ci_u32_e32 v49, vcc_lo, s7, v19, vcc_lo
	global_load_b32 v107, v[48:49], off
	v_add_co_u32 v48, vcc_lo, s6, v16
	v_add_co_ci_u32_e32 v49, vcc_lo, s7, v17, vcc_lo
	global_load_b32 v108, v[48:49], off
	global_load_b32 v50, v[50:51], off
	v_add_co_u32 v48, vcc_lo, s4, v14
	v_add_co_ci_u32_e32 v49, vcc_lo, s5, v15, vcc_lo
	s_clause 0x3
	global_load_b32 v51, v[48:49], off
	global_load_b32 v52, v[52:53], off
	global_load_b32 v53, v[54:55], off
	global_load_b32 v54, v[58:59], off
	v_add_co_u32 v48, vcc_lo, s6, v8
	v_add_co_ci_u32_e32 v49, vcc_lo, s7, v9, vcc_lo
	s_clause 0x1
	global_load_b32 v48, v[48:49], off
	global_load_b32 v49, v[60:61], off
	global_load_b32 v55, v[68:69], off
	v_add_f32_e32 v58, v94, v95
	s_delay_alu instid0(VALU_DEP_1) | instskip(NEXT) | instid1(VALU_DEP_1)
	v_add_f32_e32 v58, v58, v101
	v_add_f32_e32 v58, v58, v102
	s_delay_alu instid0(VALU_DEP_1) | instskip(SKIP_1) | instid1(VALU_DEP_1)
	v_add_f32_e32 v58, v58, v103
	s_waitcnt vmcnt(9)
	v_add_f32_e32 v58, v58, v107
	s_waitcnt vmcnt(8)
	s_delay_alu instid0(VALU_DEP_1) | instskip(SKIP_1) | instid1(VALU_DEP_1)
	v_add_f32_e32 v58, v58, v108
	s_waitcnt vmcnt(7)
	v_add_f32_e32 v50, v58, v50
	s_waitcnt vmcnt(6)
	s_delay_alu instid0(VALU_DEP_1) | instskip(SKIP_1) | instid1(VALU_DEP_1)
	v_add_f32_e32 v50, v50, v51
	s_waitcnt vmcnt(5)
	v_add_f32_e32 v50, v50, v52
	v_div_fixup_f32 v52, v106, v75, 1.0
	s_waitcnt vmcnt(4)
	s_delay_alu instid0(VALU_DEP_2) | instskip(SKIP_1) | instid1(VALU_DEP_1)
	v_add_f32_e32 v50, v50, v53
	s_waitcnt vmcnt(3)
	v_add_f32_e32 v50, v50, v54
	s_waitcnt vmcnt(2)
	s_delay_alu instid0(VALU_DEP_1) | instskip(SKIP_1) | instid1(VALU_DEP_1)
	v_add_f32_e32 v48, v50, v48
	s_waitcnt vmcnt(1)
	v_add_f32_e32 v48, v48, v49
	global_load_b32 v49, v[64:65], off
	s_clause 0x1
	global_load_b32 v50, v[12:13], off
	global_load_b32 v54, v[12:13], off
	s_waitcnt vmcnt(3)
	v_add_f32_e32 v48, v48, v55
	s_waitcnt vmcnt(1)
	s_delay_alu instid0(VALU_DEP_1)
	v_add_f32_e32 v12, v48, v50
	s_clause 0x2
	global_load_b32 v13, v[66:67], off
	global_load_b32 v48, v[56:57], off
	;; [unrolled: 1-line block ×3, first 2 shown]
	v_add_f32_e32 v12, v12, v49
	s_waitcnt vmcnt(1)
	s_delay_alu instid0(VALU_DEP_1) | instskip(NEXT) | instid1(VALU_DEP_1)
	v_add_f32_e32 v12, v12, v48
	v_add_f32_e32 v12, v12, v13
	s_clause 0x1
	global_load_b32 v13, v[62:63], off
	global_load_b32 v49, v[62:63], off
	s_waitcnt vmcnt(1)
	v_add_f32_e32 v12, v12, v13
	s_delay_alu instid0(VALU_DEP_1) | instskip(SKIP_4) | instid1(VALU_DEP_2)
	v_mul_f32_e32 v12, v52, v12
	global_store_b32 v[104:105], v12, off
	v_add_co_u32 v12, vcc_lo, s0, v20
	v_add_f32_e32 v20, v84, v83
	v_add_co_ci_u32_e32 v13, vcc_lo, s1, v21, vcc_lo
	v_add_f32_e32 v20, v20, v87
	s_delay_alu instid0(VALU_DEP_1) | instskip(SKIP_4) | instid1(VALU_DEP_2)
	v_mul_f32_e32 v20, v52, v20
	global_store_b32 v[12:13], v20, off
	v_add_co_u32 v12, vcc_lo, s0, v18
	v_add_f32_e32 v18, v89, v88
	v_add_co_ci_u32_e32 v13, vcc_lo, s1, v19, vcc_lo
	v_mul_f32_e32 v18, v52, v18
	global_store_b32 v[12:13], v18, off
	v_add_co_u32 v12, vcc_lo, s0, v16
	v_add_co_ci_u32_e32 v13, vcc_lo, s1, v17, vcc_lo
	v_mul_f32_e32 v16, v52, v92
	global_store_b32 v[12:13], v16, off
	v_add_co_u32 v12, vcc_lo, s6, v22
	v_add_co_ci_u32_e32 v13, vcc_lo, s7, v23, vcc_lo
	v_add_co_u32 v16, vcc_lo, s4, v70
	v_add_co_ci_u32_e32 v17, vcc_lo, s5, v71, vcc_lo
	;; [unrolled: 2-line block ×3, first 2 shown]
	s_clause 0x1
	global_load_b32 v20, v[16:17], off
	global_load_b32 v43, v[16:17], off
	s_clause 0x1
	global_load_b32 v16, v[12:13], off
	global_load_b32 v42, v[12:13], off
	v_add_co_u32 v10, vcc_lo, s6, v10
	v_add_co_ci_u32_e32 v11, vcc_lo, s7, v11, vcc_lo
	s_waitcnt vmcnt(1)
	v_add_f32_e32 v12, v16, v20
	s_delay_alu instid0(VALU_DEP_1)
	v_mul_f32_e32 v12, v52, v12
	global_store_b32 v[18:19], v12, off
	s_clause 0x1
	global_load_b32 v16, v[10:11], off
	global_load_b32 v51, v[10:11], off
	v_mad_u64_u32 v[18:19], null, 0xffffffc1, s2, v[0:1]
	v_add_co_u32 v12, vcc_lo, s0, v40
	v_add_co_ci_u32_e32 v13, vcc_lo, s1, v41, vcc_lo
	s_delay_alu instid0(VALU_DEP_3) | instskip(NEXT) | instid1(VALU_DEP_1)
	v_add_nc_u32_e32 v0, s2, v18
	v_lshlrev_b64 v[20:21], 2, v[0:1]
	v_add_nc_u32_e32 v0, s13, v0
	s_waitcnt vmcnt(1)
	v_mul_f32_e32 v10, v52, v16
	global_store_b32 v[12:13], v10, off
	v_add_co_u32 v12, vcc_lo, s4, v72
	v_add_co_ci_u32_e32 v13, vcc_lo, s5, v73, vcc_lo
	v_add_co_u32 v16, vcc_lo, s0, v38
	v_add_co_ci_u32_e32 v17, vcc_lo, s1, v39, vcc_lo
	;; [unrolled: 2-line block ×3, first 2 shown]
	global_load_b32 v61, v[10:11], off
	v_lshlrev_b64 v[10:11], 2, v[0:1]
	v_add_nc_u32_e32 v0, s2, v0
	s_delay_alu instid0(VALU_DEP_2) | instskip(NEXT) | instid1(VALU_DEP_3)
	v_add_co_u32 v22, vcc_lo, s4, v10
	v_add_co_ci_u32_e32 v23, vcc_lo, s5, v11, vcc_lo
	global_load_b32 v62, v[22:23], off
	v_lshlrev_b64 v[22:23], 2, v[0:1]
	v_add_nc_u32_e32 v0, s2, v0
	s_delay_alu instid0(VALU_DEP_2) | instskip(NEXT) | instid1(VALU_DEP_3)
	v_add_co_u32 v38, vcc_lo, s4, v22
	v_add_co_ci_u32_e32 v39, vcc_lo, s5, v23, vcc_lo
	global_load_b32 v63, v[38:39], off
	v_lshlrev_b64 v[38:39], 2, v[0:1]
	s_delay_alu instid0(VALU_DEP_1) | instskip(NEXT) | instid1(VALU_DEP_2)
	v_add_co_u32 v40, vcc_lo, s4, v38
	v_add_co_ci_u32_e32 v41, vcc_lo, s5, v39, vcc_lo
	s_clause 0x2
	global_load_b32 v64, v[40:41], off
	global_load_b32 v19, v[12:13], off
	;; [unrolled: 1-line block ×3, first 2 shown]
	s_waitcnt vmcnt(1)
	v_dual_mul_f32 v12, v52, v19 :: v_dual_mov_b32 v19, v1
	global_store_b32 v[16:17], v12, off
	v_mad_u64_u32 v[12:13], null, 0xffffffe2, s2, v[0:1]
	v_mov_b32_e32 v13, v1
	v_lshlrev_b64 v[18:19], 2, v[18:19]
	s_delay_alu instid0(VALU_DEP_3) | instskip(NEXT) | instid1(VALU_DEP_3)
	v_add_nc_u32_e32 v0, s15, v12
	v_lshlrev_b64 v[12:13], 2, v[12:13]
	s_delay_alu instid0(VALU_DEP_2) | instskip(SKIP_1) | instid1(VALU_DEP_3)
	v_lshlrev_b64 v[40:41], 2, v[0:1]
	v_add_nc_u32_e32 v0, s14, v0
	v_add_co_u32 v16, vcc_lo, s6, v12
	s_delay_alu instid0(VALU_DEP_4)
	v_add_co_ci_u32_e32 v17, vcc_lo, s7, v13, vcc_lo
	v_add_co_u32 v12, vcc_lo, s4, v12
	v_add_co_ci_u32_e32 v13, vcc_lo, s5, v13, vcc_lo
	v_add_co_u32 v52, vcc_lo, s6, v40
	v_lshlrev_b64 v[55:56], 2, v[0:1]
	v_add_co_ci_u32_e32 v53, vcc_lo, s7, v41, vcc_lo
	v_add_co_u32 v40, vcc_lo, s4, v40
	v_add_co_ci_u32_e32 v41, vcc_lo, s5, v41, vcc_lo
	s_delay_alu instid0(VALU_DEP_4)
	v_add_co_u32 v57, vcc_lo, s6, v55
	v_add_co_ci_u32_e32 v58, vcc_lo, s7, v56, vcc_lo
	v_add_co_u32 v55, vcc_lo, s4, v55
	v_add_co_ci_u32_e32 v56, vcc_lo, s5, v56, vcc_lo
	;; [unrolled: 2-line block ×3, first 2 shown]
	global_load_b32 v59, v[59:60], off
	s_clause 0x2
	global_load_b32 v16, v[16:17], off
	global_load_b32 v17, v[52:53], off
	;; [unrolled: 1-line block ×3, first 2 shown]
	v_add_co_u32 v18, vcc_lo, s6, v18
	v_add_co_ci_u32_e32 v19, vcc_lo, s7, v19, vcc_lo
	v_add_co_u32 v20, vcc_lo, s6, v20
	v_add_co_ci_u32_e32 v21, vcc_lo, s7, v21, vcc_lo
	;; [unrolled: 2-line block ×4, first 2 shown]
	v_add_nc_u32_e32 v0, s10, v0
	s_mul_i32 s10, s2, 21
	s_waitcnt vmcnt(3)
	v_add_f32_e32 v53, v59, v61
	s_delay_alu instid0(VALU_DEP_1) | instskip(NEXT) | instid1(VALU_DEP_1)
	v_add_f32_e32 v53, v53, v100
	v_add_f32_e32 v53, v53, v62
	s_delay_alu instid0(VALU_DEP_1) | instskip(NEXT) | instid1(VALU_DEP_1)
	v_add_f32_e32 v53, v53, v63
	v_add_f32_e32 v53, v53, v64
	s_waitcnt vmcnt(2)
	s_delay_alu instid0(VALU_DEP_1) | instskip(SKIP_1) | instid1(VALU_DEP_1)
	v_add_f32_e32 v16, v53, v16
	s_waitcnt vmcnt(1)
	v_add_f32_e32 v16, v16, v17
	s_waitcnt vmcnt(0)
	s_delay_alu instid0(VALU_DEP_1) | instskip(NEXT) | instid1(VALU_DEP_1)
	v_add_f32_e32 v52, v16, v52
	v_div_scale_f32 v16, null, v52, v52, 1.0
	s_delay_alu instid0(VALU_DEP_1) | instskip(SKIP_2) | instid1(VALU_DEP_1)
	v_rcp_f32_e32 v17, v16
	s_waitcnt_depctr 0xfff
	v_fma_f32 v53, -v16, v17, 1.0
	v_fmac_f32_e32 v17, v53, v17
	v_div_scale_f32 v53, vcc_lo, 1.0, v52, 1.0
	s_delay_alu instid0(VALU_DEP_1) | instskip(NEXT) | instid1(VALU_DEP_1)
	v_mul_f32_e32 v57, v53, v17
	v_fma_f32 v58, -v16, v57, v53
	s_delay_alu instid0(VALU_DEP_1) | instskip(NEXT) | instid1(VALU_DEP_1)
	v_fmac_f32_e32 v57, v58, v17
	v_fma_f32 v16, -v16, v57, v53
	s_delay_alu instid0(VALU_DEP_1)
	v_div_fmas_f32 v53, v16, v17, v57
	v_add_co_u32 v16, vcc_lo, s0, v36
	v_add_co_ci_u32_e32 v17, vcc_lo, s1, v37, vcc_lo
	s_clause 0x2
	global_load_b32 v36, v[12:13], off
	global_load_b32 v37, v[40:41], off
	;; [unrolled: 1-line block ×3, first 2 shown]
	s_clause 0x1
	global_load_b32 v18, v[18:19], off
	global_load_b32 v19, v[20:21], off
	v_add_co_u32 v12, vcc_lo, s6, v10
	v_add_co_ci_u32_e32 v13, vcc_lo, s7, v11, vcc_lo
	s_clause 0x2
	global_load_b32 v12, v[12:13], off
	global_load_b32 v13, v[22:23], off
	;; [unrolled: 1-line block ×3, first 2 shown]
	v_add_co_u32 v2, vcc_lo, s0, v2
	v_add_co_ci_u32_e32 v3, vcc_lo, s1, v3, vcc_lo
	s_waitcnt vmcnt(6)
	v_add_f32_e32 v21, v36, v37
	s_waitcnt vmcnt(5)
	s_delay_alu instid0(VALU_DEP_1) | instskip(SKIP_1) | instid1(VALU_DEP_1)
	v_add_f32_e32 v21, v21, v40
	s_waitcnt vmcnt(4)
	v_add_f32_e32 v18, v21, v18
	s_waitcnt vmcnt(3)
	s_delay_alu instid0(VALU_DEP_1) | instskip(SKIP_1) | instid1(VALU_DEP_1)
	v_add_f32_e32 v18, v18, v19
	s_waitcnt vmcnt(2)
	v_add_f32_e32 v12, v18, v12
	s_waitcnt vmcnt(1)
	s_delay_alu instid0(VALU_DEP_1) | instskip(SKIP_2) | instid1(VALU_DEP_2)
	v_add_f32_e32 v12, v12, v13
	v_div_fixup_f32 v13, v53, v52, 1.0
	s_waitcnt vmcnt(0)
	v_add_f32_e32 v12, v12, v20
	s_delay_alu instid0(VALU_DEP_1)
	v_mul_f32_e32 v12, v13, v12
	global_store_b32 v[16:17], v12, off
	v_mul_f32_e32 v12, v13, v98
	global_store_b32 v[2:3], v12, off
	v_lshlrev_b64 v[2:3], 2, v[0:1]
	v_add_nc_u32_e32 v0, s13, v0
	s_delay_alu instid0(VALU_DEP_1) | instskip(SKIP_2) | instid1(VALU_DEP_3)
	v_mad_u64_u32 v[12:13], null, s2, -10, v[0:1]
	v_mov_b32_e32 v13, v1
	v_lshlrev_b64 v[16:17], 2, v[0:1]
	v_add_nc_u32_e32 v0, s11, v12
	s_delay_alu instid0(VALU_DEP_3) | instskip(NEXT) | instid1(VALU_DEP_2)
	v_lshlrev_b64 v[12:13], 2, v[12:13]
	v_lshlrev_b64 v[36:37], 2, v[0:1]
	v_add_nc_u32_e32 v0, s10, v0
	s_delay_alu instid0(VALU_DEP_3) | instskip(NEXT) | instid1(VALU_DEP_4)
	v_add_co_u32 v18, vcc_lo, s6, v12
	v_add_co_ci_u32_e32 v19, vcc_lo, s7, v13, vcc_lo
	v_add_co_u32 v12, vcc_lo, s4, v12
	v_add_co_ci_u32_e32 v13, vcc_lo, s5, v13, vcc_lo
	v_add_co_u32 v20, vcc_lo, s4, v2
	v_add_co_ci_u32_e32 v21, vcc_lo, s5, v3, vcc_lo
	v_add_co_u32 v2, vcc_lo, s6, v2
	v_add_co_ci_u32_e32 v3, vcc_lo, s7, v3, vcc_lo
	v_add_co_u32 v22, vcc_lo, s4, v16
	v_add_co_ci_u32_e32 v23, vcc_lo, s5, v17, vcc_lo
	s_clause 0x1
	global_load_b32 v20, v[20:21], off
	global_load_b32 v21, v[22:23], off
	v_lshlrev_b64 v[38:39], 2, v[0:1]
	v_add_co_u32 v16, vcc_lo, s6, v16
	v_add_co_ci_u32_e32 v17, vcc_lo, s7, v17, vcc_lo
	v_add_nc_u32_e32 v0, s18, v0
	s_delay_alu instid0(VALU_DEP_4) | instskip(SKIP_4) | instid1(VALU_DEP_1)
	v_add_co_u32 v40, vcc_lo, s6, v38
	v_add_co_ci_u32_e32 v41, vcc_lo, s7, v39, vcc_lo
	v_add_co_u32 v52, vcc_lo, s4, v38
	v_add_co_ci_u32_e32 v53, vcc_lo, s5, v39, vcc_lo
	v_lshlrev_b64 v[38:39], 2, v[0:1]
	v_add_co_u32 v55, vcc_lo, s6, v38
	s_delay_alu instid0(VALU_DEP_2)
	v_add_co_ci_u32_e32 v56, vcc_lo, s7, v39, vcc_lo
	v_add_co_u32 v57, vcc_lo, s4, v38
	v_add_co_ci_u32_e32 v58, vcc_lo, s5, v39, vcc_lo
	s_waitcnt vmcnt(1)
	v_add_f32_e32 v20, v20, v91
	s_waitcnt vmcnt(0)
	s_delay_alu instid0(VALU_DEP_1)
	v_add_f32_e32 v20, v20, v21
	s_clause 0x2
	global_load_b32 v21, v[18:19], off
	global_load_b32 v22, v[40:41], off
	;; [unrolled: 1-line block ×3, first 2 shown]
	v_add_co_u32 v18, vcc_lo, s6, v36
	v_add_co_ci_u32_e32 v19, vcc_lo, s7, v37, vcc_lo
	s_clause 0x1
	global_load_b32 v39, v[18:19], off
	global_load_b32 v38, v[18:19], off
	v_add_f32_e32 v20, v20, v82
	s_waitcnt vmcnt(4)
	s_delay_alu instid0(VALU_DEP_1) | instskip(SKIP_1) | instid1(VALU_DEP_1)
	v_add_f32_e32 v18, v20, v21
	s_waitcnt vmcnt(1)
	v_add_f32_e32 v18, v18, v39
	s_delay_alu instid0(VALU_DEP_1) | instskip(NEXT) | instid1(VALU_DEP_1)
	v_add_f32_e32 v18, v18, v22
	v_add_f32_e32 v18, v18, v99
	s_delay_alu instid0(VALU_DEP_1) | instskip(NEXT) | instid1(VALU_DEP_1)
	v_add_f32_e32 v41, v18, v23
	v_div_scale_f32 v18, null, v41, v41, 1.0
	s_delay_alu instid0(VALU_DEP_1) | instskip(SKIP_2) | instid1(VALU_DEP_1)
	v_rcp_f32_e32 v19, v18
	s_waitcnt_depctr 0xfff
	v_fma_f32 v20, -v18, v19, 1.0
	v_fmac_f32_e32 v19, v20, v19
	v_div_scale_f32 v20, vcc_lo, 1.0, v41, 1.0
	s_delay_alu instid0(VALU_DEP_1) | instskip(NEXT) | instid1(VALU_DEP_1)
	v_mul_f32_e32 v21, v20, v19
	v_fma_f32 v22, -v18, v21, v20
	s_delay_alu instid0(VALU_DEP_1) | instskip(NEXT) | instid1(VALU_DEP_1)
	v_fmac_f32_e32 v21, v22, v19
	v_fma_f32 v18, -v18, v21, v20
	s_delay_alu instid0(VALU_DEP_1)
	v_div_fmas_f32 v55, v18, v19, v21
	v_add_co_u32 v18, vcc_lo, s0, v44
	v_add_co_ci_u32_e32 v19, vcc_lo, s1, v45, vcc_lo
	v_add_co_u32 v20, vcc_lo, s4, v36
	v_add_co_ci_u32_e32 v21, vcc_lo, s5, v37, vcc_lo
	global_load_b32 v12, v[12:13], off
	s_clause 0x1
	global_load_b32 v2, v[2:3], off
	global_load_b32 v3, v[16:17], off
	s_clause 0x2
	global_load_b32 v36, v[52:53], off
	global_load_b32 v37, v[57:58], off
	;; [unrolled: 1-line block ×3, first 2 shown]
	s_waitcnt vmcnt(4)
	v_add_f32_e32 v2, v12, v2
	s_waitcnt vmcnt(3)
	s_delay_alu instid0(VALU_DEP_1) | instskip(SKIP_1) | instid1(VALU_DEP_1)
	v_add_f32_e32 v44, v2, v3
	v_mad_u64_u32 v[2:3], null, 0xffffffb9, s2, v[0:1]
	v_dual_mov_b32 v3, v1 :: v_dual_add_nc_u32 v0, s17, v2
	s_delay_alu instid0(VALU_DEP_1) | instskip(NEXT) | instid1(VALU_DEP_1)
	v_lshlrev_b64 v[2:3], 2, v[2:3]
	v_add_co_u32 v12, vcc_lo, s4, v2
	s_delay_alu instid0(VALU_DEP_2) | instskip(SKIP_3) | instid1(VALU_DEP_2)
	v_add_co_ci_u32_e32 v13, vcc_lo, s5, v3, vcc_lo
	global_load_b32 v75, v[12:13], off
	v_lshlrev_b64 v[12:13], 2, v[0:1]
	v_add_nc_u32_e32 v0, s2, v0
	v_add_co_u32 v16, vcc_lo, s4, v12
	s_delay_alu instid0(VALU_DEP_3) | instskip(SKIP_3) | instid1(VALU_DEP_2)
	v_add_co_ci_u32_e32 v17, vcc_lo, s5, v13, vcc_lo
	global_load_b32 v103, v[16:17], off
	v_lshlrev_b64 v[16:17], 2, v[0:1]
	v_add_nc_u32_e32 v0, s13, v0
	v_add_co_u32 v20, vcc_lo, s4, v16
	s_delay_alu instid0(VALU_DEP_3) | instskip(NEXT) | instid1(VALU_DEP_3)
	v_add_co_ci_u32_e32 v21, vcc_lo, s5, v17, vcc_lo
	v_lshlrev_b64 v[22:23], 2, v[0:1]
	v_add_nc_u32_e32 v0, s2, v0
	global_load_b32 v104, v[20:21], off
	v_add_co_u32 v20, vcc_lo, s4, v22
	v_lshlrev_b64 v[39:40], 2, v[0:1]
	v_add_co_ci_u32_e32 v21, vcc_lo, s5, v23, vcc_lo
	v_add_nc_u32_e32 v0, s2, v0
	global_load_b32 v105, v[20:21], off
	v_add_co_u32 v20, vcc_lo, s4, v39
	v_add_co_ci_u32_e32 v21, vcc_lo, s5, v40, vcc_lo
	global_load_b32 v106, v[20:21], off
	s_waitcnt vmcnt(7)
	v_add_f32_e32 v20, v44, v36
	v_div_fixup_f32 v21, v55, v41, 1.0
	s_waitcnt vmcnt(6)
	s_delay_alu instid0(VALU_DEP_2) | instskip(NEXT) | instid1(VALU_DEP_1)
	v_add_f32_e32 v20, v20, v37
	v_mul_f32_e32 v20, v21, v20
	global_store_b32 v[18:19], v20, off
	v_add_f32_e32 v20, v90, v81
	v_add_co_u32 v18, vcc_lo, s0, v34
	v_add_co_ci_u32_e32 v19, vcc_lo, s1, v35, vcc_lo
	s_delay_alu instid0(VALU_DEP_3)
	v_mul_f32_e32 v20, v21, v20
	global_store_b32 v[18:19], v20, off
	v_add_co_u32 v18, vcc_lo, s0, v32
	v_add_co_ci_u32_e32 v19, vcc_lo, s1, v33, vcc_lo
	v_mul_f32_e32 v20, v21, v97
	v_add_co_u32 v14, vcc_lo, s0, v14
	v_add_co_ci_u32_e32 v15, vcc_lo, s1, v15, vcc_lo
	global_store_b32 v[18:19], v20, off
	v_add_co_u32 v20, vcc_lo, s6, v2
	s_waitcnt vmcnt(5)
	v_mul_f32_e32 v18, v21, v73
	v_add_co_ci_u32_e32 v21, vcc_lo, s7, v3, vcc_lo
	v_add_co_u32 v36, vcc_lo, s6, v12
	v_add_co_ci_u32_e32 v37, vcc_lo, s7, v13, vcc_lo
	v_add_co_u32 v2, vcc_lo, s6, v16
	v_add_co_ci_u32_e32 v3, vcc_lo, s7, v17, vcc_lo
	v_lshlrev_b64 v[16:17], 2, v[0:1]
	v_add_nc_u32_e32 v0, s2, v0
	global_store_b32 v[14:15], v18, off
	v_add_co_u32 v12, vcc_lo, s6, v22
	v_add_co_ci_u32_e32 v13, vcc_lo, s7, v23, vcc_lo
	v_lshlrev_b64 v[18:19], 2, v[0:1]
	v_add_nc_u32_e32 v0, s2, v0
	v_add_co_u32 v14, vcc_lo, s6, v39
	v_add_co_ci_u32_e32 v15, vcc_lo, s7, v40, vcc_lo
	s_delay_alu instid0(VALU_DEP_3) | instskip(SKIP_3) | instid1(VALU_DEP_3)
	v_lshlrev_b64 v[32:33], 2, v[0:1]
	v_add_nc_u32_e32 v0, s13, v0
	v_add_co_u32 v39, vcc_lo, s4, v16
	v_add_co_ci_u32_e32 v40, vcc_lo, s5, v17, vcc_lo
	v_lshlrev_b64 v[34:35], 2, v[0:1]
	v_add_nc_u32_e32 v0, s2, v0
	v_add_co_u32 v16, vcc_lo, s6, v16
	v_add_co_ci_u32_e32 v17, vcc_lo, s7, v17, vcc_lo
	v_add_co_u32 v44, vcc_lo, s4, v18
	s_delay_alu instid0(VALU_DEP_4)
	v_lshlrev_b64 v[22:23], 2, v[0:1]
	v_add_nc_u32_e32 v0, s13, v0
	v_add_co_ci_u32_e32 v45, vcc_lo, s5, v19, vcc_lo
	v_add_co_u32 v18, vcc_lo, s6, v18
	v_add_co_ci_u32_e32 v19, vcc_lo, s7, v19, vcc_lo
	v_add_co_u32 v52, vcc_lo, s4, v22
	v_lshlrev_b64 v[55:56], 2, v[0:1]
	v_add_nc_u32_e32 v0, s2, v0
	v_add_co_ci_u32_e32 v53, vcc_lo, s5, v23, vcc_lo
	v_add_co_u32 v22, vcc_lo, s6, v22
	v_add_co_ci_u32_e32 v23, vcc_lo, s7, v23, vcc_lo
	v_add_co_u32 v57, vcc_lo, s4, v55
	;; [unrolled: 6-line block ×9, first 2 shown]
	v_lshlrev_b64 v[99:100], 2, v[0:1]
	v_add_co_ci_u32_e32 v98, vcc_lo, s7, v95, vcc_lo
	v_add_co_u32 v94, vcc_lo, s4, v94
	v_add_co_ci_u32_e32 v95, vcc_lo, s5, v95, vcc_lo
	s_delay_alu instid0(VALU_DEP_4)
	v_add_co_u32 v101, vcc_lo, s6, v99
	v_add_co_ci_u32_e32 v102, vcc_lo, s7, v100, vcc_lo
	v_add_co_u32 v99, vcc_lo, s4, v99
	v_add_co_ci_u32_e32 v100, vcc_lo, s5, v100, vcc_lo
	;; [unrolled: 2-line block ×3, first 2 shown]
	s_waitcnt vmcnt(3)
	v_add_f32_e32 v41, v75, v103
	s_waitcnt vmcnt(2)
	s_delay_alu instid0(VALU_DEP_1) | instskip(NEXT) | instid1(VALU_DEP_1)
	v_add_f32_e32 v41, v41, v104
	v_add_f32_e32 v41, v41, v73
	s_clause 0x5
	global_load_b32 v73, v[39:40], off
	global_load_b32 v44, v[44:45], off
	;; [unrolled: 1-line block ×6, first 2 shown]
	s_clause 0x5
	global_load_b32 v62, v[69:70], off
	global_load_b32 v65, v[81:82], off
	;; [unrolled: 1-line block ×6, first 2 shown]
	v_add_co_u32 v39, vcc_lo, s4, v34
	v_add_co_ci_u32_e32 v40, vcc_lo, s5, v35, vcc_lo
	s_clause 0x1
	global_load_b32 v81, v[39:40], off
	global_load_b32 v52, v[39:40], off
	v_add_co_u32 v39, vcc_lo, s4, v32
	v_add_co_ci_u32_e32 v40, vcc_lo, s5, v33, vcc_lo
	s_clause 0x1
	global_load_b32 v82, v[39:40], off
	global_load_b32 v53, v[39:40], off
	s_waitcnt vmcnt(17)
	v_add_f32_e32 v41, v41, v105
	s_clause 0x1
	global_load_b32 v40, v[20:21], off
	global_load_b32 v36, v[36:37], off
	s_waitcnt vmcnt(18)
	v_add_f32_e32 v41, v41, v106
	s_waitcnt vmcnt(17)
	s_delay_alu instid0(VALU_DEP_1) | instskip(SKIP_1) | instid1(VALU_DEP_1)
	v_add_f32_e32 v39, v41, v73
	s_waitcnt vmcnt(16)
	v_add_f32_e32 v39, v39, v44
	s_waitcnt vmcnt(0)
	s_delay_alu instid0(VALU_DEP_1) | instskip(NEXT) | instid1(VALU_DEP_1)
	v_dual_add_f32 v39, v39, v82 :: v_dual_add_f32 v36, v40, v36
	v_add_f32_e32 v39, v39, v43
	s_delay_alu instid0(VALU_DEP_1) | instskip(NEXT) | instid1(VALU_DEP_1)
	v_add_f32_e32 v39, v39, v81
	v_add_f32_e32 v39, v39, v45
	s_delay_alu instid0(VALU_DEP_1) | instskip(NEXT) | instid1(VALU_DEP_1)
	v_add_f32_e32 v39, v39, v57
	v_add_f32_e32 v39, v39, v58
	s_delay_alu instid0(VALU_DEP_1) | instskip(NEXT) | instid1(VALU_DEP_1)
	v_add_f32_e32 v39, v39, v61
	v_add_f32_e32 v39, v39, v86
	s_delay_alu instid0(VALU_DEP_1) | instskip(NEXT) | instid1(VALU_DEP_1)
	v_add_f32_e32 v39, v39, v79
	v_add_f32_e32 v39, v39, v42
	s_delay_alu instid0(VALU_DEP_1) | instskip(NEXT) | instid1(VALU_DEP_1)
	v_add_f32_e32 v20, v39, v62
	v_add_f32_e32 v20, v20, v65
	s_delay_alu instid0(VALU_DEP_1) | instskip(NEXT) | instid1(VALU_DEP_1)
	v_add_f32_e32 v20, v20, v66
	v_add_f32_e32 v20, v20, v69
	s_delay_alu instid0(VALU_DEP_1) | instskip(NEXT) | instid1(VALU_DEP_1)
	v_add_f32_e32 v20, v20, v70
	v_add_f32_e32 v37, v20, v75
	s_delay_alu instid0(VALU_DEP_1) | instskip(NEXT) | instid1(VALU_DEP_1)
	v_div_scale_f32 v20, null, v37, v37, 1.0
	v_rcp_f32_e32 v21, v20
	s_waitcnt_depctr 0xfff
	v_fma_f32 v39, -v20, v21, 1.0
	s_delay_alu instid0(VALU_DEP_1) | instskip(SKIP_1) | instid1(VALU_DEP_1)
	v_fmac_f32_e32 v21, v39, v21
	v_div_scale_f32 v39, vcc_lo, 1.0, v37, 1.0
	v_mul_f32_e32 v41, v39, v21
	s_delay_alu instid0(VALU_DEP_1) | instskip(NEXT) | instid1(VALU_DEP_1)
	v_fma_f32 v42, -v20, v41, v39
	v_fmac_f32_e32 v41, v42, v21
	s_delay_alu instid0(VALU_DEP_1) | instskip(NEXT) | instid1(VALU_DEP_1)
	v_fma_f32 v20, -v20, v41, v39
	v_div_fmas_f32 v39, v20, v21, v41
	v_add_co_u32 v4, vcc_lo, s0, v4
	v_add_co_ci_u32_e32 v5, vcc_lo, s1, v5, vcc_lo
	v_add_co_u32 v20, vcc_lo, s6, v32
	v_add_co_ci_u32_e32 v21, vcc_lo, s7, v33, vcc_lo
	;; [unrolled: 2-line block ×3, first 2 shown]
	s_clause 0x8
	global_load_b32 v2, v[2:3], off
	global_load_b32 v3, v[12:13], off
	;; [unrolled: 1-line block ×9, first 2 shown]
	s_clause 0x5
	global_load_b32 v19, v[67:68], off
	global_load_b32 v22, v[71:72], off
	;; [unrolled: 1-line block ×6, first 2 shown]
	s_waitcnt vmcnt(14)
	v_add_f32_e32 v2, v36, v2
	s_waitcnt vmcnt(13)
	s_delay_alu instid0(VALU_DEP_1) | instskip(SKIP_1) | instid1(VALU_DEP_1)
	v_add_f32_e32 v2, v2, v3
	s_waitcnt vmcnt(12)
	v_add_f32_e32 v2, v2, v12
	s_waitcnt vmcnt(11)
	s_delay_alu instid0(VALU_DEP_1) | instskip(SKIP_1) | instid1(VALU_DEP_1)
	v_add_f32_e32 v2, v2, v13
	s_waitcnt vmcnt(10)
	v_add_f32_e32 v2, v2, v14
	s_waitcnt vmcnt(9)
	s_delay_alu instid0(VALU_DEP_1) | instskip(NEXT) | instid1(VALU_DEP_1)
	v_add_f32_e32 v2, v2, v15
	v_add_f32_e32 v2, v2, v54
	s_clause 0x3
	global_load_b32 v3, v[6:7], off
	global_load_b32 v54, v[32:33], off
	;; [unrolled: 1-line block ×4, first 2 shown]
	v_div_fixup_f32 v6, v39, v37, 1.0
	s_waitcnt vmcnt(12)
	v_add_f32_e32 v2, v2, v16
	s_waitcnt vmcnt(11)
	s_delay_alu instid0(VALU_DEP_1) | instskip(SKIP_1) | instid1(VALU_DEP_1)
	v_add_f32_e32 v2, v2, v17
	s_waitcnt vmcnt(10)
	v_add_f32_e32 v2, v2, v18
	s_waitcnt vmcnt(9)
	s_delay_alu instid0(VALU_DEP_1) | instskip(SKIP_1) | instid1(VALU_DEP_1)
	v_add_f32_e32 v2, v2, v19
	;; [unrolled: 5-line block ×4, first 2 shown]
	s_waitcnt vmcnt(4)
	v_add_f32_e32 v2, v2, v41
	s_waitcnt vmcnt(3)
	s_delay_alu instid0(VALU_DEP_1) | instskip(NEXT) | instid1(VALU_DEP_1)
	v_add_f32_e32 v2, v2, v3
	v_mul_f32_e32 v2, v6, v2
	global_store_b32 v[4:5], v2, off
	v_mad_u64_u32 v[2:3], null, 0xffffff92, s2, v[0:1]
	v_dual_mov_b32 v3, v1 :: v_dual_mul_f32 v0, v6, v85
	s_delay_alu instid0(VALU_DEP_1) | instskip(NEXT) | instid1(VALU_DEP_1)
	v_lshlrev_b64 v[3:4], 2, v[2:3]
	v_add_co_u32 v3, vcc_lo, s0, v3
	s_delay_alu instid0(VALU_DEP_2) | instskip(SKIP_3) | instid1(VALU_DEP_2)
	v_add_co_ci_u32_e32 v4, vcc_lo, s1, v4, vcc_lo
	global_store_b32 v[3:4], v0, off
	v_add_nc_u32_e32 v0, s2, v2
	v_mul_f32_e32 v4, v6, v80
	v_lshlrev_b64 v[2:3], 2, v[0:1]
	v_add_nc_u32_e32 v0, s16, v0
	s_delay_alu instid0(VALU_DEP_2) | instskip(NEXT) | instid1(VALU_DEP_3)
	v_add_co_u32 v2, vcc_lo, s0, v2
	v_add_co_ci_u32_e32 v3, vcc_lo, s1, v3, vcc_lo
	global_store_b32 v[2:3], v4, off
	v_add_f32_e32 v4, v96, v93
	v_add_co_u32 v2, vcc_lo, s0, v46
	v_add_co_ci_u32_e32 v3, vcc_lo, s1, v47, vcc_lo
	s_delay_alu instid0(VALU_DEP_3) | instskip(SKIP_4) | instid1(VALU_DEP_3)
	v_mul_f32_e32 v4, v6, v4
	global_store_b32 v[2:3], v4, off
	v_lshlrev_b64 v[2:3], 2, v[0:1]
	v_mul_f32_e32 v4, v6, v38
	v_add_nc_u32_e32 v0, s14, v0
	v_add_co_u32 v2, vcc_lo, s0, v2
	s_delay_alu instid0(VALU_DEP_4)
	v_add_co_ci_u32_e32 v3, vcc_lo, s1, v3, vcc_lo
	global_store_b32 v[2:3], v4, off
	s_clause 0x1
	global_load_b32 v4, v[20:21], off
	global_load_b32 v5, v[32:33], off
	v_lshlrev_b64 v[2:3], 2, v[0:1]
	s_delay_alu instid0(VALU_DEP_1) | instskip(NEXT) | instid1(VALU_DEP_2)
	v_add_co_u32 v2, vcc_lo, s0, v2
	v_add_co_ci_u32_e32 v3, vcc_lo, s1, v3, vcc_lo
	s_waitcnt vmcnt(0)
	v_add_f32_e32 v4, v4, v5
	s_delay_alu instid0(VALU_DEP_1)
	v_mul_f32_e32 v4, v6, v4
	v_mad_u64_u32 v[6:7], null, 0x54, s2, v[0:1]
	v_mov_b32_e32 v7, v1
	global_store_b32 v[2:3], v4, off
	v_add_nc_u32_e32 v0, s2, v6
	v_lshlrev_b64 v[6:7], 2, v[6:7]
	s_delay_alu instid0(VALU_DEP_2) | instskip(SKIP_1) | instid1(VALU_DEP_1)
	v_lshlrev_b64 v[12:13], 2, v[0:1]
	v_add_nc_u32_e32 v0, s2, v0
	v_lshlrev_b64 v[14:15], 2, v[0:1]
	v_add_nc_u32_e32 v0, s2, v0
	s_delay_alu instid0(VALU_DEP_1) | instskip(SKIP_1) | instid1(VALU_DEP_1)
	v_lshlrev_b64 v[16:17], 2, v[0:1]
	v_add_nc_u32_e32 v0, s2, v0
	v_lshlrev_b64 v[18:19], 2, v[0:1]
	v_add_nc_u32_e32 v0, s2, v0
	s_delay_alu instid0(VALU_DEP_1) | instskip(SKIP_1) | instid1(VALU_DEP_1)
	;; [unrolled: 5-line block ×3, first 2 shown]
	v_lshlrev_b64 v[32:33], 2, v[0:1]
	v_add_nc_u32_e32 v0, s2, v0
	v_mad_u64_u32 v[4:5], null, 0xffffffac, s2, v[0:1]
	v_mov_b32_e32 v5, v1
	v_lshlrev_b64 v[34:35], 2, v[0:1]
	s_delay_alu instid0(VALU_DEP_2) | instskip(SKIP_2) | instid1(VALU_DEP_2)
	v_mad_u64_u32 v[36:37], null, s2, 62, v[4:5]
	v_lshlrev_b64 v[2:3], 2, v[4:5]
	v_mov_b32_e32 v37, v1
	v_add_co_u32 v44, vcc_lo, s6, v2
	s_delay_alu instid0(VALU_DEP_2) | instskip(NEXT) | instid1(VALU_DEP_4)
	v_lshlrev_b64 v[4:5], 2, v[36:37]
	v_add_co_ci_u32_e32 v45, vcc_lo, s7, v3, vcc_lo
	v_add_co_u32 v2, vcc_lo, s4, v2
	v_add_co_ci_u32_e32 v3, vcc_lo, s5, v3, vcc_lo
	s_delay_alu instid0(VALU_DEP_4)
	v_add_co_u32 v46, vcc_lo, s6, v4
	v_add_co_ci_u32_e32 v47, vcc_lo, s7, v5, vcc_lo
	v_add_co_u32 v4, vcc_lo, s4, v4
	v_add_co_ci_u32_e32 v5, vcc_lo, s5, v5, vcc_lo
	;; [unrolled: 2-line block ×19, first 2 shown]
	s_clause 0x8
	global_load_b32 v57, v[57:58], off
	global_load_b32 v58, v[59:60], off
	;; [unrolled: 1-line block ×9, first 2 shown]
	v_mad_u64_u32 v[37:38], null, s2, 24, v[36:37]
	v_mov_b32_e32 v38, v1
	v_add_co_u32 v34, vcc_lo, s6, v34
	v_add_co_ci_u32_e32 v35, vcc_lo, s7, v35, vcc_lo
	s_delay_alu instid0(VALU_DEP_4) | instskip(NEXT) | instid1(VALU_DEP_4)
	v_add_nc_u32_e32 v0, s2, v37
	v_lshlrev_b64 v[36:37], 2, v[37:38]
	s_delay_alu instid0(VALU_DEP_2) | instskip(SKIP_1) | instid1(VALU_DEP_3)
	v_lshlrev_b64 v[38:39], 2, v[0:1]
	v_add_nc_u32_e32 v0, s2, v0
	v_add_co_u32 v81, vcc_lo, s6, v36
	s_delay_alu instid0(VALU_DEP_4)
	v_add_co_ci_u32_e32 v82, vcc_lo, s7, v37, vcc_lo
	v_add_co_u32 v36, vcc_lo, s4, v36
	v_add_co_ci_u32_e32 v37, vcc_lo, s5, v37, vcc_lo
	v_add_co_u32 v83, vcc_lo, s6, v38
	v_lshlrev_b64 v[40:41], 2, v[0:1]
	v_add_nc_u32_e32 v0, s13, v0
	v_add_co_ci_u32_e32 v84, vcc_lo, s7, v39, vcc_lo
	v_add_co_u32 v38, vcc_lo, s4, v38
	v_add_co_ci_u32_e32 v39, vcc_lo, s5, v39, vcc_lo
	v_add_co_u32 v85, vcc_lo, s6, v40
	v_lshlrev_b64 v[42:43], 2, v[0:1]
	v_add_co_ci_u32_e32 v86, vcc_lo, s7, v41, vcc_lo
	v_add_co_u32 v40, vcc_lo, s4, v40
	v_add_co_ci_u32_e32 v41, vcc_lo, s5, v41, vcc_lo
	s_delay_alu instid0(VALU_DEP_4)
	v_add_co_u32 v87, vcc_lo, s6, v42
	v_add_co_ci_u32_e32 v88, vcc_lo, s7, v43, vcc_lo
	v_add_nc_u32_e32 v0, s8, v0
	v_add_co_u32 v42, vcc_lo, s4, v42
	v_add_co_ci_u32_e32 v43, vcc_lo, s5, v43, vcc_lo
	s_waitcnt vmcnt(7)
	v_add_f32_e32 v57, v57, v58
	s_waitcnt vmcnt(6)
	s_delay_alu instid0(VALU_DEP_1) | instskip(SKIP_4) | instid1(VALU_DEP_1)
	v_add_f32_e32 v57, v57, v59
	global_load_b32 v59, v[81:82], off
	s_waitcnt vmcnt(6)
	v_add_f32_e32 v57, v57, v60
	s_waitcnt vmcnt(5)
	v_add_f32_e32 v58, v57, v61
	global_load_b32 v57, v[44:45], off
	s_waitcnt vmcnt(5)
	v_add_f32_e32 v44, v58, v62
	s_clause 0x3
	global_load_b32 v58, v[46:47], off
	global_load_b32 v61, v[83:84], off
	;; [unrolled: 1-line block ×4, first 2 shown]
	s_waitcnt vmcnt(8)
	v_add_f32_e32 v44, v44, v63
	s_waitcnt vmcnt(7)
	s_delay_alu instid0(VALU_DEP_1) | instskip(SKIP_1) | instid1(VALU_DEP_1)
	v_add_f32_e32 v44, v44, v64
	s_waitcnt vmcnt(6)
	v_add_f32_e32 v63, v44, v65
	v_lshlrev_b64 v[44:45], 2, v[0:1]
	v_add_nc_u32_e32 v0, s13, v0
	s_delay_alu instid0(VALU_DEP_2) | instskip(NEXT) | instid1(VALU_DEP_3)
	v_add_co_u32 v46, vcc_lo, s6, v44
	v_add_co_ci_u32_e32 v47, vcc_lo, s7, v45, vcc_lo
	s_clause 0x1
	global_load_b32 v64, v[46:47], off
	global_load_b32 v65, v[46:47], off
	s_waitcnt vmcnt(6)
	v_add_f32_e32 v46, v63, v57
	s_waitcnt vmcnt(5)
	s_delay_alu instid0(VALU_DEP_1) | instskip(SKIP_2) | instid1(VALU_DEP_3)
	v_add_f32_e32 v46, v46, v58
	v_lshlrev_b64 v[57:58], 2, v[0:1]
	v_add_nc_u32_e32 v0, s14, v0
	v_add_f32_e32 v46, v46, v51
	s_delay_alu instid0(VALU_DEP_1) | instskip(SKIP_1) | instid1(VALU_DEP_1)
	v_add_f32_e32 v46, v46, v59
	s_waitcnt vmcnt(4)
	v_add_f32_e32 v46, v46, v61
	s_waitcnt vmcnt(3)
	s_delay_alu instid0(VALU_DEP_1) | instskip(NEXT) | instid1(VALU_DEP_1)
	v_add_f32_e32 v46, v46, v62
	v_add_f32_e32 v46, v46, v77
	s_waitcnt vmcnt(2)
	s_delay_alu instid0(VALU_DEP_1) | instskip(SKIP_3) | instid1(VALU_DEP_3)
	v_add_f32_e32 v46, v46, v60
	v_lshlrev_b64 v[59:60], 2, v[0:1]
	v_add_nc_u32_e32 v0, s3, v0
	s_waitcnt vmcnt(1)
	v_add_f32_e32 v51, v46, v64
	s_delay_alu instid0(VALU_DEP_3) | instskip(NEXT) | instid1(VALU_DEP_4)
	v_add_co_u32 v46, vcc_lo, s6, v59
	v_add_co_ci_u32_e32 v47, vcc_lo, s7, v60, vcc_lo
	v_add_co_u32 v61, vcc_lo, s6, v57
	v_add_co_ci_u32_e32 v62, vcc_lo, s7, v58, vcc_lo
	s_clause 0x3
	global_load_b32 v63, v[46:47], off
	global_load_b32 v46, v[46:47], off
	global_load_b32 v47, v[61:62], off
	global_load_b32 v61, v[61:62], off
	s_clause 0x1
	global_load_b32 v2, v[2:3], off
	global_load_b32 v3, v[4:5], off
	s_clause 0x8
	global_load_b32 v4, v[6:7], off
	global_load_b32 v5, v[12:13], off
	;; [unrolled: 1-line block ×9, first 2 shown]
	s_clause 0x2
	global_load_b32 v17, v[36:37], off
	global_load_b32 v18, v[38:39], off
	;; [unrolled: 1-line block ×3, first 2 shown]
	s_waitcnt vmcnt(12)
	v_add_f32_e32 v2, v2, v3
	global_load_b32 v3, v[42:43], off
	s_waitcnt vmcnt(12)
	v_add_f32_e32 v2, v2, v4
	s_waitcnt vmcnt(11)
	s_delay_alu instid0(VALU_DEP_1) | instskip(SKIP_1) | instid1(VALU_DEP_1)
	v_dual_add_f32 v2, v2, v5 :: v_dual_add_f32 v47, v51, v47
	s_waitcnt vmcnt(10)
	v_dual_add_f32 v2, v2, v6 :: v_dual_add_f32 v47, v47, v63
	s_waitcnt vmcnt(9)
	s_delay_alu instid0(VALU_DEP_1) | instskip(NEXT) | instid1(VALU_DEP_2)
	v_add_f32_e32 v2, v2, v7
	v_div_scale_f32 v51, null, v47, v47, 1.0
	s_waitcnt vmcnt(8)
	s_delay_alu instid0(VALU_DEP_2) | instskip(NEXT) | instid1(VALU_DEP_2)
	v_add_f32_e32 v2, v2, v12
	v_rcp_f32_e32 v62, v51
	s_waitcnt vmcnt(7)
	s_delay_alu instid0(VALU_DEP_1) | instskip(SKIP_1) | instid1(VALU_DEP_1)
	v_add_f32_e32 v2, v2, v13
	s_waitcnt vmcnt(6)
	v_add_f32_e32 v2, v2, v14
	s_waitcnt_depctr 0xfff
	v_fma_f32 v63, -v51, v62, 1.0
	s_waitcnt vmcnt(5)
	v_add_f32_e32 v2, v2, v15
	s_delay_alu instid0(VALU_DEP_2) | instskip(SKIP_2) | instid1(VALU_DEP_3)
	v_fmac_f32_e32 v62, v63, v62
	v_div_scale_f32 v63, vcc_lo, 1.0, v47, 1.0
	s_waitcnt vmcnt(4)
	v_add_f32_e32 v2, v2, v16
	s_delay_alu instid0(VALU_DEP_2) | instskip(NEXT) | instid1(VALU_DEP_2)
	v_mul_f32_e32 v64, v63, v62
	v_add_f32_e32 v2, v2, v50
	s_delay_alu instid0(VALU_DEP_2) | instskip(SKIP_1) | instid1(VALU_DEP_2)
	v_fma_f32 v66, -v51, v64, v63
	s_waitcnt vmcnt(3)
	v_add_f32_e32 v2, v2, v17
	s_delay_alu instid0(VALU_DEP_2) | instskip(SKIP_1) | instid1(VALU_DEP_2)
	v_fmac_f32_e32 v64, v66, v62
	s_waitcnt vmcnt(2)
	v_add_f32_e32 v2, v2, v18
	s_delay_alu instid0(VALU_DEP_2) | instskip(SKIP_1) | instid1(VALU_DEP_2)
	v_fma_f32 v51, -v51, v64, v63
	s_waitcnt vmcnt(1)
	v_add_f32_e32 v2, v2, v19
	s_delay_alu instid0(VALU_DEP_2) | instskip(SKIP_2) | instid1(VALU_DEP_3)
	v_div_fmas_f32 v51, v51, v62, v64
	v_add_co_u32 v8, vcc_lo, s0, v8
	v_add_co_ci_u32_e32 v9, vcc_lo, s1, v9, vcc_lo
	v_div_fixup_f32 v7, v51, v47, 1.0
	v_add_co_u32 v44, vcc_lo, s4, v44
	v_add_co_ci_u32_e32 v45, vcc_lo, s5, v45, vcc_lo
	v_add_co_u32 v57, vcc_lo, s4, v57
	v_add_co_ci_u32_e32 v58, vcc_lo, s5, v58, vcc_lo
	s_clause 0x2
	global_load_b32 v62, v[44:45], off
	global_load_b32 v6, v[57:58], off
	;; [unrolled: 1-line block ×3, first 2 shown]
	v_mul_f32_e32 v4, v7, v76
	s_waitcnt vmcnt(3)
	v_add_f32_e32 v2, v2, v3
	s_delay_alu instid0(VALU_DEP_1) | instskip(NEXT) | instid1(VALU_DEP_1)
	v_add_f32_e32 v2, v2, v49
	v_add_f32_e32 v2, v2, v56
	s_delay_alu instid0(VALU_DEP_1)
	v_mul_f32_e32 v2, v7, v2
	global_store_b32 v[8:9], v2, off
	v_add_co_u32 v2, vcc_lo, s0, v26
	v_add_co_ci_u32_e32 v3, vcc_lo, s1, v27, vcc_lo
	global_store_b32 v[2:3], v4, off
	v_add_co_u32 v2, vcc_lo, s0, v30
	v_add_co_ci_u32_e32 v3, vcc_lo, s1, v31, vcc_lo
	v_mul_f32_e32 v4, v7, v78
	global_store_b32 v[2:3], v4, off
	v_add_co_u32 v2, vcc_lo, s4, v59
	v_add_co_ci_u32_e32 v3, vcc_lo, s5, v60, vcc_lo
	v_add_co_u32 v4, vcc_lo, s0, v28
	v_add_co_ci_u32_e32 v5, vcc_lo, s1, v29, vcc_lo
	global_load_b32 v8, v[2:3], off
	s_waitcnt vmcnt(2)
	v_add_f32_e32 v6, v62, v6
	s_waitcnt vmcnt(0)
	s_delay_alu instid0(VALU_DEP_1) | instskip(NEXT) | instid1(VALU_DEP_1)
	v_add_f32_e32 v6, v6, v8
	v_mul_f32_e32 v6, v7, v6
	global_store_b32 v[4:5], v6, off
	v_lshlrev_b64 v[4:5], 2, v[0:1]
	v_add_nc_u32_e32 v0, s2, v0
	s_delay_alu instid0(VALU_DEP_1) | instskip(SKIP_1) | instid1(VALU_DEP_1)
	v_lshlrev_b64 v[6:7], 2, v[0:1]
	v_add_nc_u32_e32 v0, s13, v0
	v_lshlrev_b64 v[8:9], 2, v[0:1]
	v_add_nc_u32_e32 v0, s2, v0
	s_delay_alu instid0(VALU_DEP_1) | instskip(SKIP_1) | instid1(VALU_DEP_1)
	v_lshlrev_b64 v[12:13], 2, v[0:1]
	v_add_nc_u32_e32 v0, s2, v0
	;; [unrolled: 5-line block ×3, first 2 shown]
	v_mad_u64_u32 v[18:19], null, 0xffffffe4, s2, v[0:1]
	v_mov_b32_e32 v19, v1
	v_lshlrev_b64 v[38:39], 2, v[0:1]
	s_delay_alu instid0(VALU_DEP_2) | instskip(NEXT) | instid1(VALU_DEP_1)
	v_lshlrev_b64 v[19:20], 2, v[18:19]
	v_add_co_u32 v21, vcc_lo, s6, v19
	s_delay_alu instid0(VALU_DEP_2)
	v_add_co_ci_u32_e32 v22, vcc_lo, s7, v20, vcc_lo
	v_add_co_u32 v19, vcc_lo, s4, v19
	v_add_co_ci_u32_e32 v20, vcc_lo, s5, v20, vcc_lo
	v_add_co_u32 v26, vcc_lo, s4, v4
	;; [unrolled: 2-line block ×14, first 2 shown]
	v_add_co_ci_u32_e32 v41, vcc_lo, s5, v39, vcc_lo
	s_clause 0x6
	global_load_b32 v0, v[26:27], off
	global_load_b32 v4, v[4:5], off
	;; [unrolled: 1-line block ×9, first 2 shown]
	v_add_co_u32 v38, vcc_lo, s6, v38
	v_add_co_ci_u32_e32 v39, vcc_lo, s7, v39, vcc_lo
	s_waitcnt vmcnt(7)
	v_add_f32_e32 v0, v0, v4
	s_delay_alu instid0(VALU_DEP_1) | instskip(SKIP_1) | instid1(VALU_DEP_1)
	v_add_f32_e32 v0, v0, v48
	s_waitcnt vmcnt(6)
	v_add_f32_e32 v0, v0, v5
	s_waitcnt vmcnt(5)
	s_delay_alu instid0(VALU_DEP_1) | instskip(SKIP_1) | instid1(VALU_DEP_1)
	v_add_f32_e32 v0, v0, v23
	s_waitcnt vmcnt(4)
	v_add_f32_e32 v0, v0, v26
	s_waitcnt vmcnt(3)
	;; [unrolled: 5-line block ×3, first 2 shown]
	s_delay_alu instid0(VALU_DEP_1) | instskip(NEXT) | instid1(VALU_DEP_1)
	v_add_f32_e32 v0, v0, v21
	v_add_f32_e32 v0, v0, v55
	s_delay_alu instid0(VALU_DEP_1) | instskip(NEXT) | instid1(VALU_DEP_1)
	v_add_f32_e32 v54, v0, v54
	v_div_scale_f32 v0, null, v54, v54, 1.0
	s_delay_alu instid0(VALU_DEP_1) | instskip(SKIP_2) | instid1(VALU_DEP_1)
	v_rcp_f32_e32 v2, v0
	s_waitcnt_depctr 0xfff
	v_fma_f32 v3, -v0, v2, 1.0
	v_fmac_f32_e32 v2, v3, v2
	v_div_scale_f32 v3, vcc_lo, 1.0, v54, 1.0
	s_delay_alu instid0(VALU_DEP_1) | instskip(NEXT) | instid1(VALU_DEP_1)
	v_mul_f32_e32 v4, v3, v2
	v_fma_f32 v5, -v0, v4, v3
	s_delay_alu instid0(VALU_DEP_1) | instskip(NEXT) | instid1(VALU_DEP_1)
	v_fmac_f32_e32 v4, v5, v2
	v_fma_f32 v0, -v0, v4, v3
	s_delay_alu instid0(VALU_DEP_1) | instskip(SKIP_4) | instid1(VALU_DEP_1)
	v_div_fmas_f32 v55, v0, v2, v4
	v_add_co_u32 v2, vcc_lo, s0, v10
	v_add_co_ci_u32_e32 v3, vcc_lo, s1, v11, vcc_lo
	v_mad_u64_u32 v[10:11], null, 0xffffffe9, s2, v[18:19]
	v_mov_b32_e32 v11, v1
	v_mad_u64_u32 v[21:22], null, 0x61, s2, v[10:11]
	v_lshlrev_b64 v[4:5], 2, v[10:11]
	s_delay_alu instid0(VALU_DEP_2) | instskip(NEXT) | instid1(VALU_DEP_2)
	v_add_nc_u32_e32 v0, s13, v21
	v_add_co_u32 v4, vcc_lo, s0, v4
	s_delay_alu instid0(VALU_DEP_3) | instskip(NEXT) | instid1(VALU_DEP_3)
	v_add_co_ci_u32_e32 v5, vcc_lo, s1, v5, vcc_lo
	v_lshlrev_b64 v[10:11], 2, v[0:1]
	v_add_nc_u32_e32 v0, s2, v0
	s_delay_alu instid0(VALU_DEP_1) | instskip(SKIP_1) | instid1(VALU_DEP_1)
	v_lshlrev_b64 v[26:27], 2, v[0:1]
	v_add_nc_u32_e32 v0, s13, v0
	v_mad_u64_u32 v[22:23], null, 0xffffffdc, s2, v[0:1]
	v_mov_b32_e32 v23, v1
	v_lshlrev_b64 v[30:31], 2, v[0:1]
	s_delay_alu instid0(VALU_DEP_3) | instskip(NEXT) | instid1(VALU_DEP_3)
	v_add_nc_u32_e32 v0, s10, v22
	v_lshlrev_b64 v[22:23], 2, v[22:23]
	s_delay_alu instid0(VALU_DEP_1) | instskip(NEXT) | instid1(VALU_DEP_2)
	v_add_co_u32 v32, vcc_lo, s6, v22
	v_add_co_ci_u32_e32 v33, vcc_lo, s7, v23, vcc_lo
	v_add_co_u32 v34, vcc_lo, s4, v22
	v_add_co_ci_u32_e32 v35, vcc_lo, s5, v23, vcc_lo
	v_lshlrev_b64 v[22:23], 2, v[0:1]
	s_delay_alu instid0(VALU_DEP_1) | instskip(NEXT) | instid1(VALU_DEP_2)
	v_add_co_u32 v36, vcc_lo, s6, v22
	v_add_co_ci_u32_e32 v37, vcc_lo, s7, v23, vcc_lo
	v_add_co_u32 v40, vcc_lo, s4, v22
	v_mov_b32_e32 v22, v1
	v_add_co_ci_u32_e32 v41, vcc_lo, s5, v23, vcc_lo
	s_delay_alu instid0(VALU_DEP_2) | instskip(NEXT) | instid1(VALU_DEP_1)
	v_lshlrev_b64 v[21:22], 2, v[21:22]
	v_add_co_u32 v42, vcc_lo, s4, v21
	s_delay_alu instid0(VALU_DEP_2)
	v_add_co_ci_u32_e32 v43, vcc_lo, s5, v22, vcc_lo
	v_add_co_u32 v21, vcc_lo, s6, v21
	v_add_co_ci_u32_e32 v22, vcc_lo, s7, v22, vcc_lo
	v_add_co_u32 v44, vcc_lo, s4, v10
	;; [unrolled: 2-line block ×7, first 2 shown]
	v_add_co_ci_u32_e32 v31, vcc_lo, s7, v31, vcc_lo
	s_clause 0x1
	global_load_b32 v18, v[42:43], off
	global_load_b32 v19, v[19:20], off
	;; [unrolled: 1-line block ×6, first 2 shown]
	s_clause 0x1
	global_load_b32 v8, v[8:9], off
	global_load_b32 v9, v[12:13], off
	;; [unrolled: 1-line block ×3, first 2 shown]
	s_clause 0x2
	global_load_b32 v13, v[14:15], off
	global_load_b32 v14, v[32:33], off
	;; [unrolled: 1-line block ×3, first 2 shown]
	s_clause 0x1
	global_load_b32 v16, v[34:35], off
	global_load_b32 v17, v[40:41], off
	s_clause 0x5
	global_load_b32 v28, v[36:37], off
	global_load_b32 v29, v[38:39], off
	;; [unrolled: 1-line block ×6, first 2 shown]
	s_waitcnt vmcnt(17)
	v_dual_add_f32 v18, v62, v18 :: v_dual_add_f32 v19, v19, v20
	s_delay_alu instid0(VALU_DEP_1) | instskip(SKIP_1) | instid1(VALU_DEP_2)
	v_add_f32_e32 v18, v18, v57
	s_waitcnt vmcnt(15)
	v_add_f32_e32 v6, v19, v6
	s_delay_alu instid0(VALU_DEP_2) | instskip(SKIP_1) | instid1(VALU_DEP_2)
	v_add_f32_e32 v18, v18, v23
	s_waitcnt vmcnt(13)
	v_add_f32_e32 v6, v6, v8
	s_waitcnt vmcnt(6)
	v_add_f32_e32 v8, v16, v17
	v_dual_add_f32 v16, v53, v52 :: v_dual_add_f32 v7, v18, v7
	s_delay_alu instid0(VALU_DEP_1) | instskip(NEXT) | instid1(VALU_DEP_1)
	v_dual_add_f32 v6, v6, v9 :: v_dual_add_f32 v7, v7, v51
	v_dual_add_f32 v6, v6, v13 :: v_dual_add_f32 v7, v7, v12
	s_delay_alu instid0(VALU_DEP_1) | instskip(SKIP_1) | instid1(VALU_DEP_1)
	v_dual_add_f32 v6, v6, v15 :: v_dual_add_f32 v7, v7, v14
	s_waitcnt vmcnt(4)
	v_add_f32_e32 v6, v6, v29
	s_waitcnt vmcnt(3)
	s_delay_alu instid0(VALU_DEP_2) | instskip(NEXT) | instid1(VALU_DEP_1)
	v_dual_add_f32 v12, v7, v28 :: v_dual_add_f32 v7, v8, v21
	v_div_scale_f32 v8, null, v12, v12, 1.0
	s_waitcnt vmcnt(2)
	s_delay_alu instid0(VALU_DEP_2) | instskip(NEXT) | instid1(VALU_DEP_2)
	v_add_f32_e32 v10, v7, v10
	v_rcp_f32_e32 v9, v8
	s_waitcnt vmcnt(1)
	s_delay_alu instid0(VALU_DEP_1) | instskip(SKIP_2) | instid1(VALU_DEP_1)
	v_add_f32_e32 v11, v10, v11
	s_waitcnt_depctr 0xfff
	v_fma_f32 v13, -v8, v9, 1.0
	v_fmac_f32_e32 v9, v13, v9
	v_div_scale_f32 v13, vcc_lo, 1.0, v12, 1.0
	s_delay_alu instid0(VALU_DEP_1) | instskip(NEXT) | instid1(VALU_DEP_1)
	v_mul_f32_e32 v14, v13, v9
	v_fma_f32 v15, -v8, v14, v13
	s_delay_alu instid0(VALU_DEP_1) | instskip(SKIP_1) | instid1(VALU_DEP_2)
	v_fmac_f32_e32 v14, v15, v9
	v_div_fixup_f32 v15, v55, v54, 1.0
	v_fma_f32 v13, -v8, v14, v13
	s_delay_alu instid0(VALU_DEP_2)
	v_mul_f32_e32 v8, v15, v16
	v_add_f32_e32 v16, v65, v61
	v_mul_f32_e32 v6, v15, v6
	v_mul_f32_e32 v7, v15, v74
	v_div_fmas_f32 v13, v13, v9, v14
	v_mad_u64_u32 v[9:10], null, 0xffffffb0, s2, v[0:1]
	v_mov_b32_e32 v10, v1
	s_waitcnt vmcnt(0)
	v_add_f32_e32 v14, v11, v22
	v_div_fixup_f32 v15, v13, v12, 1.0
	v_add_co_u32 v12, vcc_lo, s0, v24
	v_add_co_ci_u32_e32 v13, vcc_lo, s1, v25, vcc_lo
	v_add_nc_u32_e32 v0, s12, v9
	v_lshlrev_b64 v[10:11], 2, v[9:10]
	v_add_f32_e32 v16, v16, v46
	v_mul_f32_e32 v14, v15, v14
	s_delay_alu instid0(VALU_DEP_4) | instskip(NEXT) | instid1(VALU_DEP_4)
	v_lshlrev_b64 v[0:1], 2, v[0:1]
	v_add_co_u32 v9, vcc_lo, s0, v10
	v_add_co_ci_u32_e32 v10, vcc_lo, s1, v11, vcc_lo
	s_delay_alu instid0(VALU_DEP_3)
	v_add_co_u32 v0, vcc_lo, s0, v0
	v_mul_f32_e32 v11, v15, v16
	v_add_co_ci_u32_e32 v1, vcc_lo, s1, v1, vcc_lo
	s_clause 0x4
	global_store_b32 v[2:3], v6, off
	global_store_b32 v[4:5], v7, off
	;; [unrolled: 1-line block ×5, first 2 shown]
	s_nop 0
	s_sendmsg sendmsg(MSG_DEALLOC_VGPRS)
	s_endpgm
	.section	.rodata,"a",@progbits
	.p2align	6, 0x0
	.amdhsa_kernel _Z11qssa_kernelIfEvPT_S1_S1_
		.amdhsa_group_segment_fixed_size 0
		.amdhsa_private_segment_fixed_size 0
		.amdhsa_kernarg_size 280
		.amdhsa_user_sgpr_count 15
		.amdhsa_user_sgpr_dispatch_ptr 0
		.amdhsa_user_sgpr_queue_ptr 0
		.amdhsa_user_sgpr_kernarg_segment_ptr 1
		.amdhsa_user_sgpr_dispatch_id 0
		.amdhsa_user_sgpr_private_segment_size 0
		.amdhsa_wavefront_size32 1
		.amdhsa_uses_dynamic_stack 0
		.amdhsa_enable_private_segment 0
		.amdhsa_system_sgpr_workgroup_id_x 1
		.amdhsa_system_sgpr_workgroup_id_y 0
		.amdhsa_system_sgpr_workgroup_id_z 0
		.amdhsa_system_sgpr_workgroup_info 0
		.amdhsa_system_vgpr_workitem_id 0
		.amdhsa_next_free_vgpr 135
		.amdhsa_next_free_sgpr 19
		.amdhsa_reserve_vcc 1
		.amdhsa_float_round_mode_32 0
		.amdhsa_float_round_mode_16_64 0
		.amdhsa_float_denorm_mode_32 3
		.amdhsa_float_denorm_mode_16_64 3
		.amdhsa_dx10_clamp 1
		.amdhsa_ieee_mode 1
		.amdhsa_fp16_overflow 0
		.amdhsa_workgroup_processor_mode 1
		.amdhsa_memory_ordered 1
		.amdhsa_forward_progress 0
		.amdhsa_shared_vgpr_count 0
		.amdhsa_exception_fp_ieee_invalid_op 0
		.amdhsa_exception_fp_denorm_src 0
		.amdhsa_exception_fp_ieee_div_zero 0
		.amdhsa_exception_fp_ieee_overflow 0
		.amdhsa_exception_fp_ieee_underflow 0
		.amdhsa_exception_fp_ieee_inexact 0
		.amdhsa_exception_int_div_zero 0
	.end_amdhsa_kernel
	.section	.text._Z11qssa_kernelIfEvPT_S1_S1_,"axG",@progbits,_Z11qssa_kernelIfEvPT_S1_S1_,comdat
.Lfunc_end16:
	.size	_Z11qssa_kernelIfEvPT_S1_S1_, .Lfunc_end16-_Z11qssa_kernelIfEvPT_S1_S1_
                                        ; -- End function
	.section	.AMDGPU.csdata,"",@progbits
; Kernel info:
; codeLenInByte = 13852
; NumSgprs: 21
; NumVgprs: 135
; ScratchSize: 0
; MemoryBound: 0
; FloatMode: 240
; IeeeMode: 1
; LDSByteSize: 0 bytes/workgroup (compile time only)
; SGPRBlocks: 2
; VGPRBlocks: 16
; NumSGPRsForWavesPerEU: 21
; NumVGPRsForWavesPerEU: 135
; Occupancy: 10
; WaveLimiterHint : 0
; COMPUTE_PGM_RSRC2:SCRATCH_EN: 0
; COMPUTE_PGM_RSRC2:USER_SGPR: 15
; COMPUTE_PGM_RSRC2:TRAP_HANDLER: 0
; COMPUTE_PGM_RSRC2:TGID_X_EN: 1
; COMPUTE_PGM_RSRC2:TGID_Y_EN: 0
; COMPUTE_PGM_RSRC2:TGID_Z_EN: 0
; COMPUTE_PGM_RSRC2:TIDIG_COMP_CNT: 0
	.section	.text._Z12qssab_kernelIfEvPT_S1_S1_,"axG",@progbits,_Z12qssab_kernelIfEvPT_S1_S1_,comdat
	.protected	_Z12qssab_kernelIfEvPT_S1_S1_ ; -- Begin function _Z12qssab_kernelIfEvPT_S1_S1_
	.globl	_Z12qssab_kernelIfEvPT_S1_S1_
	.p2align	8
	.type	_Z12qssab_kernelIfEvPT_S1_S1_,@function
_Z12qssab_kernelIfEvPT_S1_S1_:          ; @_Z12qssab_kernelIfEvPT_S1_S1_
; %bb.0:
	s_clause 0x2
	s_load_b32 s2, s[0:1], 0x24
	s_load_b32 s3, s[0:1], 0x18
	s_load_b64 s[0:1], s[0:1], 0x10
	v_mov_b32_e32 v13, 0
	s_waitcnt lgkmcnt(0)
	s_and_b32 s4, s2, 0xffff
	s_delay_alu instid0(SALU_CYCLE_1)
	s_mul_i32 s2, s3, s4
	s_mul_i32 s15, s15, s4
	;; [unrolled: 1-line block ×4, first 2 shown]
	v_add3_u32 v12, s3, s15, v0
	s_mul_i32 s8, s2, 5
	s_mul_i32 s4, s2, 3
	s_lshl_b32 s3, s2, 1
	s_mul_i32 s9, s2, 7
	v_mad_u64_u32 v[0:1], null, s2, 10, v[12:13]
	v_mov_b32_e32 v1, v13
	v_lshlrev_b64 v[2:3], 2, v[12:13]
	s_mul_i32 s6, s2, 9
	s_mul_i32 s7, s2, -3
	s_delay_alu instid0(VALU_DEP_2) | instskip(SKIP_4) | instid1(VALU_DEP_4)
	v_mad_u64_u32 v[4:5], null, s2, 12, v[0:1]
	v_mov_b32_e32 v5, v13
	v_lshlrev_b64 v[0:1], 2, v[0:1]
	v_add_co_u32 v20, vcc_lo, s0, v2
	v_add_co_ci_u32_e32 v21, vcc_lo, s1, v3, vcc_lo
	v_lshlrev_b64 v[2:3], 2, v[4:5]
	s_delay_alu instid0(VALU_DEP_4) | instskip(SKIP_2) | instid1(VALU_DEP_4)
	v_add_co_u32 v0, vcc_lo, s0, v0
	v_add_co_ci_u32_e32 v1, vcc_lo, s1, v1, vcc_lo
	v_lshl_add_u32 v12, s2, 3, v4
	v_add_co_u32 v2, vcc_lo, s0, v2
	v_add_co_ci_u32_e32 v3, vcc_lo, s1, v3, vcc_lo
	s_clause 0x2
	global_load_b32 v5, v[20:21], off
	global_load_b32 v6, v[0:1], off
	global_load_b32 v7, v[2:3], off
	v_lshlrev_b64 v[2:3], 2, v[12:13]
	s_delay_alu instid0(VALU_DEP_1) | instskip(NEXT) | instid1(VALU_DEP_2)
	v_add_co_u32 v2, vcc_lo, s0, v2
	v_add_co_ci_u32_e32 v3, vcc_lo, s1, v3, vcc_lo
	s_waitcnt vmcnt(0)
	v_fmac_f32_e32 v5, v6, v7
	global_store_b32 v[20:21], v5, off
	s_clause 0x1
	global_load_b32 v0, v[0:1], off
	global_load_b32 v1, v[2:3], off
	s_waitcnt vmcnt(0)
	v_fma_f32 v2, -v0, v1, 1.0
	s_delay_alu instid0(VALU_DEP_1) | instskip(SKIP_1) | instid1(VALU_DEP_2)
	v_div_scale_f32 v0, null, v2, v2, 1.0
	v_div_scale_f32 v4, vcc_lo, 1.0, v2, 1.0
	v_rcp_f32_e32 v3, v0
	s_waitcnt_depctr 0xfff
	v_fma_f32 v1, -v0, v3, 1.0
	s_delay_alu instid0(VALU_DEP_1) | instskip(NEXT) | instid1(VALU_DEP_1)
	v_fmac_f32_e32 v3, v1, v3
	v_mul_f32_e32 v6, v4, v3
	s_delay_alu instid0(VALU_DEP_1) | instskip(NEXT) | instid1(VALU_DEP_1)
	v_fma_f32 v1, -v0, v6, v4
	v_fmac_f32_e32 v6, v1, v3
	s_delay_alu instid0(VALU_DEP_1) | instskip(SKIP_2) | instid1(VALU_DEP_3)
	v_fma_f32 v4, -v0, v6, v4
	v_mad_u64_u32 v[0:1], null, 0xffffffe6, s2, v[12:13]
	v_mov_b32_e32 v1, v13
	v_div_fmas_f32 v3, v4, v3, v6
	s_delay_alu instid0(VALU_DEP_3) | instskip(NEXT) | instid1(VALU_DEP_2)
	v_subrev_nc_u32_e32 v12, s2, v0
	v_div_fixup_f32 v8, v3, v2, 1.0
	s_delay_alu instid0(VALU_DEP_4) | instskip(NEXT) | instid1(VALU_DEP_1)
	v_lshlrev_b64 v[1:2], 2, v[0:1]
	v_add_co_u32 v28, vcc_lo, s0, v1
	s_delay_alu instid0(VALU_DEP_4) | instskip(SKIP_1) | instid1(VALU_DEP_4)
	v_lshlrev_b64 v[0:1], 2, v[12:13]
	v_add_nc_u32_e32 v12, s5, v12
	v_add_co_ci_u32_e32 v29, vcc_lo, s1, v2, vcc_lo
	s_delay_alu instid0(VALU_DEP_3) | instskip(NEXT) | instid1(VALU_DEP_4)
	v_add_co_u32 v30, vcc_lo, s0, v0
	v_add_co_ci_u32_e32 v31, vcc_lo, s1, v1, vcc_lo
	s_delay_alu instid0(VALU_DEP_4) | instskip(SKIP_2) | instid1(VALU_DEP_2)
	v_lshlrev_b64 v[0:1], 2, v[12:13]
	v_add_nc_u32_e32 v12, s8, v12
	v_mul_f32_e32 v3, v5, v8
	v_lshlrev_b64 v[4:5], 2, v[12:13]
	global_store_b32 v[20:21], v3, off
	global_load_b32 v2, v[28:29], off
	v_add_co_u32 v0, vcc_lo, s0, v0
	v_add_co_ci_u32_e32 v1, vcc_lo, s1, v1, vcc_lo
	s_waitcnt vmcnt(0)
	v_mul_f32_e32 v2, v2, v8
	global_store_b32 v[28:29], v2, off
	global_load_b32 v9, v[30:31], off
	v_mad_u64_u32 v[2:3], null, s2, 17, v[12:13]
	v_mov_b32_e32 v3, v13
	s_delay_alu instid0(VALU_DEP_1) | instskip(SKIP_3) | instid1(VALU_DEP_4)
	v_lshlrev_b64 v[6:7], 2, v[2:3]
	v_add_co_u32 v3, vcc_lo, s0, v4
	v_add_co_ci_u32_e32 v4, vcc_lo, s1, v5, vcc_lo
	v_add_nc_u32_e32 v12, s4, v2
	v_add_co_u32 v5, vcc_lo, s0, v6
	v_add_co_ci_u32_e32 v6, vcc_lo, s1, v7, vcc_lo
	s_waitcnt vmcnt(0)
	v_mul_f32_e32 v8, v8, v9
	global_store_b32 v[30:31], v8, off
	s_clause 0x2
	global_load_b32 v7, v[0:1], off
	global_load_b32 v8, v[3:4], off
	;; [unrolled: 1-line block ×3, first 2 shown]
	v_lshlrev_b64 v[5:6], 2, v[12:13]
	s_delay_alu instid0(VALU_DEP_1) | instskip(NEXT) | instid1(VALU_DEP_2)
	v_add_co_u32 v5, vcc_lo, s0, v5
	v_add_co_ci_u32_e32 v6, vcc_lo, s1, v6, vcc_lo
	s_waitcnt vmcnt(0)
	v_fmac_f32_e32 v7, v8, v9
	global_store_b32 v[0:1], v7, off
	s_clause 0x1
	global_load_b32 v2, v[3:4], off
	global_load_b32 v3, v[5:6], off
	s_waitcnt vmcnt(0)
	v_fma_f32 v2, -v2, v3, 1.0
	s_delay_alu instid0(VALU_DEP_1) | instskip(SKIP_1) | instid1(VALU_DEP_2)
	v_div_scale_f32 v3, null, v2, v2, 1.0
	v_div_scale_f32 v5, vcc_lo, 1.0, v2, 1.0
	v_rcp_f32_e32 v6, v3
	s_waitcnt_depctr 0xfff
	v_fma_f32 v4, -v3, v6, 1.0
	s_delay_alu instid0(VALU_DEP_1) | instskip(NEXT) | instid1(VALU_DEP_1)
	v_fmac_f32_e32 v6, v4, v6
	v_mul_f32_e32 v8, v5, v6
	s_delay_alu instid0(VALU_DEP_1) | instskip(NEXT) | instid1(VALU_DEP_1)
	v_fma_f32 v4, -v3, v8, v5
	v_fmac_f32_e32 v8, v4, v6
	s_delay_alu instid0(VALU_DEP_1) | instskip(SKIP_1) | instid1(VALU_DEP_2)
	v_fma_f32 v3, -v3, v8, v5
	v_mad_u64_u32 v[4:5], null, 0xffffffeb, s2, v[12:13]
	v_div_fmas_f32 v3, v3, v6, v8
	s_delay_alu instid0(VALU_DEP_2) | instskip(NEXT) | instid1(VALU_DEP_2)
	v_subrev_nc_u32_e32 v12, s3, v4
	v_div_fixup_f32 v22, v3, v2, 1.0
	v_mov_b32_e32 v5, v13
	s_delay_alu instid0(VALU_DEP_1) | instskip(NEXT) | instid1(VALU_DEP_3)
	v_lshlrev_b64 v[2:3], 2, v[4:5]
	v_mul_f32_e32 v5, v7, v22
	s_delay_alu instid0(VALU_DEP_2) | instskip(NEXT) | instid1(VALU_DEP_3)
	v_add_co_u32 v2, vcc_lo, s0, v2
	v_add_co_ci_u32_e32 v3, vcc_lo, s1, v3, vcc_lo
	global_store_b32 v[0:1], v5, off
	v_lshlrev_b64 v[4:5], 2, v[12:13]
	v_subrev_nc_u32_e32 v12, s2, v12
	global_load_b32 v6, v[2:3], off
	s_waitcnt vmcnt(0)
	v_mul_f32_e32 v8, v6, v22
	v_add_co_u32 v6, vcc_lo, s0, v4
	v_add_co_ci_u32_e32 v7, vcc_lo, s1, v5, vcc_lo
	global_store_b32 v[2:3], v8, off
	v_lshlrev_b64 v[4:5], 2, v[12:13]
	v_add_nc_u32_e32 v12, s9, v12
	global_load_b32 v8, v[6:7], off
	v_add_co_u32 v18, vcc_lo, s0, v4
	v_add_co_ci_u32_e32 v19, vcc_lo, s1, v5, vcc_lo
	v_lshlrev_b64 v[4:5], 2, v[12:13]
	v_subrev_nc_u32_e32 v12, s3, v12
	s_delay_alu instid0(VALU_DEP_2) | instskip(NEXT) | instid1(VALU_DEP_3)
	v_add_co_u32 v34, vcc_lo, s0, v4
	v_add_co_ci_u32_e32 v35, vcc_lo, s1, v5, vcc_lo
	s_delay_alu instid0(VALU_DEP_3) | instskip(SKIP_1) | instid1(VALU_DEP_2)
	v_lshlrev_b64 v[4:5], 2, v[12:13]
	v_add_nc_u32_e32 v12, s8, v12
	v_add_co_u32 v32, vcc_lo, s0, v4
	s_delay_alu instid0(VALU_DEP_3) | instskip(NEXT) | instid1(VALU_DEP_3)
	v_add_co_ci_u32_e32 v33, vcc_lo, s1, v5, vcc_lo
	v_lshlrev_b64 v[4:5], 2, v[12:13]
	v_add_nc_u32_e32 v12, s6, v12
	s_delay_alu instid0(VALU_DEP_1) | instskip(NEXT) | instid1(VALU_DEP_3)
	v_lshlrev_b64 v[10:11], 2, v[12:13]
	v_add_co_u32 v4, vcc_lo, s0, v4
	s_delay_alu instid0(VALU_DEP_4) | instskip(NEXT) | instid1(VALU_DEP_3)
	v_add_co_ci_u32_e32 v5, vcc_lo, s1, v5, vcc_lo
	v_add_co_u32 v16, vcc_lo, s0, v10
	s_delay_alu instid0(VALU_DEP_4)
	v_add_co_ci_u32_e32 v17, vcc_lo, s1, v11, vcc_lo
	s_waitcnt vmcnt(0)
	v_mul_f32_e32 v8, v22, v8
	global_store_b32 v[6:7], v8, off
	global_load_b32 v8, v[18:19], off
	s_waitcnt vmcnt(0)
	v_mul_f32_e32 v8, v22, v8
	global_store_b32 v[18:19], v8, off
	global_load_b32 v8, v[34:35], off
	;; [unrolled: 4-line block ×3, first 2 shown]
	v_mad_u64_u32 v[8:9], null, s2, 46, v[12:13]
	v_mov_b32_e32 v9, v13
	s_delay_alu instid0(VALU_DEP_1) | instskip(NEXT) | instid1(VALU_DEP_1)
	v_lshlrev_b64 v[14:15], 2, v[8:9]
	v_add_co_u32 v24, vcc_lo, s0, v14
	s_delay_alu instid0(VALU_DEP_2)
	v_add_co_ci_u32_e32 v25, vcc_lo, s1, v15, vcc_lo
	s_waitcnt vmcnt(0)
	v_mul_f32_e32 v9, v22, v23
	global_store_b32 v[32:33], v9, off
	s_clause 0x2
	global_load_b32 v22, v[4:5], off
	global_load_b32 v23, v[16:17], off
	;; [unrolled: 1-line block ×3, first 2 shown]
	v_mad_u64_u32 v[9:10], null, 0xffffffd0, s2, v[8:9]
	v_mov_b32_e32 v10, v13
	s_delay_alu instid0(VALU_DEP_1) | instskip(SKIP_2) | instid1(VALU_DEP_2)
	v_mad_u64_u32 v[14:15], null, s2, 55, v[9:10]
	v_mov_b32_e32 v15, v13
	v_lshlrev_b64 v[8:9], 2, v[9:10]
	v_lshlrev_b64 v[11:12], 2, v[14:15]
	s_delay_alu instid0(VALU_DEP_1) | instskip(NEXT) | instid1(VALU_DEP_2)
	v_add_co_u32 v26, vcc_lo, s0, v11
	v_add_co_ci_u32_e32 v27, vcc_lo, s1, v12, vcc_lo
	s_delay_alu instid0(VALU_DEP_4) | instskip(SKIP_2) | instid1(VALU_DEP_1)
	v_add_co_u32 v10, vcc_lo, s0, v8
	v_add_co_ci_u32_e32 v11, vcc_lo, s1, v9, vcc_lo
	v_add_nc_u32_e32 v12, s7, v14
	v_lshlrev_b64 v[8:9], 2, v[12:13]
	s_waitcnt vmcnt(0)
	v_fmac_f32_e32 v22, v23, v36
	s_delay_alu instid0(VALU_DEP_2) | instskip(NEXT) | instid1(VALU_DEP_3)
	v_add_co_u32 v36, vcc_lo, s0, v8
	v_add_co_ci_u32_e32 v37, vcc_lo, s1, v9, vcc_lo
	global_store_b32 v[4:5], v22, off
	s_clause 0x2
	global_load_b32 v15, v[26:27], off
	global_load_b32 v22, v[10:11], off
	;; [unrolled: 1-line block ×3, first 2 shown]
	s_waitcnt vmcnt(0)
	v_fmac_f32_e32 v22, v23, v15
	global_store_b32 v[10:11], v22, off
	s_clause 0x2
	global_load_b32 v8, v[36:37], off
	global_load_b32 v9, v[16:17], off
	;; [unrolled: 1-line block ×3, first 2 shown]
	s_waitcnt vmcnt(1)
	v_fma_f32 v8, -v9, v8, 1.0
	s_delay_alu instid0(VALU_DEP_1) | instskip(SKIP_1) | instid1(VALU_DEP_2)
	v_div_scale_f32 v9, null, v8, v8, 1.0
	v_div_scale_f32 v15, vcc_lo, 1.0, v8, 1.0
	v_rcp_f32_e32 v17, v9
	s_waitcnt_depctr 0xfff
	v_fma_f32 v14, -v9, v17, 1.0
	s_delay_alu instid0(VALU_DEP_1) | instskip(NEXT) | instid1(VALU_DEP_1)
	v_fmac_f32_e32 v17, v14, v17
	v_mul_f32_e32 v22, v15, v17
	s_delay_alu instid0(VALU_DEP_1) | instskip(NEXT) | instid1(VALU_DEP_1)
	v_fma_f32 v14, -v9, v22, v15
	v_fmac_f32_e32 v22, v14, v17
	s_delay_alu instid0(VALU_DEP_1) | instskip(SKIP_2) | instid1(VALU_DEP_3)
	v_fma_f32 v9, -v9, v22, v15
	v_mad_u64_u32 v[14:15], null, 0xffffffc8, s2, v[12:13]
	v_mov_b32_e32 v15, v13
	v_div_fmas_f32 v9, v9, v17, v22
	s_delay_alu instid0(VALU_DEP_1) | instskip(NEXT) | instid1(VALU_DEP_3)
	v_div_fixup_f32 v42, v9, v8, 1.0
	v_lshlrev_b64 v[8:9], 2, v[14:15]
	s_waitcnt vmcnt(0)
	s_delay_alu instid0(VALU_DEP_2) | instskip(NEXT) | instid1(VALU_DEP_2)
	v_mul_f32_e32 v12, v16, v42
	v_add_co_u32 v8, vcc_lo, s0, v8
	s_delay_alu instid0(VALU_DEP_3)
	v_add_co_ci_u32_e32 v9, vcc_lo, s1, v9, vcc_lo
	global_store_b32 v[4:5], v12, off
	global_load_b32 v12, v[8:9], off
	s_waitcnt vmcnt(0)
	v_mul_f32_e32 v12, v42, v12
	global_store_b32 v[8:9], v12, off
	global_load_b32 v16, v[10:11], off
	v_subrev_nc_u32_e32 v12, s2, v14
	s_delay_alu instid0(VALU_DEP_1) | instskip(SKIP_1) | instid1(VALU_DEP_2)
	v_lshlrev_b64 v[14:15], 2, v[12:13]
	v_subrev_nc_u32_e32 v12, s2, v12
	v_add_co_u32 v22, vcc_lo, s0, v14
	s_delay_alu instid0(VALU_DEP_3) | instskip(NEXT) | instid1(VALU_DEP_3)
	v_add_co_ci_u32_e32 v23, vcc_lo, s1, v15, vcc_lo
	v_lshlrev_b64 v[14:15], 2, v[12:13]
	v_add_nc_u32_e32 v12, s9, v12
	s_delay_alu instid0(VALU_DEP_2) | instskip(NEXT) | instid1(VALU_DEP_3)
	v_add_co_u32 v38, vcc_lo, s0, v14
	v_add_co_ci_u32_e32 v39, vcc_lo, s1, v15, vcc_lo
	s_delay_alu instid0(VALU_DEP_3) | instskip(NEXT) | instid1(VALU_DEP_1)
	v_lshlrev_b64 v[14:15], 2, v[12:13]
	v_add_co_u32 v48, vcc_lo, s0, v14
	s_delay_alu instid0(VALU_DEP_2) | instskip(SKIP_1) | instid1(VALU_DEP_1)
	v_add_co_ci_u32_e32 v49, vcc_lo, s1, v15, vcc_lo
	v_mad_u64_u32 v[14:15], null, s2, 25, v[12:13]
	v_dual_mov_b32 v15, v13 :: v_dual_add_nc_u32 v12, s6, v14
	s_delay_alu instid0(VALU_DEP_1)
	v_lshlrev_b64 v[14:15], 2, v[14:15]
	s_mul_i32 s6, s2, -5
	s_waitcnt vmcnt(0)
	v_mul_f32_e32 v16, v42, v16
	global_store_b32 v[10:11], v16, off
	global_load_b32 v16, v[22:23], off
	s_waitcnt vmcnt(0)
	v_mul_f32_e32 v16, v42, v16
	global_store_b32 v[22:23], v16, off
	global_load_b32 v16, v[38:39], off
	;; [unrolled: 4-line block ×3, first 2 shown]
	v_lshlrev_b64 v[16:17], 2, v[12:13]
	v_add_nc_u32_e32 v12, s6, v12
	s_delay_alu instid0(VALU_DEP_2) | instskip(NEXT) | instid1(VALU_DEP_3)
	v_add_co_u32 v40, vcc_lo, s0, v16
	v_add_co_ci_u32_e32 v41, vcc_lo, s1, v17, vcc_lo
	v_add_co_u32 v14, vcc_lo, s0, v14
	v_add_co_ci_u32_e32 v15, vcc_lo, s1, v15, vcc_lo
	s_waitcnt vmcnt(0)
	v_mul_f32_e32 v16, v42, v43
	global_store_b32 v[48:49], v16, off
	s_clause 0x2
	global_load_b32 v42, v[40:41], off
	global_load_b32 v43, v[14:15], off
	;; [unrolled: 1-line block ×3, first 2 shown]
	v_lshlrev_b64 v[16:17], 2, v[12:13]
	v_subrev_nc_u32_e32 v12, s3, v12
	s_delay_alu instid0(VALU_DEP_2) | instskip(NEXT) | instid1(VALU_DEP_3)
	v_add_co_u32 v16, vcc_lo, s0, v16
	v_add_co_ci_u32_e32 v17, vcc_lo, s1, v17, vcc_lo
	s_waitcnt vmcnt(0)
	v_fmac_f32_e32 v43, v42, v24
	global_store_b32 v[14:15], v43, off
	s_clause 0x2
	global_load_b32 v24, v[16:17], off
	global_load_b32 v25, v[40:41], off
	;; [unrolled: 1-line block ×3, first 2 shown]
	s_waitcnt vmcnt(0)
	v_fmac_f32_e32 v24, v25, v36
	global_store_b32 v[16:17], v24, off
	s_clause 0x2
	global_load_b32 v24, v[26:27], off
	global_load_b32 v25, v[40:41], off
	global_load_b32 v26, v[14:15], off
	s_waitcnt vmcnt(1)
	v_fma_f32 v24, -v25, v24, 1.0
	s_delay_alu instid0(VALU_DEP_1) | instskip(SKIP_1) | instid1(VALU_DEP_2)
	v_div_scale_f32 v25, null, v24, v24, 1.0
	v_div_scale_f32 v37, vcc_lo, 1.0, v24, 1.0
	v_rcp_f32_e32 v27, v25
	s_waitcnt_depctr 0xfff
	v_fma_f32 v36, -v25, v27, 1.0
	s_delay_alu instid0(VALU_DEP_1) | instskip(NEXT) | instid1(VALU_DEP_1)
	v_fmac_f32_e32 v27, v36, v27
	v_mul_f32_e32 v36, v37, v27
	s_delay_alu instid0(VALU_DEP_1) | instskip(NEXT) | instid1(VALU_DEP_1)
	v_fma_f32 v40, -v25, v36, v37
	v_fmac_f32_e32 v36, v40, v27
	s_delay_alu instid0(VALU_DEP_1) | instskip(NEXT) | instid1(VALU_DEP_1)
	v_fma_f32 v25, -v25, v36, v37
	v_div_fmas_f32 v25, v25, v27, v36
	s_delay_alu instid0(VALU_DEP_1) | instskip(SKIP_1) | instid1(VALU_DEP_1)
	v_div_fixup_f32 v44, v25, v24, 1.0
	s_waitcnt vmcnt(0)
	v_mul_f32_e32 v24, v26, v44
	global_store_b32 v[14:15], v24, off
	global_load_b32 v26, v[16:17], off
	v_lshlrev_b64 v[24:25], 2, v[12:13]
	v_subrev_nc_u32_e32 v12, s2, v12
	s_delay_alu instid0(VALU_DEP_2) | instskip(NEXT) | instid1(VALU_DEP_3)
	v_add_co_u32 v24, vcc_lo, s0, v24
	v_add_co_ci_u32_e32 v25, vcc_lo, s1, v25, vcc_lo
	s_waitcnt vmcnt(0)
	v_mul_f32_e32 v26, v44, v26
	global_store_b32 v[16:17], v26, off
	global_load_b32 v36, v[24:25], off
	v_lshlrev_b64 v[26:27], 2, v[12:13]
	v_add_nc_u32_e32 v12, s8, v12
	s_waitcnt vmcnt(0)
	v_mul_f32_e32 v40, v44, v36
	s_delay_alu instid0(VALU_DEP_3) | instskip(NEXT) | instid1(VALU_DEP_4)
	v_add_co_u32 v36, vcc_lo, s0, v26
	v_add_co_ci_u32_e32 v37, vcc_lo, s1, v27, vcc_lo
	global_store_b32 v[24:25], v40, off
	v_lshlrev_b64 v[26:27], 2, v[12:13]
	global_load_b32 v40, v[36:37], off
	s_waitcnt vmcnt(0)
	v_mul_f32_e32 v42, v44, v40
	v_add_co_u32 v40, vcc_lo, s0, v26
	v_add_co_ci_u32_e32 v41, vcc_lo, s1, v27, vcc_lo
	global_store_b32 v[36:37], v42, off
	v_mad_u64_u32 v[26:27], null, 0xffffffef, s2, v[12:13]
	global_load_b32 v45, v[40:41], off
	v_mov_b32_e32 v27, v13
	s_delay_alu instid0(VALU_DEP_1) | instskip(NEXT) | instid1(VALU_DEP_1)
	v_lshlrev_b64 v[42:43], 2, v[26:27]
	v_add_co_u32 v42, vcc_lo, s0, v42
	s_delay_alu instid0(VALU_DEP_2)
	v_add_co_ci_u32_e32 v43, vcc_lo, s1, v43, vcc_lo
	s_waitcnt vmcnt(0)
	v_mul_f32_e32 v12, v44, v45
	global_store_b32 v[40:41], v12, off
	s_clause 0x2
	global_load_b32 v44, v[0:1], off
	global_load_b32 v45, v[32:33], off
	;; [unrolled: 1-line block ×3, first 2 shown]
	v_add_nc_u32_e32 v12, s9, v26
	s_delay_alu instid0(VALU_DEP_1) | instskip(SKIP_2) | instid1(VALU_DEP_2)
	v_lshlrev_b64 v[26:27], 2, v[12:13]
	s_waitcnt vmcnt(0)
	v_fmac_f32_e32 v44, v45, v46
	v_add_co_u32 v46, vcc_lo, s0, v26
	s_delay_alu instid0(VALU_DEP_3)
	v_add_co_ci_u32_e32 v47, vcc_lo, s1, v27, vcc_lo
	global_store_b32 v[0:1], v44, off
	s_clause 0x1
	global_load_b32 v52, v[32:33], off
	global_load_b32 v53, v[46:47], off
	v_mad_u64_u32 v[26:27], null, 0xffffffdf, s2, v[12:13]
	v_mov_b32_e32 v27, v13
	s_delay_alu instid0(VALU_DEP_1) | instskip(SKIP_2) | instid1(VALU_DEP_2)
	v_mad_u64_u32 v[44:45], null, s2, 28, v[26:27]
	v_mov_b32_e32 v45, v13
	v_lshlrev_b64 v[26:27], 2, v[26:27]
	v_lshlrev_b64 v[50:51], 2, v[44:45]
	s_delay_alu instid0(VALU_DEP_2) | instskip(NEXT) | instid1(VALU_DEP_3)
	v_add_co_u32 v26, vcc_lo, s0, v26
	v_add_co_ci_u32_e32 v27, vcc_lo, s1, v27, vcc_lo
	s_delay_alu instid0(VALU_DEP_3) | instskip(NEXT) | instid1(VALU_DEP_4)
	v_add_co_u32 v50, vcc_lo, s0, v50
	v_add_co_ci_u32_e32 v51, vcc_lo, s1, v51, vcc_lo
	s_waitcnt vmcnt(0)
	v_mul_f32_e32 v12, v52, v53
	global_store_b32 v[26:27], v12, off
	s_clause 0x2
	global_load_b32 v52, v[6:7], off
	global_load_b32 v53, v[32:33], off
	;; [unrolled: 1-line block ×3, first 2 shown]
	v_add_nc_u32_e32 v12, s2, v44
	s_delay_alu instid0(VALU_DEP_1) | instskip(NEXT) | instid1(VALU_DEP_1)
	v_lshlrev_b64 v[44:45], 2, v[12:13]
	v_add_co_u32 v44, vcc_lo, s0, v44
	s_delay_alu instid0(VALU_DEP_2)
	v_add_co_ci_u32_e32 v45, vcc_lo, s1, v45, vcc_lo
	s_waitcnt vmcnt(0)
	v_fmac_f32_e32 v52, v53, v54
	global_store_b32 v[6:7], v52, off
	s_clause 0x2
	global_load_b32 v52, v[44:45], off
	global_load_b32 v32, v[32:33], off
	;; [unrolled: 1-line block ×3, first 2 shown]
	s_waitcnt vmcnt(1)
	v_fma_f32 v32, -v32, v52, 1.0
	s_delay_alu instid0(VALU_DEP_1) | instskip(SKIP_1) | instid1(VALU_DEP_2)
	v_div_scale_f32 v52, null, v32, v32, 1.0
	v_div_scale_f32 v55, vcc_lo, 1.0, v32, 1.0
	v_rcp_f32_e32 v53, v52
	s_waitcnt_depctr 0xfff
	v_fma_f32 v54, -v52, v53, 1.0
	s_delay_alu instid0(VALU_DEP_1) | instskip(NEXT) | instid1(VALU_DEP_1)
	v_fmac_f32_e32 v53, v54, v53
	v_mul_f32_e32 v54, v55, v53
	s_delay_alu instid0(VALU_DEP_1) | instskip(NEXT) | instid1(VALU_DEP_1)
	v_fma_f32 v56, -v52, v54, v55
	v_fmac_f32_e32 v54, v56, v53
	s_delay_alu instid0(VALU_DEP_1) | instskip(NEXT) | instid1(VALU_DEP_1)
	v_fma_f32 v52, -v52, v54, v55
	v_div_fmas_f32 v52, v52, v53, v54
	s_delay_alu instid0(VALU_DEP_1) | instskip(SKIP_1) | instid1(VALU_DEP_1)
	v_div_fixup_f32 v32, v52, v32, 1.0
	s_waitcnt vmcnt(0)
	v_mul_f32_e32 v33, v33, v32
	global_store_b32 v[0:1], v33, off
	global_load_b32 v33, v[2:3], off
	s_waitcnt vmcnt(0)
	v_mul_f32_e32 v33, v32, v33
	global_store_b32 v[2:3], v33, off
	global_load_b32 v33, v[26:27], off
	;; [unrolled: 4-line block ×5, first 2 shown]
	s_waitcnt vmcnt(0)
	v_mul_f32_e32 v32, v32, v33
	global_store_b32 v[34:35], v32, off
	s_clause 0x2
	global_load_b32 v32, v[14:15], off
	global_load_b32 v33, v[40:41], off
	;; [unrolled: 1-line block ×3, first 2 shown]
	s_waitcnt vmcnt(0)
	v_fmac_f32_e32 v32, v33, v52
	v_mad_u64_u32 v[52:53], null, s2, 11, v[12:13]
	v_mov_b32_e32 v53, v13
	global_store_b32 v[14:15], v32, off
	s_clause 0x1
	global_load_b32 v54, v[40:41], off
	global_load_b32 v55, v[44:45], off
	v_lshlrev_b64 v[32:33], 2, v[52:53]
	s_delay_alu instid0(VALU_DEP_1) | instskip(NEXT) | instid1(VALU_DEP_2)
	v_add_co_u32 v32, vcc_lo, s0, v32
	v_add_co_ci_u32_e32 v33, vcc_lo, s1, v33, vcc_lo
	s_waitcnt vmcnt(0)
	v_mul_f32_e32 v12, v54, v55
	global_store_b32 v[32:33], v12, off
	s_clause 0x2
	global_load_b32 v12, v[24:25], off
	global_load_b32 v53, v[40:41], off
	;; [unrolled: 1-line block ×3, first 2 shown]
	s_waitcnt vmcnt(0)
	v_fmac_f32_e32 v12, v53, v54
	global_store_b32 v[24:25], v12, off
	s_clause 0x2
	global_load_b32 v12, v[46:47], off
	global_load_b32 v40, v[40:41], off
	;; [unrolled: 1-line block ×3, first 2 shown]
	s_waitcnt vmcnt(1)
	v_fma_f32 v12, -v40, v12, 1.0
	s_delay_alu instid0(VALU_DEP_1) | instskip(SKIP_1) | instid1(VALU_DEP_2)
	v_div_scale_f32 v40, null, v12, v12, 1.0
	v_div_scale_f32 v55, vcc_lo, 1.0, v12, 1.0
	v_rcp_f32_e32 v53, v40
	s_waitcnt_depctr 0xfff
	v_fma_f32 v54, -v40, v53, 1.0
	s_delay_alu instid0(VALU_DEP_1) | instskip(NEXT) | instid1(VALU_DEP_1)
	v_fmac_f32_e32 v53, v54, v53
	v_mul_f32_e32 v54, v55, v53
	s_delay_alu instid0(VALU_DEP_1) | instskip(NEXT) | instid1(VALU_DEP_1)
	v_fma_f32 v56, -v40, v54, v55
	v_fmac_f32_e32 v54, v56, v53
	s_delay_alu instid0(VALU_DEP_1) | instskip(NEXT) | instid1(VALU_DEP_1)
	v_fma_f32 v40, -v40, v54, v55
	v_div_fmas_f32 v40, v40, v53, v54
	s_delay_alu instid0(VALU_DEP_1) | instskip(SKIP_1) | instid1(VALU_DEP_1)
	v_div_fixup_f32 v57, v40, v12, 1.0
	s_waitcnt vmcnt(0)
	v_mul_f32_e32 v12, v41, v57
	global_store_b32 v[14:15], v12, off
	global_load_b32 v12, v[16:17], off
	s_waitcnt vmcnt(0)
	v_mul_f32_e32 v12, v57, v12
	global_store_b32 v[16:17], v12, off
	global_load_b32 v12, v[32:33], off
	;; [unrolled: 4-line block ×4, first 2 shown]
	v_add_nc_u32_e32 v12, s5, v52
	s_lshl_b32 s5, s2, 2
	s_delay_alu instid0(VALU_DEP_1) | instskip(SKIP_1) | instid1(VALU_DEP_1)
	v_mad_u64_u32 v[52:53], null, s2, 6, v[12:13]
	v_mov_b32_e32 v53, v13
	v_lshlrev_b64 v[40:41], 2, v[52:53]
	v_lshlrev_b64 v[53:54], 2, v[12:13]
	s_delay_alu instid0(VALU_DEP_2) | instskip(NEXT) | instid1(VALU_DEP_3)
	v_add_co_u32 v55, vcc_lo, s0, v40
	v_add_co_ci_u32_e32 v56, vcc_lo, s1, v41, vcc_lo
	s_delay_alu instid0(VALU_DEP_3) | instskip(NEXT) | instid1(VALU_DEP_4)
	v_add_co_u32 v40, vcc_lo, s0, v53
	v_add_co_ci_u32_e32 v41, vcc_lo, s1, v54, vcc_lo
	s_waitcnt vmcnt(0)
	v_mul_f32_e32 v12, v57, v58
	global_store_b32 v[36:37], v12, off
	s_clause 0x2
	global_load_b32 v53, v[55:56], off
	global_load_b32 v54, v[40:41], off
	;; [unrolled: 1-line block ×3, first 2 shown]
	v_add_nc_u32_e32 v12, s7, v52
	s_delay_alu instid0(VALU_DEP_1) | instskip(SKIP_1) | instid1(VALU_DEP_2)
	v_lshlrev_b64 v[42:43], 2, v[12:13]
	v_add_nc_u32_e32 v12, s5, v12
	v_add_co_u32 v42, vcc_lo, s0, v42
	s_delay_alu instid0(VALU_DEP_3)
	v_add_co_ci_u32_e32 v43, vcc_lo, s1, v43, vcc_lo
	s_waitcnt vmcnt(0)
	v_fmac_f32_e32 v54, v53, v57
	global_store_b32 v[40:41], v54, off
	s_clause 0x2
	global_load_b32 v52, v[42:43], off
	global_load_b32 v53, v[55:56], off
	;; [unrolled: 1-line block ×3, first 2 shown]
	v_lshlrev_b64 v[44:45], 2, v[12:13]
	v_add_nc_u32_e32 v12, s7, v12
	s_delay_alu instid0(VALU_DEP_2) | instskip(NEXT) | instid1(VALU_DEP_3)
	v_add_co_u32 v44, vcc_lo, s0, v44
	v_add_co_ci_u32_e32 v45, vcc_lo, s1, v45, vcc_lo
	s_waitcnt vmcnt(0)
	v_fmac_f32_e32 v52, v53, v54
	global_store_b32 v[42:43], v52, off
	s_clause 0x2
	global_load_b32 v52, v[44:45], off
	global_load_b32 v53, v[55:56], off
	;; [unrolled: 1-line block ×3, first 2 shown]
	s_waitcnt vmcnt(0)
	v_fmac_f32_e32 v52, v53, v46
	global_store_b32 v[44:45], v52, off
	s_clause 0x2
	global_load_b32 v46, v[50:51], off
	global_load_b32 v47, v[55:56], off
	;; [unrolled: 1-line block ×3, first 2 shown]
	s_waitcnt vmcnt(1)
	v_fma_f32 v46, -v47, v46, 1.0
	s_delay_alu instid0(VALU_DEP_1) | instskip(SKIP_1) | instid1(VALU_DEP_2)
	v_div_scale_f32 v47, null, v46, v46, 1.0
	v_div_scale_f32 v53, vcc_lo, 1.0, v46, 1.0
	v_rcp_f32_e32 v51, v47
	s_waitcnt_depctr 0xfff
	v_fma_f32 v52, -v47, v51, 1.0
	s_delay_alu instid0(VALU_DEP_1) | instskip(NEXT) | instid1(VALU_DEP_1)
	v_fmac_f32_e32 v51, v52, v51
	v_mul_f32_e32 v52, v53, v51
	s_delay_alu instid0(VALU_DEP_1) | instskip(NEXT) | instid1(VALU_DEP_1)
	v_fma_f32 v54, -v47, v52, v53
	v_fmac_f32_e32 v52, v54, v51
	s_delay_alu instid0(VALU_DEP_1) | instskip(NEXT) | instid1(VALU_DEP_1)
	v_fma_f32 v47, -v47, v52, v53
	v_div_fmas_f32 v47, v47, v51, v52
	s_delay_alu instid0(VALU_DEP_1) | instskip(SKIP_3) | instid1(VALU_DEP_3)
	v_div_fixup_f32 v52, v47, v46, 1.0
	v_lshlrev_b64 v[46:47], 2, v[12:13]
	v_add_nc_u32_e32 v12, s7, v12
	s_waitcnt vmcnt(0)
	v_mul_f32_e32 v50, v50, v52
	s_delay_alu instid0(VALU_DEP_3) | instskip(NEXT) | instid1(VALU_DEP_4)
	v_add_co_u32 v46, vcc_lo, s0, v46
	v_add_co_ci_u32_e32 v47, vcc_lo, s1, v47, vcc_lo
	global_store_b32 v[40:41], v50, off
	global_load_b32 v50, v[46:47], off
	s_waitcnt vmcnt(0)
	v_mul_f32_e32 v50, v52, v50
	global_store_b32 v[46:47], v50, off
	global_load_b32 v50, v[42:43], off
	s_waitcnt vmcnt(0)
	v_mul_f32_e32 v50, v52, v50
	global_store_b32 v[42:43], v50, off
	global_load_b32 v53, v[44:45], off
	v_lshlrev_b64 v[50:51], 2, v[12:13]
	s_delay_alu instid0(VALU_DEP_1) | instskip(NEXT) | instid1(VALU_DEP_2)
	v_add_co_u32 v50, vcc_lo, s0, v50
	v_add_co_ci_u32_e32 v51, vcc_lo, s1, v51, vcc_lo
	s_waitcnt vmcnt(0)
	v_mul_f32_e32 v53, v52, v53
	global_store_b32 v[44:45], v53, off
	global_load_b32 v53, v[50:51], off
	s_waitcnt vmcnt(0)
	v_mul_f32_e32 v52, v52, v53
	global_store_b32 v[50:51], v52, off
	s_clause 0x2
	global_load_b32 v52, v[48:49], off
	global_load_b32 v53, v[4:5], off
	;; [unrolled: 1-line block ×3, first 2 shown]
	s_waitcnt vmcnt(0)
	v_fmac_f32_e32 v53, v52, v54
	global_store_b32 v[4:5], v53, off
	s_clause 0x2
	global_load_b32 v52, v[48:49], off
	global_load_b32 v53, v[8:9], off
	;; [unrolled: 1-line block ×3, first 2 shown]
	s_waitcnt vmcnt(0)
	v_fmac_f32_e32 v53, v52, v54
	global_store_b32 v[8:9], v53, off
	s_clause 0x2
	global_load_b32 v52, v[28:29], off
	global_load_b32 v48, v[48:49], off
	;; [unrolled: 1-line block ×3, first 2 shown]
	s_waitcnt vmcnt(1)
	v_fma_f32 v48, -v48, v52, 1.0
	s_delay_alu instid0(VALU_DEP_1) | instskip(SKIP_1) | instid1(VALU_DEP_2)
	v_div_scale_f32 v52, null, v48, v48, 1.0
	v_div_scale_f32 v55, vcc_lo, 1.0, v48, 1.0
	v_rcp_f32_e32 v53, v52
	s_waitcnt_depctr 0xfff
	v_fma_f32 v54, -v52, v53, 1.0
	s_delay_alu instid0(VALU_DEP_1) | instskip(NEXT) | instid1(VALU_DEP_1)
	v_fmac_f32_e32 v53, v54, v53
	v_mul_f32_e32 v54, v55, v53
	s_delay_alu instid0(VALU_DEP_1) | instskip(NEXT) | instid1(VALU_DEP_1)
	v_fma_f32 v56, -v52, v54, v55
	v_fmac_f32_e32 v54, v56, v53
	s_delay_alu instid0(VALU_DEP_1) | instskip(NEXT) | instid1(VALU_DEP_1)
	v_fma_f32 v52, -v52, v54, v55
	v_div_fmas_f32 v52, v52, v53, v54
	s_delay_alu instid0(VALU_DEP_1) | instskip(SKIP_1) | instid1(VALU_DEP_1)
	v_div_fixup_f32 v48, v52, v48, 1.0
	s_waitcnt vmcnt(0)
	v_mul_f32_e32 v49, v49, v48
	global_store_b32 v[4:5], v49, off
	global_load_b32 v49, v[8:9], off
	s_waitcnt vmcnt(0)
	v_mul_f32_e32 v49, v48, v49
	global_store_b32 v[8:9], v49, off
	global_load_b32 v49, v[10:11], off
	;; [unrolled: 4-line block ×4, first 2 shown]
	s_waitcnt vmcnt(0)
	v_mul_f32_e32 v48, v48, v49
	global_store_b32 v[38:39], v48, off
	s_clause 0x2
	global_load_b32 v48, v[34:35], off
	global_load_b32 v49, v[0:1], off
	;; [unrolled: 1-line block ×3, first 2 shown]
	s_waitcnt vmcnt(0)
	v_fmac_f32_e32 v49, v48, v20
	global_store_b32 v[0:1], v49, off
	s_clause 0x2
	global_load_b32 v20, v[34:35], off
	global_load_b32 v21, v[2:3], off
	;; [unrolled: 1-line block ×3, first 2 shown]
	s_waitcnt vmcnt(0)
	v_fmac_f32_e32 v21, v20, v28
	global_store_b32 v[2:3], v21, off
	s_clause 0x2
	global_load_b32 v20, v[30:31], off
	global_load_b32 v21, v[34:35], off
	;; [unrolled: 1-line block ×3, first 2 shown]
	s_waitcnt vmcnt(1)
	v_fma_f32 v20, -v21, v20, 1.0
	s_delay_alu instid0(VALU_DEP_1) | instskip(SKIP_1) | instid1(VALU_DEP_2)
	v_div_scale_f32 v21, null, v20, v20, 1.0
	v_div_scale_f32 v31, vcc_lo, 1.0, v20, 1.0
	v_rcp_f32_e32 v29, v21
	s_waitcnt_depctr 0xfff
	v_fma_f32 v30, -v21, v29, 1.0
	s_delay_alu instid0(VALU_DEP_1) | instskip(NEXT) | instid1(VALU_DEP_1)
	v_fmac_f32_e32 v29, v30, v29
	v_mul_f32_e32 v30, v31, v29
	s_delay_alu instid0(VALU_DEP_1) | instskip(NEXT) | instid1(VALU_DEP_1)
	v_fma_f32 v34, -v21, v30, v31
	v_fmac_f32_e32 v30, v34, v29
	s_delay_alu instid0(VALU_DEP_1) | instskip(NEXT) | instid1(VALU_DEP_1)
	v_fma_f32 v21, -v21, v30, v31
	v_div_fmas_f32 v21, v21, v29, v30
	s_delay_alu instid0(VALU_DEP_1) | instskip(SKIP_1) | instid1(VALU_DEP_1)
	v_div_fixup_f32 v30, v21, v20, 1.0
	s_waitcnt vmcnt(0)
	v_mul_f32_e32 v20, v28, v30
	global_store_b32 v[0:1], v20, off
	global_load_b32 v20, v[2:3], off
	s_waitcnt vmcnt(0)
	v_mul_f32_e32 v20, v30, v20
	global_store_b32 v[2:3], v20, off
	global_load_b32 v20, v[26:27], off
	;; [unrolled: 4-line block ×4, first 2 shown]
	v_mad_u64_u32 v[20:21], null, s2, -12, v[12:13]
	v_mov_b32_e32 v21, v13
	s_delay_alu instid0(VALU_DEP_1) | instskip(NEXT) | instid1(VALU_DEP_1)
	v_lshlrev_b64 v[28:29], 2, v[20:21]
	v_add_co_u32 v28, vcc_lo, s0, v28
	s_delay_alu instid0(VALU_DEP_2)
	v_add_co_ci_u32_e32 v29, vcc_lo, s1, v29, vcc_lo
	s_waitcnt vmcnt(0)
	v_mul_f32_e32 v12, v30, v31
	global_store_b32 v[18:19], v12, off
	s_clause 0x2
	global_load_b32 v30, v[4:5], off
	global_load_b32 v31, v[38:39], off
	;; [unrolled: 1-line block ×3, first 2 shown]
	v_add_nc_u32_e32 v12, s4, v20
	s_delay_alu instid0(VALU_DEP_1) | instskip(SKIP_1) | instid1(VALU_DEP_2)
	v_lshlrev_b64 v[20:21], 2, v[12:13]
	v_add_nc_u32_e32 v12, s5, v12
	v_add_co_u32 v20, vcc_lo, s0, v20
	s_delay_alu instid0(VALU_DEP_3)
	v_add_co_ci_u32_e32 v21, vcc_lo, s1, v21, vcc_lo
	s_waitcnt vmcnt(0)
	v_fmac_f32_e32 v30, v31, v34
	global_store_b32 v[4:5], v30, off
	s_clause 0x2
	global_load_b32 v34, v[8:9], off
	global_load_b32 v35, v[38:39], off
	;; [unrolled: 1-line block ×3, first 2 shown]
	v_lshlrev_b64 v[30:31], 2, v[12:13]
	v_add_nc_u32_e32 v12, s6, v12
	s_delay_alu instid0(VALU_DEP_2) | instskip(NEXT) | instid1(VALU_DEP_3)
	v_add_co_u32 v30, vcc_lo, s0, v30
	v_add_co_ci_u32_e32 v31, vcc_lo, s1, v31, vcc_lo
	s_waitcnt vmcnt(0)
	v_fmac_f32_e32 v34, v35, v48
	global_store_b32 v[8:9], v34, off
	s_clause 0x2
	global_load_b32 v48, v[10:11], off
	global_load_b32 v49, v[38:39], off
	;; [unrolled: 1-line block ×3, first 2 shown]
	v_lshlrev_b64 v[34:35], 2, v[12:13]
	v_add_nc_u32_e32 v12, s3, v12
	s_delay_alu instid0(VALU_DEP_2) | instskip(NEXT) | instid1(VALU_DEP_3)
	v_add_co_u32 v34, vcc_lo, s0, v34
	v_add_co_ci_u32_e32 v35, vcc_lo, s1, v35, vcc_lo
	s_delay_alu instid0(VALU_DEP_3) | instskip(NEXT) | instid1(VALU_DEP_1)
	v_lshlrev_b64 v[12:13], 2, v[12:13]
	v_add_co_u32 v12, vcc_lo, s0, v12
	s_delay_alu instid0(VALU_DEP_2)
	v_add_co_ci_u32_e32 v13, vcc_lo, s1, v13, vcc_lo
	s_waitcnt vmcnt(0)
	v_fmac_f32_e32 v48, v49, v52
	global_store_b32 v[10:11], v48, off
	s_clause 0x2
	global_load_b32 v48, v[22:23], off
	global_load_b32 v49, v[38:39], off
	global_load_b32 v52, v[34:35], off
	s_waitcnt vmcnt(0)
	v_fmac_f32_e32 v48, v49, v52
	global_store_b32 v[22:23], v48, off
	s_clause 0x2
	global_load_b32 v48, v[12:13], off
	global_load_b32 v38, v[38:39], off
	;; [unrolled: 1-line block ×3, first 2 shown]
	s_waitcnt vmcnt(1)
	v_fma_f32 v38, -v38, v48, 1.0
	s_delay_alu instid0(VALU_DEP_1) | instskip(SKIP_1) | instid1(VALU_DEP_2)
	v_div_scale_f32 v48, null, v38, v38, 1.0
	v_div_scale_f32 v53, vcc_lo, 1.0, v38, 1.0
	v_rcp_f32_e32 v49, v48
	s_waitcnt_depctr 0xfff
	v_fma_f32 v52, -v48, v49, 1.0
	s_delay_alu instid0(VALU_DEP_1) | instskip(NEXT) | instid1(VALU_DEP_1)
	v_fmac_f32_e32 v49, v52, v49
	v_mul_f32_e32 v52, v53, v49
	s_delay_alu instid0(VALU_DEP_1) | instskip(NEXT) | instid1(VALU_DEP_1)
	v_fma_f32 v54, -v48, v52, v53
	v_fmac_f32_e32 v52, v54, v49
	s_delay_alu instid0(VALU_DEP_1) | instskip(NEXT) | instid1(VALU_DEP_1)
	v_fma_f32 v48, -v48, v52, v53
	v_div_fmas_f32 v48, v48, v49, v52
	s_delay_alu instid0(VALU_DEP_1) | instskip(SKIP_1) | instid1(VALU_DEP_1)
	v_div_fixup_f32 v38, v48, v38, 1.0
	s_waitcnt vmcnt(0)
	v_mul_f32_e32 v39, v39, v38
	global_store_b32 v[4:5], v39, off
	global_load_b32 v39, v[8:9], off
	s_waitcnt vmcnt(0)
	v_mul_f32_e32 v39, v38, v39
	global_store_b32 v[8:9], v39, off
	global_load_b32 v39, v[10:11], off
	;; [unrolled: 4-line block ×3, first 2 shown]
	s_waitcnt vmcnt(0)
	v_mul_f32_e32 v38, v38, v39
	global_store_b32 v[22:23], v38, off
	s_clause 0x2
	global_load_b32 v38, v[0:1], off
	global_load_b32 v39, v[18:19], off
	global_load_b32 v48, v[28:29], off
	s_waitcnt vmcnt(0)
	v_fmac_f32_e32 v38, v39, v48
	global_store_b32 v[0:1], v38, off
	s_clause 0x2
	global_load_b32 v38, v[2:3], off
	global_load_b32 v39, v[18:19], off
	global_load_b32 v48, v[12:13], off
	s_waitcnt vmcnt(0)
	v_fmac_f32_e32 v38, v39, v48
	;; [unrolled: 7-line block ×4, first 2 shown]
	global_store_b32 v[6:7], v38, off
	s_clause 0x2
	global_load_b32 v38, v[20:21], off
	global_load_b32 v18, v[18:19], off
	;; [unrolled: 1-line block ×3, first 2 shown]
	s_waitcnt vmcnt(1)
	v_fma_f32 v18, -v18, v38, 1.0
	s_delay_alu instid0(VALU_DEP_1) | instskip(SKIP_1) | instid1(VALU_DEP_2)
	v_div_scale_f32 v38, null, v18, v18, 1.0
	v_div_scale_f32 v49, vcc_lo, 1.0, v18, 1.0
	v_rcp_f32_e32 v39, v38
	s_waitcnt_depctr 0xfff
	v_fma_f32 v48, -v38, v39, 1.0
	s_delay_alu instid0(VALU_DEP_1) | instskip(NEXT) | instid1(VALU_DEP_1)
	v_fmac_f32_e32 v39, v48, v39
	v_mul_f32_e32 v48, v49, v39
	s_delay_alu instid0(VALU_DEP_1) | instskip(NEXT) | instid1(VALU_DEP_1)
	v_fma_f32 v52, -v38, v48, v49
	v_fmac_f32_e32 v48, v52, v39
	s_delay_alu instid0(VALU_DEP_1) | instskip(NEXT) | instid1(VALU_DEP_1)
	v_fma_f32 v38, -v38, v48, v49
	v_div_fmas_f32 v38, v38, v39, v48
	s_delay_alu instid0(VALU_DEP_1) | instskip(SKIP_1) | instid1(VALU_DEP_1)
	v_div_fixup_f32 v18, v38, v18, 1.0
	s_waitcnt vmcnt(0)
	v_mul_f32_e32 v19, v19, v18
	global_store_b32 v[0:1], v19, off
	global_load_b32 v19, v[2:3], off
	s_waitcnt vmcnt(0)
	v_mul_f32_e32 v19, v18, v19
	global_store_b32 v[2:3], v19, off
	global_load_b32 v19, v[26:27], off
	;; [unrolled: 4-line block ×3, first 2 shown]
	s_waitcnt vmcnt(0)
	v_mul_f32_e32 v18, v18, v19
	global_store_b32 v[6:7], v18, off
	s_clause 0x2
	global_load_b32 v18, v[14:15], off
	global_load_b32 v19, v[36:37], off
	global_load_b32 v38, v[28:29], off
	s_waitcnt vmcnt(0)
	v_fmac_f32_e32 v18, v19, v38
	global_store_b32 v[14:15], v18, off
	s_clause 0x2
	global_load_b32 v18, v[16:17], off
	global_load_b32 v19, v[36:37], off
	global_load_b32 v38, v[12:13], off
	s_waitcnt vmcnt(0)
	v_fmac_f32_e32 v18, v19, v38
	;; [unrolled: 7-line block ×4, first 2 shown]
	global_store_b32 v[24:25], v18, off
	s_clause 0x2
	global_load_b32 v18, v[30:31], off
	global_load_b32 v19, v[36:37], off
	;; [unrolled: 1-line block ×3, first 2 shown]
	s_waitcnt vmcnt(1)
	v_fma_f32 v18, -v19, v18, 1.0
	s_delay_alu instid0(VALU_DEP_1) | instskip(SKIP_1) | instid1(VALU_DEP_2)
	v_div_scale_f32 v19, null, v18, v18, 1.0
	v_div_scale_f32 v39, vcc_lo, 1.0, v18, 1.0
	v_rcp_f32_e32 v37, v19
	s_waitcnt_depctr 0xfff
	v_fma_f32 v38, -v19, v37, 1.0
	s_delay_alu instid0(VALU_DEP_1) | instskip(NEXT) | instid1(VALU_DEP_1)
	v_fmac_f32_e32 v37, v38, v37
	v_mul_f32_e32 v38, v39, v37
	s_delay_alu instid0(VALU_DEP_1) | instskip(NEXT) | instid1(VALU_DEP_1)
	v_fma_f32 v48, -v19, v38, v39
	v_fmac_f32_e32 v38, v48, v37
	s_delay_alu instid0(VALU_DEP_1) | instskip(NEXT) | instid1(VALU_DEP_1)
	v_fma_f32 v19, -v19, v38, v39
	v_div_fmas_f32 v19, v19, v37, v38
	s_delay_alu instid0(VALU_DEP_1) | instskip(SKIP_1) | instid1(VALU_DEP_1)
	v_div_fixup_f32 v18, v19, v18, 1.0
	s_waitcnt vmcnt(0)
	v_mul_f32_e32 v19, v36, v18
	global_store_b32 v[14:15], v19, off
	global_load_b32 v19, v[16:17], off
	s_waitcnt vmcnt(0)
	v_mul_f32_e32 v19, v18, v19
	global_store_b32 v[16:17], v19, off
	global_load_b32 v19, v[32:33], off
	;; [unrolled: 4-line block ×3, first 2 shown]
	s_waitcnt vmcnt(0)
	v_mul_f32_e32 v18, v18, v19
	global_store_b32 v[24:25], v18, off
	s_clause 0x2
	global_load_b32 v18, v[40:41], off
	global_load_b32 v19, v[50:51], off
	global_load_b32 v28, v[28:29], off
	s_waitcnt vmcnt(0)
	v_fmac_f32_e32 v18, v19, v28
	global_store_b32 v[40:41], v18, off
	s_clause 0x2
	global_load_b32 v18, v[46:47], off
	global_load_b32 v19, v[50:51], off
	global_load_b32 v12, v[12:13], off
	s_waitcnt vmcnt(0)
	v_fmac_f32_e32 v18, v19, v12
	;; [unrolled: 7-line block ×4, first 2 shown]
	global_store_b32 v[44:45], v12, off
	s_clause 0x2
	global_load_b32 v12, v[34:35], off
	global_load_b32 v13, v[50:51], off
	;; [unrolled: 1-line block ×3, first 2 shown]
	s_waitcnt vmcnt(1)
	v_fma_f32 v12, -v13, v12, 1.0
	s_delay_alu instid0(VALU_DEP_1) | instskip(SKIP_1) | instid1(VALU_DEP_2)
	v_div_scale_f32 v13, null, v12, v12, 1.0
	v_div_scale_f32 v21, vcc_lo, 1.0, v12, 1.0
	v_rcp_f32_e32 v19, v13
	s_waitcnt_depctr 0xfff
	v_fma_f32 v20, -v13, v19, 1.0
	s_delay_alu instid0(VALU_DEP_1) | instskip(NEXT) | instid1(VALU_DEP_1)
	v_fmac_f32_e32 v19, v20, v19
	v_mul_f32_e32 v20, v21, v19
	s_delay_alu instid0(VALU_DEP_1) | instskip(NEXT) | instid1(VALU_DEP_1)
	v_fma_f32 v28, -v13, v20, v21
	v_fmac_f32_e32 v20, v28, v19
	s_delay_alu instid0(VALU_DEP_1) | instskip(NEXT) | instid1(VALU_DEP_1)
	v_fma_f32 v13, -v13, v20, v21
	v_div_fmas_f32 v13, v13, v19, v20
	s_delay_alu instid0(VALU_DEP_1) | instskip(SKIP_1) | instid1(VALU_DEP_1)
	v_div_fixup_f32 v12, v13, v12, 1.0
	s_waitcnt vmcnt(0)
	v_mul_f32_e32 v13, v18, v12
	global_store_b32 v[40:41], v13, off
	global_load_b32 v13, v[46:47], off
	s_waitcnt vmcnt(0)
	v_mul_f32_e32 v13, v12, v13
	global_store_b32 v[46:47], v13, off
	global_load_b32 v13, v[42:43], off
	;; [unrolled: 4-line block ×3, first 2 shown]
	s_waitcnt vmcnt(0)
	v_mul_f32_e32 v12, v12, v13
	global_store_b32 v[44:45], v12, off
	s_clause 0x2
	global_load_b32 v12, v[4:5], off
	global_load_b32 v13, v[22:23], off
	global_load_b32 v18, v[40:41], off
	s_waitcnt vmcnt(0)
	v_fmac_f32_e32 v12, v13, v18
	global_store_b32 v[4:5], v12, off
	s_clause 0x2
	global_load_b32 v12, v[8:9], off
	global_load_b32 v13, v[22:23], off
	global_load_b32 v18, v[42:43], off
	s_waitcnt vmcnt(0)
	v_fmac_f32_e32 v12, v13, v18
	global_store_b32 v[8:9], v12, off
	s_clause 0x2
	global_load_b32 v12, v[10:11], off
	global_load_b32 v13, v[22:23], off
	global_load_b32 v18, v[44:45], off
	s_waitcnt vmcnt(0)
	v_fmac_f32_e32 v12, v13, v18
	global_store_b32 v[10:11], v12, off
	s_clause 0x2
	global_load_b32 v12, v[46:47], off
	global_load_b32 v13, v[22:23], off
	global_load_b32 v18, v[4:5], off
	s_waitcnt vmcnt(1)
	v_fma_f32 v12, -v13, v12, 1.0
	s_delay_alu instid0(VALU_DEP_1) | instskip(SKIP_1) | instid1(VALU_DEP_2)
	v_div_scale_f32 v13, null, v12, v12, 1.0
	v_div_scale_f32 v21, vcc_lo, 1.0, v12, 1.0
	v_rcp_f32_e32 v19, v13
	s_waitcnt_depctr 0xfff
	v_fma_f32 v20, -v13, v19, 1.0
	s_delay_alu instid0(VALU_DEP_1) | instskip(NEXT) | instid1(VALU_DEP_1)
	v_fmac_f32_e32 v19, v20, v19
	v_mul_f32_e32 v20, v21, v19
	s_delay_alu instid0(VALU_DEP_1) | instskip(NEXT) | instid1(VALU_DEP_1)
	v_fma_f32 v22, -v13, v20, v21
	v_fmac_f32_e32 v20, v22, v19
	s_delay_alu instid0(VALU_DEP_1) | instskip(NEXT) | instid1(VALU_DEP_1)
	v_fma_f32 v13, -v13, v20, v21
	v_div_fmas_f32 v13, v13, v19, v20
	s_delay_alu instid0(VALU_DEP_1) | instskip(SKIP_1) | instid1(VALU_DEP_1)
	v_div_fixup_f32 v12, v13, v12, 1.0
	s_waitcnt vmcnt(0)
	v_mul_f32_e32 v13, v18, v12
	global_store_b32 v[4:5], v13, off
	global_load_b32 v13, v[8:9], off
	s_waitcnt vmcnt(0)
	v_mul_f32_e32 v13, v12, v13
	global_store_b32 v[8:9], v13, off
	global_load_b32 v13, v[10:11], off
	s_waitcnt vmcnt(0)
	v_mul_f32_e32 v12, v12, v13
	global_store_b32 v[10:11], v12, off
	s_clause 0x2
	global_load_b32 v12, v[0:1], off
	global_load_b32 v13, v[6:7], off
	global_load_b32 v18, v[40:41], off
	s_waitcnt vmcnt(0)
	v_fmac_f32_e32 v12, v13, v18
	global_store_b32 v[0:1], v12, off
	s_clause 0x2
	global_load_b32 v12, v[2:3], off
	global_load_b32 v13, v[6:7], off
	global_load_b32 v18, v[46:47], off
	s_waitcnt vmcnt(0)
	v_fmac_f32_e32 v12, v13, v18
	global_store_b32 v[2:3], v12, off
	s_clause 0x2
	global_load_b32 v12, v[44:45], off
	global_load_b32 v13, v[26:27], off
	global_load_b32 v18, v[6:7], off
	s_waitcnt vmcnt(0)
	v_fmac_f32_e32 v13, v18, v12
	global_store_b32 v[26:27], v13, off
	s_clause 0x2
	global_load_b32 v12, v[42:43], off
	global_load_b32 v6, v[6:7], off
	global_load_b32 v7, v[0:1], off
	s_waitcnt vmcnt(1)
	v_fma_f32 v6, -v6, v12, 1.0
	s_delay_alu instid0(VALU_DEP_1) | instskip(SKIP_1) | instid1(VALU_DEP_2)
	v_div_scale_f32 v12, null, v6, v6, 1.0
	v_div_scale_f32 v19, vcc_lo, 1.0, v6, 1.0
	v_rcp_f32_e32 v13, v12
	s_waitcnt_depctr 0xfff
	v_fma_f32 v18, -v12, v13, 1.0
	s_delay_alu instid0(VALU_DEP_1) | instskip(NEXT) | instid1(VALU_DEP_1)
	v_fmac_f32_e32 v13, v18, v13
	v_mul_f32_e32 v18, v19, v13
	s_delay_alu instid0(VALU_DEP_1) | instskip(NEXT) | instid1(VALU_DEP_1)
	v_fma_f32 v20, -v12, v18, v19
	v_fmac_f32_e32 v18, v20, v13
	s_delay_alu instid0(VALU_DEP_1) | instskip(NEXT) | instid1(VALU_DEP_1)
	v_fma_f32 v12, -v12, v18, v19
	v_div_fmas_f32 v12, v12, v13, v18
	s_delay_alu instid0(VALU_DEP_1) | instskip(SKIP_1) | instid1(VALU_DEP_1)
	v_div_fixup_f32 v6, v12, v6, 1.0
	s_waitcnt vmcnt(0)
	v_mul_f32_e32 v7, v7, v6
	global_store_b32 v[0:1], v7, off
	global_load_b32 v7, v[2:3], off
	s_waitcnt vmcnt(0)
	v_mul_f32_e32 v7, v6, v7
	global_store_b32 v[2:3], v7, off
	global_load_b32 v7, v[26:27], off
	;; [unrolled: 55-line block ×3, first 2 shown]
	s_waitcnt vmcnt(0)
	v_mul_f32_e32 v6, v6, v7
	global_store_b32 v[32:33], v6, off
	s_clause 0x2
	global_load_b32 v6, v[4:5], off
	global_load_b32 v7, v[10:11], off
	;; [unrolled: 1-line block ×3, first 2 shown]
	s_waitcnt vmcnt(0)
	v_fmac_f32_e32 v6, v7, v12
	global_store_b32 v[4:5], v6, off
	s_clause 0x2
	global_load_b32 v6, v[32:33], off
	global_load_b32 v7, v[8:9], off
	;; [unrolled: 1-line block ×3, first 2 shown]
	s_waitcnt vmcnt(0)
	v_fmac_f32_e32 v7, v12, v6
	global_store_b32 v[8:9], v7, off
	s_clause 0x2
	global_load_b32 v6, v[16:17], off
	global_load_b32 v7, v[10:11], off
	;; [unrolled: 1-line block ×3, first 2 shown]
	s_waitcnt vmcnt(1)
	v_fma_f32 v6, -v7, v6, 1.0
	s_delay_alu instid0(VALU_DEP_1) | instskip(SKIP_1) | instid1(VALU_DEP_2)
	v_div_scale_f32 v7, null, v6, v6, 1.0
	v_div_scale_f32 v13, vcc_lo, 1.0, v6, 1.0
	v_rcp_f32_e32 v11, v7
	s_waitcnt_depctr 0xfff
	v_fma_f32 v12, -v7, v11, 1.0
	s_delay_alu instid0(VALU_DEP_1) | instskip(NEXT) | instid1(VALU_DEP_1)
	v_fmac_f32_e32 v11, v12, v11
	v_mul_f32_e32 v12, v13, v11
	s_delay_alu instid0(VALU_DEP_1) | instskip(NEXT) | instid1(VALU_DEP_1)
	v_fma_f32 v18, -v7, v12, v13
	v_fmac_f32_e32 v12, v18, v11
	s_delay_alu instid0(VALU_DEP_1) | instskip(NEXT) | instid1(VALU_DEP_1)
	v_fma_f32 v7, -v7, v12, v13
	v_div_fmas_f32 v7, v7, v11, v12
	s_delay_alu instid0(VALU_DEP_1) | instskip(SKIP_1) | instid1(VALU_DEP_1)
	v_div_fixup_f32 v6, v7, v6, 1.0
	s_waitcnt vmcnt(0)
	v_mul_f32_e32 v7, v10, v6
	global_store_b32 v[4:5], v7, off
	global_load_b32 v7, v[8:9], off
	s_waitcnt vmcnt(0)
	v_mul_f32_e32 v6, v6, v7
	global_store_b32 v[8:9], v6, off
	s_clause 0x2
	global_load_b32 v6, v[0:1], off
	global_load_b32 v7, v[26:27], off
	;; [unrolled: 1-line block ×3, first 2 shown]
	s_waitcnt vmcnt(0)
	v_fmac_f32_e32 v6, v7, v10
	global_store_b32 v[0:1], v6, off
	s_clause 0x2
	global_load_b32 v6, v[2:3], off
	global_load_b32 v7, v[26:27], off
	;; [unrolled: 1-line block ×3, first 2 shown]
	s_waitcnt vmcnt(0)
	v_fmac_f32_e32 v6, v7, v10
	global_store_b32 v[2:3], v6, off
	s_clause 0x2
	global_load_b32 v6, v[32:33], off
	global_load_b32 v7, v[26:27], off
	global_load_b32 v10, v[0:1], off
	s_waitcnt vmcnt(1)
	v_fma_f32 v6, -v7, v6, 1.0
	s_delay_alu instid0(VALU_DEP_1) | instskip(SKIP_1) | instid1(VALU_DEP_2)
	v_div_scale_f32 v7, null, v6, v6, 1.0
	v_div_scale_f32 v13, vcc_lo, 1.0, v6, 1.0
	v_rcp_f32_e32 v11, v7
	s_waitcnt_depctr 0xfff
	v_fma_f32 v12, -v7, v11, 1.0
	s_delay_alu instid0(VALU_DEP_1) | instskip(NEXT) | instid1(VALU_DEP_1)
	v_fmac_f32_e32 v11, v12, v11
	v_mul_f32_e32 v12, v13, v11
	s_delay_alu instid0(VALU_DEP_1) | instskip(NEXT) | instid1(VALU_DEP_1)
	v_fma_f32 v14, -v7, v12, v13
	v_fmac_f32_e32 v12, v14, v11
	s_delay_alu instid0(VALU_DEP_1) | instskip(NEXT) | instid1(VALU_DEP_1)
	v_fma_f32 v7, -v7, v12, v13
	v_div_fmas_f32 v7, v7, v11, v12
	s_delay_alu instid0(VALU_DEP_1) | instskip(SKIP_1) | instid1(VALU_DEP_1)
	v_div_fixup_f32 v6, v7, v6, 1.0
	s_waitcnt vmcnt(0)
	v_mul_f32_e32 v7, v10, v6
	global_store_b32 v[0:1], v7, off
	global_load_b32 v7, v[2:3], off
	s_waitcnt vmcnt(0)
	v_mul_f32_e32 v6, v6, v7
	global_store_b32 v[2:3], v6, off
	s_clause 0x2
	global_load_b32 v6, v[8:9], off
	global_load_b32 v7, v[4:5], off
	;; [unrolled: 1-line block ×3, first 2 shown]
	s_waitcnt vmcnt(0)
	v_fmac_f32_e32 v7, v6, v0
	global_store_b32 v[4:5], v7, off
	s_clause 0x1
	global_load_b32 v0, v[8:9], off
	global_load_b32 v1, v[2:3], off
	s_waitcnt vmcnt(0)
	v_fma_f32 v0, -v0, v1, 1.0
	s_delay_alu instid0(VALU_DEP_1) | instskip(NEXT) | instid1(VALU_DEP_1)
	v_div_scale_f32 v1, null, v0, v0, 1.0
	v_rcp_f32_e32 v2, v1
	s_waitcnt_depctr 0xfff
	v_fma_f32 v3, -v1, v2, 1.0
	s_delay_alu instid0(VALU_DEP_1) | instskip(SKIP_1) | instid1(VALU_DEP_1)
	v_fmac_f32_e32 v2, v3, v2
	v_div_scale_f32 v3, vcc_lo, 1.0, v0, 1.0
	v_mul_f32_e32 v6, v3, v2
	s_delay_alu instid0(VALU_DEP_1) | instskip(NEXT) | instid1(VALU_DEP_1)
	v_fma_f32 v8, -v1, v6, v3
	v_fmac_f32_e32 v6, v8, v2
	s_delay_alu instid0(VALU_DEP_1) | instskip(NEXT) | instid1(VALU_DEP_1)
	v_fma_f32 v1, -v1, v6, v3
	v_div_fmas_f32 v1, v1, v2, v6
	s_delay_alu instid0(VALU_DEP_1) | instskip(NEXT) | instid1(VALU_DEP_1)
	v_div_fixup_f32 v0, v1, v0, 1.0
	v_mul_f32_e32 v0, v7, v0
	global_store_b32 v[4:5], v0, off
	s_nop 0
	s_sendmsg sendmsg(MSG_DEALLOC_VGPRS)
	s_endpgm
	.section	.rodata,"a",@progbits
	.p2align	6, 0x0
	.amdhsa_kernel _Z12qssab_kernelIfEvPT_S1_S1_
		.amdhsa_group_segment_fixed_size 0
		.amdhsa_private_segment_fixed_size 0
		.amdhsa_kernarg_size 280
		.amdhsa_user_sgpr_count 15
		.amdhsa_user_sgpr_dispatch_ptr 0
		.amdhsa_user_sgpr_queue_ptr 0
		.amdhsa_user_sgpr_kernarg_segment_ptr 1
		.amdhsa_user_sgpr_dispatch_id 0
		.amdhsa_user_sgpr_private_segment_size 0
		.amdhsa_wavefront_size32 1
		.amdhsa_uses_dynamic_stack 0
		.amdhsa_enable_private_segment 0
		.amdhsa_system_sgpr_workgroup_id_x 1
		.amdhsa_system_sgpr_workgroup_id_y 0
		.amdhsa_system_sgpr_workgroup_id_z 0
		.amdhsa_system_sgpr_workgroup_info 0
		.amdhsa_system_vgpr_workitem_id 0
		.amdhsa_next_free_vgpr 59
		.amdhsa_next_free_sgpr 16
		.amdhsa_reserve_vcc 1
		.amdhsa_float_round_mode_32 0
		.amdhsa_float_round_mode_16_64 0
		.amdhsa_float_denorm_mode_32 3
		.amdhsa_float_denorm_mode_16_64 3
		.amdhsa_dx10_clamp 1
		.amdhsa_ieee_mode 1
		.amdhsa_fp16_overflow 0
		.amdhsa_workgroup_processor_mode 1
		.amdhsa_memory_ordered 1
		.amdhsa_forward_progress 0
		.amdhsa_shared_vgpr_count 0
		.amdhsa_exception_fp_ieee_invalid_op 0
		.amdhsa_exception_fp_denorm_src 0
		.amdhsa_exception_fp_ieee_div_zero 0
		.amdhsa_exception_fp_ieee_overflow 0
		.amdhsa_exception_fp_ieee_underflow 0
		.amdhsa_exception_fp_ieee_inexact 0
		.amdhsa_exception_int_div_zero 0
	.end_amdhsa_kernel
	.section	.text._Z12qssab_kernelIfEvPT_S1_S1_,"axG",@progbits,_Z12qssab_kernelIfEvPT_S1_S1_,comdat
.Lfunc_end17:
	.size	_Z12qssab_kernelIfEvPT_S1_S1_, .Lfunc_end17-_Z12qssab_kernelIfEvPT_S1_S1_
                                        ; -- End function
	.section	.AMDGPU.csdata,"",@progbits
; Kernel info:
; codeLenInByte = 8032
; NumSgprs: 18
; NumVgprs: 59
; ScratchSize: 0
; MemoryBound: 1
; FloatMode: 240
; IeeeMode: 1
; LDSByteSize: 0 bytes/workgroup (compile time only)
; SGPRBlocks: 2
; VGPRBlocks: 7
; NumSGPRsForWavesPerEU: 18
; NumVGPRsForWavesPerEU: 59
; Occupancy: 16
; WaveLimiterHint : 1
; COMPUTE_PGM_RSRC2:SCRATCH_EN: 0
; COMPUTE_PGM_RSRC2:USER_SGPR: 15
; COMPUTE_PGM_RSRC2:TRAP_HANDLER: 0
; COMPUTE_PGM_RSRC2:TGID_X_EN: 1
; COMPUTE_PGM_RSRC2:TGID_Y_EN: 0
; COMPUTE_PGM_RSRC2:TGID_Z_EN: 0
; COMPUTE_PGM_RSRC2:TIDIG_COMP_CNT: 0
	.section	.text._Z12qssa2_kernelIfEvPT_S1_PKS0_,"axG",@progbits,_Z12qssa2_kernelIfEvPT_S1_PKS0_,comdat
	.protected	_Z12qssa2_kernelIfEvPT_S1_PKS0_ ; -- Begin function _Z12qssa2_kernelIfEvPT_S1_PKS0_
	.globl	_Z12qssa2_kernelIfEvPT_S1_PKS0_
	.p2align	8
	.type	_Z12qssa2_kernelIfEvPT_S1_PKS0_,@function
_Z12qssa2_kernelIfEvPT_S1_PKS0_:        ; @_Z12qssa2_kernelIfEvPT_S1_PKS0_
; %bb.0:
	s_clause 0x2
	s_load_b32 s2, s[0:1], 0x24
	s_load_b32 s6, s[0:1], 0x18
	s_load_b64 s[4:5], s[0:1], 0x10
	s_waitcnt lgkmcnt(0)
	s_and_b32 s2, s2, 0xffff
	s_delay_alu instid0(SALU_CYCLE_1)
	s_mul_i32 s6, s6, s2
	s_mul_i32 s15, s15, s2
	;; [unrolled: 1-line block ×3, first 2 shown]
	s_lshl_b32 s8, s6, 2
	v_mov_b32_e32 v1, 0
	v_add3_u32 v0, s2, s15, v0
	s_mul_i32 s7, s6, -5
	s_mul_i32 s9, s6, 3
	s_load_b128 s[0:3], s[0:1], 0x0
	s_delay_alu instid0(VALU_DEP_1) | instskip(SKIP_1) | instid1(VALU_DEP_2)
	v_mad_u64_u32 v[2:3], null, s6, -11, v[0:1]
	v_lshlrev_b64 v[40:41], 2, v[0:1]
	v_add_nc_u32_e32 v0, s8, v2
	s_delay_alu instid0(VALU_DEP_2) | instskip(NEXT) | instid1(VALU_DEP_3)
	v_add_co_u32 v42, vcc_lo, s4, v40
	v_add_co_ci_u32_e32 v43, vcc_lo, s5, v41, vcc_lo
	s_delay_alu instid0(VALU_DEP_3) | instskip(SKIP_2) | instid1(VALU_DEP_3)
	v_mad_u64_u32 v[10:11], null, s6, 40, v[0:1]
	v_lshlrev_b64 v[34:35], 2, v[0:1]
	v_mov_b32_e32 v3, v1
	v_dual_mov_b32 v11, v1 :: v_dual_add_nc_u32 v0, s8, v10
	s_delay_alu instid0(VALU_DEP_2) | instskip(NEXT) | instid1(VALU_DEP_2)
	v_lshlrev_b64 v[2:3], 2, v[2:3]
	v_lshlrev_b64 v[24:25], 2, v[10:11]
	s_delay_alu instid0(VALU_DEP_3) | instskip(SKIP_1) | instid1(VALU_DEP_4)
	v_lshlrev_b64 v[4:5], 2, v[0:1]
	v_subrev_nc_u32_e32 v0, s6, v0
	v_add_co_u32 v2, vcc_lo, s4, v2
	v_add_co_ci_u32_e32 v3, vcc_lo, s5, v3, vcc_lo
	s_delay_alu instid0(VALU_DEP_3) | instskip(SKIP_3) | instid1(VALU_DEP_4)
	v_mad_u64_u32 v[14:15], null, 0xffffffc6, s6, v[0:1]
	v_lshlrev_b64 v[6:7], 2, v[0:1]
	v_add_co_u32 v47, vcc_lo, s4, v34
	v_add_co_ci_u32_e32 v48, vcc_lo, s5, v35, vcc_lo
	v_dual_mov_b32 v15, v1 :: v_dual_add_nc_u32 v0, s8, v14
	v_add_co_u32 v49, vcc_lo, s4, v24
	v_add_co_ci_u32_e32 v50, vcc_lo, s5, v25, vcc_lo
	s_delay_alu instid0(VALU_DEP_3) | instskip(SKIP_4) | instid1(VALU_DEP_4)
	v_lshlrev_b64 v[16:17], 2, v[0:1]
	v_subrev_nc_u32_e32 v0, s6, v0
	v_add_co_u32 v51, vcc_lo, s4, v4
	v_lshlrev_b64 v[18:19], 2, v[14:15]
	v_add_co_ci_u32_e32 v52, vcc_lo, s5, v5, vcc_lo
	v_lshlrev_b64 v[22:23], 2, v[0:1]
	v_add_nc_u32_e32 v0, s8, v0
	v_add_co_u32 v53, vcc_lo, s4, v6
	v_add_co_ci_u32_e32 v54, vcc_lo, s5, v7, vcc_lo
	s_delay_alu instid0(VALU_DEP_3)
	v_mad_u64_u32 v[26:27], null, 0xffffffee, s6, v[0:1]
	v_lshlrev_b64 v[28:29], 2, v[0:1]
	v_mov_b32_e32 v27, v1
	v_add_co_u32 v55, vcc_lo, s4, v18
	v_add_co_ci_u32_e32 v56, vcc_lo, s5, v19, vcc_lo
	v_add_nc_u32_e32 v0, s8, v26
	v_add_co_u32 v57, vcc_lo, s4, v16
	v_add_co_ci_u32_e32 v58, vcc_lo, s5, v17, vcc_lo
	s_delay_alu instid0(VALU_DEP_3) | instskip(SKIP_1) | instid1(VALU_DEP_1)
	v_lshlrev_b64 v[30:31], 2, v[0:1]
	v_subrev_nc_u32_e32 v0, s6, v0
	v_lshlrev_b64 v[32:33], 2, v[0:1]
	v_add_nc_u32_e32 v0, s8, v0
	s_delay_alu instid0(VALU_DEP_1) | instskip(SKIP_1) | instid1(VALU_DEP_1)
	v_lshlrev_b64 v[36:37], 2, v[0:1]
	v_add_nc_u32_e32 v0, s7, v0
	v_mad_u64_u32 v[44:45], null, 0x4b, s6, v[0:1]
	v_lshlrev_b64 v[45:46], 2, v[0:1]
	s_delay_alu instid0(VALU_DEP_2) | instskip(NEXT) | instid1(VALU_DEP_1)
	v_add_nc_u32_e32 v0, s8, v44
	v_lshlrev_b64 v[8:9], 2, v[0:1]
	v_subrev_nc_u32_e32 v0, s6, v0
	s_delay_alu instid0(VALU_DEP_1)
	v_mad_u64_u32 v[38:39], null, 0xffffffe7, s6, v[0:1]
	s_clause 0x7
	global_load_b32 v70, v[42:43], off
	global_load_b32 v71, v[2:3], off
	;; [unrolled: 1-line block ×8, first 2 shown]
	v_lshlrev_b64 v[10:11], 2, v[0:1]
	s_waitcnt vmcnt(5)
	v_dual_fmac_f32 v71, v70, v39 :: v_dual_add_nc_u32 v0, s9, v38
	s_waitcnt vmcnt(3)
	v_fmac_f32_e32 v68, v70, v47
	s_waitcnt vmcnt(0)
	v_fmac_f32_e32 v72, v70, v49
	v_lshlrev_b64 v[12:13], 2, v[0:1]
	v_add_nc_u32_e32 v0, s8, v0
	v_fmac_f32_e32 v68, v71, v48
	s_delay_alu instid0(VALU_DEP_2) | instskip(SKIP_2) | instid1(VALU_DEP_1)
	v_lshlrev_b64 v[14:15], 2, v[0:1]
	v_add_nc_u32_e32 v0, s7, v0
	s_lshl_b32 s7, s6, 1
	v_mad_u64_u32 v[20:21], null, s6, 31, v[0:1]
	v_lshlrev_b64 v[18:19], 2, v[0:1]
	v_add_co_u32 v21, vcc_lo, s4, v22
	v_add_co_ci_u32_e32 v22, vcc_lo, s5, v23, vcc_lo
	s_delay_alu instid0(VALU_DEP_4) | instskip(NEXT) | instid1(VALU_DEP_1)
	v_add_nc_u32_e32 v0, s8, v20
	v_lshlrev_b64 v[16:17], 2, v[0:1]
	v_add_nc_u32_e32 v0, s9, v0
	s_delay_alu instid0(VALU_DEP_1)
	v_mad_u64_u32 v[42:43], null, 0xffffffcd, s6, v[0:1]
	global_load_b32 v43, v[21:22], off
	v_lshlrev_b64 v[21:22], 2, v[26:27]
	v_add_co_u32 v26, vcc_lo, s4, v28
	v_lshlrev_b64 v[2:3], 2, v[0:1]
	v_add_co_ci_u32_e32 v27, vcc_lo, s5, v29, vcc_lo
	v_add_nc_u32_e32 v0, s9, v42
	v_add_co_u32 v28, vcc_lo, s4, v21
	v_add_co_ci_u32_e32 v29, vcc_lo, s5, v22, vcc_lo
	s_delay_alu instid0(VALU_DEP_3)
	v_mad_u64_u32 v[21:22], null, s6, 52, v[0:1]
	v_add_co_u32 v30, vcc_lo, s4, v30
	v_add_co_ci_u32_e32 v31, vcc_lo, s5, v31, vcc_lo
	v_add_co_u32 v32, vcc_lo, s4, v32
	v_add_co_ci_u32_e32 v33, vcc_lo, s5, v33, vcc_lo
	v_lshlrev_b64 v[22:23], 2, v[0:1]
	v_lshl_add_u32 v0, s6, 3, v21
	s_clause 0x2
	global_load_b32 v73, v[28:29], off
	global_load_b32 v50, v[30:31], off
	;; [unrolled: 1-line block ×3, first 2 shown]
	v_add_co_u32 v28, vcc_lo, s4, v36
	v_add_co_ci_u32_e32 v29, vcc_lo, s5, v37, vcc_lo
	v_mad_u64_u32 v[30:31], null, 0xffffffac, s6, v[0:1]
	v_mov_b32_e32 v31, v1
	v_add_co_u32 v32, vcc_lo, s4, v45
	v_add_co_ci_u32_e32 v33, vcc_lo, s5, v46, vcc_lo
	v_mov_b32_e32 v45, v1
	s_delay_alu instid0(VALU_DEP_4)
	v_lshlrev_b64 v[36:37], 2, v[30:31]
	s_clause 0x2
	global_load_b32 v31, v[26:27], off
	global_load_b32 v46, v[28:29], off
	;; [unrolled: 1-line block ×3, first 2 shown]
	v_lshlrev_b64 v[28:29], 2, v[44:45]
	s_waitcnt lgkmcnt(0)
	v_add_co_u32 v32, vcc_lo, s0, v36
	v_add_co_ci_u32_e32 v33, vcc_lo, s1, v37, vcc_lo
	s_delay_alu instid0(VALU_DEP_3) | instskip(NEXT) | instid1(VALU_DEP_4)
	v_add_co_u32 v26, vcc_lo, s4, v28
	v_add_co_ci_u32_e32 v27, vcc_lo, s5, v29, vcc_lo
	global_load_b32 v36, v[32:33], off
	global_load_b32 v69, v[26:27], off
	v_lshlrev_b64 v[26:27], 2, v[0:1]
	s_waitcnt vmcnt(6)
	v_dual_fmac_f32 v72, v71, v43 :: v_dual_fmac_f32 v73, v70, v50
	s_waitcnt vmcnt(5)
	s_delay_alu instid0(VALU_DEP_1) | instskip(SKIP_1) | instid1(VALU_DEP_2)
	v_fmac_f32_e32 v73, v71, v51
	s_waitcnt vmcnt(4)
	v_fmac_f32_e32 v72, v68, v31
	s_waitcnt vmcnt(3)
	s_delay_alu instid0(VALU_DEP_2) | instskip(SKIP_1) | instid1(VALU_DEP_1)
	v_fmac_f32_e32 v73, v68, v46
	s_waitcnt vmcnt(2)
	v_dual_fmac_f32 v73, v72, v52 :: v_dual_add_nc_u32 v0, s6, v30
	s_delay_alu instid0(VALU_DEP_1) | instskip(SKIP_2) | instid1(VALU_DEP_3)
	v_lshlrev_b64 v[30:31], 2, v[0:1]
	v_add_nc_u32_e32 v0, s6, v0
	s_waitcnt vmcnt(1)
	v_mul_f32_e32 v39, v73, v36
	s_delay_alu instid0(VALU_DEP_3) | instskip(NEXT) | instid1(VALU_DEP_4)
	v_add_co_u32 v36, vcc_lo, s0, v30
	v_add_co_ci_u32_e32 v37, vcc_lo, s1, v31, vcc_lo
	global_store_b32 v[32:33], v39, off
	v_lshlrev_b64 v[32:33], 2, v[0:1]
	v_add_nc_u32_e32 v0, s7, v0
	global_load_b32 v39, v[36:37], off
	v_add_co_u32 v43, vcc_lo, s0, v32
	v_add_co_ci_u32_e32 v44, vcc_lo, s1, v33, vcc_lo
	v_add_co_u32 v34, vcc_lo, s0, v34
	v_add_co_ci_u32_e32 v35, vcc_lo, s1, v35, vcc_lo
	s_waitcnt vmcnt(0)
	v_mul_f32_e32 v39, v73, v39
	global_store_b32 v[36:37], v39, off
	global_load_b32 v36, v[43:44], off
	s_waitcnt vmcnt(0)
	v_mul_f32_e32 v36, v73, v36
	global_store_b32 v[43:44], v36, off
	global_load_b32 v39, v[34:35], off
	v_lshlrev_b64 v[36:37], 2, v[0:1]
	v_add_nc_u32_e32 v0, s6, v0
	s_delay_alu instid0(VALU_DEP_2) | instskip(NEXT) | instid1(VALU_DEP_3)
	v_add_co_u32 v43, vcc_lo, s0, v36
	v_add_co_ci_u32_e32 v44, vcc_lo, s1, v37, vcc_lo
	s_waitcnt vmcnt(0)
	v_mul_f32_e32 v39, v73, v39
	global_store_b32 v[34:35], v39, off
	global_load_b32 v39, v[43:44], off
	v_lshlrev_b64 v[34:35], 2, v[0:1]
	v_add_nc_u32_e32 v0, s6, v0
	s_delay_alu instid0(VALU_DEP_2) | instskip(NEXT) | instid1(VALU_DEP_3)
	v_add_co_u32 v45, vcc_lo, s0, v34
	v_add_co_ci_u32_e32 v46, vcc_lo, s1, v35, vcc_lo
	s_delay_alu instid0(VALU_DEP_3)
	v_lshlrev_b64 v[34:35], 2, v[0:1]
	s_waitcnt vmcnt(0)
	v_dual_mul_f32 v39, v73, v39 :: v_dual_add_nc_u32 v0, s6, v0
	global_store_b32 v[43:44], v39, off
	global_load_b32 v39, v[45:46], off
	v_add_co_u32 v43, vcc_lo, s0, v34
	v_add_co_ci_u32_e32 v44, vcc_lo, s1, v35, vcc_lo
	s_waitcnt vmcnt(0)
	v_mul_f32_e32 v39, v73, v39
	global_store_b32 v[45:46], v39, off
	global_load_b32 v39, v[43:44], off
	v_lshlrev_b64 v[45:46], 2, v[0:1]
	v_add_nc_u32_e32 v0, s6, v0
	s_delay_alu instid0(VALU_DEP_2) | instskip(NEXT) | instid1(VALU_DEP_3)
	v_add_co_u32 v45, vcc_lo, s0, v45
	v_add_co_ci_u32_e32 v46, vcc_lo, s1, v46, vcc_lo
	s_waitcnt vmcnt(0)
	v_mul_f32_e32 v39, v73, v39
	global_store_b32 v[43:44], v39, off
	global_load_b32 v39, v[45:46], off
	v_lshlrev_b64 v[43:44], 2, v[0:1]
	v_add_nc_u32_e32 v0, s6, v0
	s_delay_alu instid0(VALU_DEP_2) | instskip(NEXT) | instid1(VALU_DEP_3)
	;; [unrolled: 9-line block ×3, first 2 shown]
	v_add_co_u32 v45, vcc_lo, s0, v45
	v_add_co_ci_u32_e32 v46, vcc_lo, s1, v46, vcc_lo
	s_waitcnt vmcnt(0)
	v_mul_f32_e32 v39, v70, v39
	global_store_b32 v[43:44], v39, off
	global_load_b32 v39, v[45:46], off
	s_waitcnt vmcnt(0)
	v_mul_f32_e32 v43, v70, v39
	v_add_co_u32 v39, vcc_lo, s0, v40
	v_add_co_ci_u32_e32 v40, vcc_lo, s1, v41, vcc_lo
	global_store_b32 v[45:46], v43, off
	v_lshlrev_b64 v[43:44], 2, v[0:1]
	global_load_b32 v41, v[39:40], off
	v_add_co_u32 v43, vcc_lo, s0, v43
	v_add_co_ci_u32_e32 v44, vcc_lo, s1, v44, vcc_lo
	s_waitcnt vmcnt(0)
	v_mul_f32_e32 v41, v70, v41
	global_store_b32 v[39:40], v41, off
	global_load_b32 v41, v[43:44], off
	s_waitcnt vmcnt(0)
	v_dual_mul_f32 v41, v70, v41 :: v_dual_add_nc_u32 v0, s6, v0
	global_store_b32 v[43:44], v41, off
	v_lshlrev_b64 v[39:40], 2, v[0:1]
	v_add_nc_u32_e32 v0, s6, v0
	s_delay_alu instid0(VALU_DEP_2) | instskip(NEXT) | instid1(VALU_DEP_3)
	v_add_co_u32 v39, vcc_lo, s0, v39
	v_add_co_ci_u32_e32 v40, vcc_lo, s1, v40, vcc_lo
	s_delay_alu instid0(VALU_DEP_3)
	v_lshlrev_b64 v[43:44], 2, v[0:1]
	v_add_nc_u32_e32 v0, s6, v0
	global_load_b32 v41, v[39:40], off
	v_add_co_u32 v43, vcc_lo, s0, v43
	v_add_co_ci_u32_e32 v44, vcc_lo, s1, v44, vcc_lo
	s_waitcnt vmcnt(0)
	v_mul_f32_e32 v41, v70, v41
	global_store_b32 v[39:40], v41, off
	global_load_b32 v41, v[43:44], off
	v_lshlrev_b64 v[39:40], 2, v[0:1]
	v_add_nc_u32_e32 v0, s6, v0
	s_delay_alu instid0(VALU_DEP_2) | instskip(NEXT) | instid1(VALU_DEP_3)
	v_add_co_u32 v39, vcc_lo, s0, v39
	v_add_co_ci_u32_e32 v40, vcc_lo, s1, v40, vcc_lo
	s_waitcnt vmcnt(0)
	v_mul_f32_e32 v41, v70, v41
	global_store_b32 v[43:44], v41, off
	global_load_b32 v41, v[39:40], off
	v_lshlrev_b64 v[43:44], 2, v[0:1]
	v_add_nc_u32_e32 v0, s6, v0
	s_delay_alu instid0(VALU_DEP_2) | instskip(NEXT) | instid1(VALU_DEP_3)
	v_add_co_u32 v46, vcc_lo, s0, v43
	v_add_co_ci_u32_e32 v47, vcc_lo, s1, v44, vcc_lo
	s_delay_alu instid0(VALU_DEP_3) | instskip(SKIP_1) | instid1(VALU_DEP_1)
	v_lshlrev_b64 v[44:45], 2, v[0:1]
	v_dual_mov_b32 v43, v1 :: v_dual_add_nc_u32 v0, s6, v0
	v_lshlrev_b64 v[64:65], 2, v[42:43]
	s_waitcnt vmcnt(0)
	v_mul_f32_e32 v41, v72, v41
	global_store_b32 v[39:40], v41, off
	global_load_b32 v39, v[46:47], off
	s_waitcnt vmcnt(0)
	v_mul_f32_e32 v41, v72, v39
	v_add_co_u32 v39, vcc_lo, s0, v44
	v_add_co_ci_u32_e32 v40, vcc_lo, s1, v45, vcc_lo
	global_store_b32 v[46:47], v41, off
	v_lshlrev_b64 v[46:47], 2, v[0:1]
	v_add_nc_u32_e32 v0, s6, v0
	global_load_b32 v41, v[39:40], off
	v_add_co_u32 v48, vcc_lo, s0, v46
	v_add_co_ci_u32_e32 v49, vcc_lo, s1, v47, vcc_lo
	s_waitcnt vmcnt(0)
	v_mul_f32_e32 v41, v72, v41
	global_store_b32 v[39:40], v41, off
	global_load_b32 v41, v[48:49], off
	v_lshlrev_b64 v[39:40], 2, v[0:1]
	v_add_nc_u32_e32 v0, s6, v0
	s_delay_alu instid0(VALU_DEP_2) | instskip(NEXT) | instid1(VALU_DEP_3)
	v_add_co_u32 v39, vcc_lo, s0, v39
	v_add_co_ci_u32_e32 v40, vcc_lo, s1, v40, vcc_lo
	s_waitcnt vmcnt(0)
	v_mul_f32_e32 v41, v72, v41
	global_store_b32 v[48:49], v41, off
	global_load_b32 v41, v[39:40], off
	v_lshlrev_b64 v[48:49], 2, v[0:1]
	v_add_nc_u32_e32 v0, s6, v0
	s_delay_alu instid0(VALU_DEP_2) | instskip(NEXT) | instid1(VALU_DEP_3)
	v_add_co_u32 v50, vcc_lo, s0, v48
	v_add_co_ci_u32_e32 v51, vcc_lo, s1, v49, vcc_lo
	s_delay_alu instid0(VALU_DEP_3)
	v_lshlrev_b64 v[48:49], 2, v[0:1]
	s_waitcnt vmcnt(0)
	v_dual_mul_f32 v41, v72, v41 :: v_dual_add_nc_u32 v0, s7, v0
	global_store_b32 v[39:40], v41, off
	global_load_b32 v39, v[50:51], off
	s_waitcnt vmcnt(0)
	v_mul_f32_e32 v41, v72, v39
	v_add_co_u32 v39, vcc_lo, s0, v48
	v_add_co_ci_u32_e32 v40, vcc_lo, s1, v49, vcc_lo
	global_store_b32 v[50:51], v41, off
	global_load_b32 v41, v[39:40], off
	s_waitcnt vmcnt(0)
	v_mul_f32_e32 v43, v72, v41
	v_add_co_u32 v41, vcc_lo, s0, v64
	v_add_co_ci_u32_e32 v42, vcc_lo, s1, v65, vcc_lo
	global_store_b32 v[39:40], v43, off
	v_lshlrev_b64 v[39:40], 2, v[0:1]
	v_add_nc_u32_e32 v0, s9, v0
	global_load_b32 v43, v[41:42], off
	v_add_co_u32 v39, vcc_lo, s0, v39
	v_add_co_ci_u32_e32 v40, vcc_lo, s1, v40, vcc_lo
	v_lshlrev_b64 v[50:51], 2, v[0:1]
	v_add_nc_u32_e32 v0, s6, v0
	s_delay_alu instid0(VALU_DEP_1)
	v_lshlrev_b64 v[52:53], 2, v[0:1]
	s_waitcnt vmcnt(0)
	v_dual_mul_f32 v43, v72, v43 :: v_dual_add_nc_u32 v0, s6, v0
	global_store_b32 v[41:42], v43, off
	global_load_b32 v41, v[39:40], off
	s_waitcnt vmcnt(0)
	v_mul_f32_e32 v43, v72, v41
	v_add_co_u32 v41, vcc_lo, s0, v50
	v_add_co_ci_u32_e32 v42, vcc_lo, s1, v51, vcc_lo
	global_store_b32 v[39:40], v43, off
	global_load_b32 v39, v[41:42], off
	s_waitcnt vmcnt(0)
	v_mul_f32_e32 v43, v71, v39
	v_add_co_u32 v39, vcc_lo, s0, v52
	v_add_co_ci_u32_e32 v40, vcc_lo, s1, v53, vcc_lo
	global_store_b32 v[41:42], v43, off
	v_lshlrev_b64 v[41:42], 2, v[0:1]
	v_add_nc_u32_e32 v0, s6, v0
	global_load_b32 v43, v[39:40], off
	v_add_co_u32 v41, vcc_lo, s0, v41
	v_add_co_ci_u32_e32 v42, vcc_lo, s1, v42, vcc_lo
	v_lshlrev_b64 v[58:59], 2, v[0:1]
	s_waitcnt vmcnt(0)
	v_dual_mul_f32 v43, v71, v43 :: v_dual_add_nc_u32 v0, s6, v0
	global_store_b32 v[39:40], v43, off
	global_load_b32 v39, v[41:42], off
	s_waitcnt vmcnt(0)
	v_mul_f32_e32 v43, v71, v39
	v_add_co_u32 v39, vcc_lo, s0, v58
	v_add_co_ci_u32_e32 v40, vcc_lo, s1, v59, vcc_lo
	global_store_b32 v[41:42], v43, off
	v_lshlrev_b64 v[41:42], 2, v[0:1]
	v_add_nc_u32_e32 v0, s6, v0
	global_load_b32 v43, v[39:40], off
	v_add_co_u32 v41, vcc_lo, s0, v41
	v_add_co_ci_u32_e32 v42, vcc_lo, s1, v42, vcc_lo
	s_waitcnt vmcnt(0)
	v_mul_f32_e32 v43, v71, v43
	global_store_b32 v[39:40], v43, off
	global_load_b32 v43, v[41:42], off
	v_lshlrev_b64 v[39:40], 2, v[0:1]
	v_add_nc_u32_e32 v0, s6, v0
	s_delay_alu instid0(VALU_DEP_2) | instskip(NEXT) | instid1(VALU_DEP_3)
	v_add_co_u32 v39, vcc_lo, s0, v39
	v_add_co_ci_u32_e32 v40, vcc_lo, s1, v40, vcc_lo
	s_waitcnt vmcnt(0)
	v_mul_f32_e32 v43, v71, v43
	global_store_b32 v[41:42], v43, off
	global_load_b32 v43, v[39:40], off
	v_lshlrev_b64 v[41:42], 2, v[0:1]
	v_add_nc_u32_e32 v0, s7, v0
	s_delay_alu instid0(VALU_DEP_2) | instskip(NEXT) | instid1(VALU_DEP_3)
	v_add_co_u32 v41, vcc_lo, s0, v41
	v_add_co_ci_u32_e32 v42, vcc_lo, s1, v42, vcc_lo
	s_delay_alu instid0(VALU_DEP_3)
	v_lshlrev_b64 v[62:63], 2, v[0:1]
	s_waitcnt vmcnt(0)
	v_dual_mul_f32 v43, v71, v43 :: v_dual_add_nc_u32 v0, s9, v0
	global_store_b32 v[39:40], v43, off
	global_load_b32 v40, v[41:42], off
	v_mov_b32_e32 v39, v1
	s_delay_alu instid0(VALU_DEP_1) | instskip(NEXT) | instid1(VALU_DEP_1)
	v_lshlrev_b64 v[38:39], 2, v[38:39]
	v_add_co_u32 v54, vcc_lo, s0, v38
	s_delay_alu instid0(VALU_DEP_2)
	v_add_co_ci_u32_e32 v55, vcc_lo, s1, v39, vcc_lo
	s_waitcnt vmcnt(0)
	v_mul_f32_e32 v40, v71, v40
	global_store_b32 v[41:42], v40, off
	global_load_b32 v40, v[54:55], off
	s_waitcnt vmcnt(0)
	v_mul_f32_e32 v42, v71, v40
	v_add_co_u32 v40, vcc_lo, s0, v62
	v_add_co_ci_u32_e32 v41, vcc_lo, s1, v63, vcc_lo
	global_store_b32 v[54:55], v42, off
	global_load_b32 v42, v[40:41], off
	s_waitcnt vmcnt(0)
	v_mul_f32_e32 v54, v71, v42
	v_add_co_u32 v42, vcc_lo, s0, v18
	v_add_co_ci_u32_e32 v43, vcc_lo, s1, v19, vcc_lo
	;; [unrolled: 6-line block ×3, first 2 shown]
	global_store_b32 v[42:43], v54, off
	v_lshlrev_b64 v[42:43], 2, v[0:1]
	v_add_nc_u32_e32 v0, s6, v0
	global_load_b32 v54, v[40:41], off
	v_add_co_u32 v42, vcc_lo, s0, v42
	v_add_co_ci_u32_e32 v43, vcc_lo, s1, v43, vcc_lo
	v_add_co_u32 v74, vcc_lo, s0, v24
	v_add_co_ci_u32_e32 v75, vcc_lo, s1, v25, vcc_lo
	v_lshlrev_b64 v[76:77], 2, v[0:1]
	v_add_nc_u32_e32 v0, s6, v0
	s_delay_alu instid0(VALU_DEP_1) | instskip(SKIP_1) | instid1(VALU_DEP_1)
	v_lshlrev_b64 v[66:67], 2, v[0:1]
	v_add_nc_u32_e32 v0, s7, v0
	v_lshlrev_b64 v[60:61], 2, v[0:1]
	v_add_nc_u32_e32 v0, s6, v0
	s_delay_alu instid0(VALU_DEP_1)
	v_lshlrev_b64 v[56:57], 2, v[0:1]
	v_add_nc_u32_e32 v0, s6, v0
	s_waitcnt vmcnt(0)
	v_mul_f32_e32 v54, v71, v54
	global_store_b32 v[40:41], v54, off
	global_load_b32 v40, v[42:43], off
	v_lshlrev_b64 v[54:55], 2, v[0:1]
	s_waitcnt vmcnt(0)
	v_mul_f32_e32 v40, v71, v40
	global_store_b32 v[42:43], v40, off
	global_load_b32 v78, v[74:75], off
	v_mad_u64_u32 v[42:43], null, s6, 6, v[0:1]
	s_delay_alu instid0(VALU_DEP_1) | instskip(NEXT) | instid1(VALU_DEP_1)
	v_add_nc_u32_e32 v0, s9, v42
	v_lshlrev_b64 v[40:41], 2, v[0:1]
	v_add_nc_u32_e32 v0, s7, v0
	s_delay_alu instid0(VALU_DEP_1) | instskip(SKIP_2) | instid1(VALU_DEP_2)
	v_lshlrev_b64 v[24:25], 2, v[0:1]
	s_waitcnt vmcnt(0)
	v_dual_mul_f32 v43, v73, v78 :: v_dual_add_nc_u32 v0, s7, v0
	v_add_co_u32 v78, vcc_lo, s0, v24
	s_delay_alu instid0(VALU_DEP_3)
	v_add_co_ci_u32_e32 v79, vcc_lo, s1, v25, vcc_lo
	global_store_b32 v[74:75], v43, off
	v_add_co_u32 v28, vcc_lo, s0, v28
	global_load_b32 v43, v[78:79], off
	v_add_co_ci_u32_e32 v29, vcc_lo, s1, v29, vcc_lo
	v_lshlrev_b64 v[74:75], 2, v[0:1]
	v_add_co_u32 v30, vcc_lo, s2, v30
	v_add_co_ci_u32_e32 v31, vcc_lo, s3, v31, vcc_lo
	v_add_nc_u32_e32 v0, s6, v0
	s_delay_alu instid0(VALU_DEP_4)
	v_add_co_u32 v74, vcc_lo, s0, v74
	v_add_co_ci_u32_e32 v75, vcc_lo, s1, v75, vcc_lo
	s_waitcnt vmcnt(0)
	v_mul_f32_e32 v43, v73, v43
	global_store_b32 v[78:79], v43, off
	global_load_b32 v43, v[28:29], off
	global_load_b32 v78, v[30:31], off
	s_waitcnt vmcnt(1)
	v_mul_f32_e32 v43, v70, v43
	s_waitcnt vmcnt(0)
	v_mul_f32_e32 v78, v70, v78
	global_store_b32 v[28:29], v43, off
	global_load_b32 v43, v[74:75], off
	v_add_co_u32 v28, vcc_lo, s2, v32
	v_add_co_ci_u32_e32 v29, vcc_lo, s3, v33, vcc_lo
	v_add_co_u32 v32, vcc_lo, s0, v10
	v_add_co_ci_u32_e32 v33, vcc_lo, s1, v11, vcc_lo
	global_store_b32 v[30:31], v78, off
	global_load_b32 v30, v[28:29], off
	v_add_co_u32 v36, vcc_lo, s2, v36
	v_add_co_ci_u32_e32 v37, vcc_lo, s3, v37, vcc_lo
	v_add_co_u32 v78, vcc_lo, s0, v8
	v_add_co_ci_u32_e32 v79, vcc_lo, s1, v9, vcc_lo
	s_waitcnt vmcnt(1)
	v_mul_f32_e32 v43, v70, v43
	global_store_b32 v[74:75], v43, off
	global_load_b32 v31, v[32:33], off
	s_waitcnt vmcnt(1)
	v_mul_f32_e32 v30, v72, v30
	global_store_b32 v[28:29], v30, off
	global_load_b32 v43, v[36:37], off
	;; [unrolled: 4-line block ×3, first 2 shown]
	v_lshlrev_b64 v[30:31], 2, v[0:1]
	v_add_nc_u32_e32 v0, s8, v0
	v_add_co_u32 v32, vcc_lo, s4, v64
	v_add_co_ci_u32_e32 v33, vcc_lo, s5, v65, vcc_lo
	v_add_co_u32 v22, vcc_lo, s4, v22
	s_delay_alu instid0(VALU_DEP_4)
	v_lshlrev_b64 v[28:29], 2, v[0:1]
	v_add_nc_u32_e32 v0, s7, v0
	v_add_co_ci_u32_e32 v23, vcc_lo, s5, v23, vcc_lo
	s_clause 0x1
	global_load_b32 v74, v[32:33], off
	global_load_b32 v80, v[22:23], off
	v_lshlrev_b64 v[22:23], 2, v[0:1]
	v_add_co_u32 v32, vcc_lo, s2, v34
	v_add_co_ci_u32_e32 v33, vcc_lo, s3, v35, vcc_lo
	s_waitcnt vmcnt(3)
	v_mul_f32_e32 v43, v70, v43
	s_delay_alu instid0(VALU_DEP_4)
	v_add_co_u32 v34, vcc_lo, s0, v22
	v_add_co_ci_u32_e32 v35, vcc_lo, s1, v23, vcc_lo
	global_store_b32 v[36:37], v43, off
	global_load_b32 v23, v[32:33], off
	v_mov_b32_e32 v22, v1
	v_add_nc_u32_e32 v0, s6, v0
	s_delay_alu instid0(VALU_DEP_2) | instskip(NEXT) | instid1(VALU_DEP_1)
	v_lshlrev_b64 v[21:22], 2, v[21:22]
	v_add_co_u32 v21, vcc_lo, s4, v21
	s_delay_alu instid0(VALU_DEP_2)
	v_add_co_ci_u32_e32 v22, vcc_lo, s5, v22, vcc_lo
	v_add_co_u32 v26, vcc_lo, s4, v26
	v_add_co_ci_u32_e32 v27, vcc_lo, s5, v27, vcc_lo
	s_waitcnt vmcnt(3)
	v_mul_f32_e32 v64, v71, v75
	global_store_b32 v[78:79], v64, off
	global_load_b32 v36, v[34:35], off
	s_clause 0x1
	global_load_b32 v64, v[21:22], off
	global_load_b32 v65, v[26:27], off
	v_lshlrev_b64 v[21:22], 2, v[0:1]
	v_add_co_u32 v26, vcc_lo, s2, v44
	v_add_co_ci_u32_e32 v27, vcc_lo, s3, v45, vcc_lo
	v_add_nc_u32_e32 v0, s6, v0
	s_waitcnt vmcnt(3)
	v_dual_fmac_f32 v74, v71, v80 :: v_dual_mul_f32 v23, v70, v23
	global_store_b32 v[32:33], v23, off
	s_waitcnt vmcnt(2)
	v_mul_f32_e32 v43, v74, v36
	v_add_co_u32 v36, vcc_lo, s0, v21
	v_add_co_ci_u32_e32 v37, vcc_lo, s1, v22, vcc_lo
	global_store_b32 v[34:35], v43, off
	global_load_b32 v21, v[26:27], off
	v_lshlrev_b64 v[22:23], 2, v[0:1]
	global_load_b32 v34, v[36:37], off
	v_add_co_u32 v32, vcc_lo, s2, v46
	v_add_co_ci_u32_e32 v33, vcc_lo, s3, v47, vcc_lo
	s_waitcnt vmcnt(1)
	v_dual_mul_f32 v21, v70, v21 :: v_dual_add_nc_u32 v0, s7, v0
	s_waitcnt vmcnt(0)
	v_mul_f32_e32 v43, v74, v34
	v_add_co_u32 v34, vcc_lo, s0, v22
	v_add_co_ci_u32_e32 v35, vcc_lo, s1, v23, vcc_lo
	global_store_b32 v[26:27], v21, off
	global_load_b32 v26, v[32:33], off
	global_store_b32 v[36:37], v43, off
	global_load_b32 v27, v[34:35], off
	v_mov_b32_e32 v21, v1
	s_delay_alu instid0(VALU_DEP_1) | instskip(SKIP_4) | instid1(VALU_DEP_4)
	v_lshlrev_b64 v[43:44], 2, v[20:21]
	v_add_co_u32 v20, vcc_lo, s2, v48
	v_add_co_ci_u32_e32 v21, vcc_lo, s3, v49, vcc_lo
	s_waitcnt vmcnt(1)
	v_mul_f32_e32 v36, v70, v26
	v_add_co_u32 v26, vcc_lo, s0, v43
	s_waitcnt vmcnt(0)
	v_mul_f32_e32 v37, v74, v27
	v_add_co_ci_u32_e32 v27, vcc_lo, s1, v44, vcc_lo
	global_store_b32 v[32:33], v36, off
	global_load_b32 v36, v[20:21], off
	global_store_b32 v[34:35], v37, off
	global_load_b32 v37, v[26:27], off
	v_lshlrev_b64 v[32:33], 2, v[0:1]
	v_add_co_u32 v34, vcc_lo, s2, v50
	v_add_co_ci_u32_e32 v35, vcc_lo, s3, v51, vcc_lo
	v_add_nc_u32_e32 v0, s6, v0
	s_delay_alu instid0(VALU_DEP_4)
	v_add_co_u32 v32, vcc_lo, s0, v32
	v_add_co_ci_u32_e32 v33, vcc_lo, s1, v33, vcc_lo
	s_waitcnt vmcnt(0)
	v_dual_mul_f32 v36, v73, v36 :: v_dual_mul_f32 v37, v74, v37
	global_store_b32 v[20:21], v36, off
	global_load_b32 v36, v[34:35], off
	global_store_b32 v[26:27], v37, off
	global_load_b32 v37, v[32:33], off
	v_lshlrev_b64 v[20:21], 2, v[0:1]
	v_add_co_u32 v26, vcc_lo, s2, v52
	v_add_co_ci_u32_e32 v27, vcc_lo, s3, v53, vcc_lo
	v_add_nc_u32_e32 v0, s8, v0
	s_delay_alu instid0(VALU_DEP_4)
	v_add_co_u32 v20, vcc_lo, s0, v20
	v_add_co_ci_u32_e32 v21, vcc_lo, s1, v21, vcc_lo
	s_waitcnt vmcnt(0)
	v_dual_mul_f32 v36, v72, v36 :: v_dual_mul_f32 v37, v74, v37
	;; [unrolled: 13-line block ×3, first 2 shown]
	global_store_b32 v[26:27], v36, off
	global_load_b32 v26, v[34:35], off
	global_store_b32 v[20:21], v37, off
	global_load_b32 v27, v[32:33], off
	v_add_co_u32 v20, vcc_lo, s2, v62
	v_add_co_ci_u32_e32 v21, vcc_lo, s3, v63, vcc_lo
	s_waitcnt vmcnt(1)
	v_mul_f32_e32 v36, v70, v26
	v_add_co_u32 v26, vcc_lo, s0, v2
	s_waitcnt vmcnt(0)
	v_mul_f32_e32 v37, v73, v27
	v_add_co_ci_u32_e32 v27, vcc_lo, s1, v3, vcc_lo
	global_store_b32 v[34:35], v36, off
	global_load_b32 v36, v[20:21], off
	global_store_b32 v[32:33], v37, off
	global_load_b32 v37, v[26:27], off
	v_lshlrev_b64 v[32:33], 2, v[0:1]
	v_add_co_u32 v34, vcc_lo, s2, v18
	v_add_co_ci_u32_e32 v35, vcc_lo, s3, v19, vcc_lo
	v_add_nc_u32_e32 v0, s6, v0
	s_delay_alu instid0(VALU_DEP_4)
	v_add_co_u32 v32, vcc_lo, s0, v32
	v_add_co_ci_u32_e32 v33, vcc_lo, s1, v33, vcc_lo
	s_waitcnt vmcnt(1)
	v_mul_f32_e32 v36, v72, v36
	s_waitcnt vmcnt(0)
	v_mul_f32_e32 v37, v72, v37
	global_store_b32 v[20:21], v36, off
	global_load_b32 v45, v[34:35], off
	global_store_b32 v[26:27], v37, off
	global_load_b32 v46, v[32:33], off
	v_lshlrev_b64 v[20:21], 2, v[0:1]
	v_add_nc_u32_e32 v0, s9, v0
	v_add_co_u32 v36, vcc_lo, s2, v12
	v_add_co_ci_u32_e32 v37, vcc_lo, s3, v13, vcc_lo
	s_delay_alu instid0(VALU_DEP_3) | instskip(SKIP_1) | instid1(VALU_DEP_2)
	v_lshlrev_b64 v[26:27], 2, v[0:1]
	v_add_nc_u32_e32 v0, s6, v0
	v_add_co_u32 v26, vcc_lo, s0, v26
	s_delay_alu instid0(VALU_DEP_3)
	v_add_co_ci_u32_e32 v27, vcc_lo, s1, v27, vcc_lo
	s_waitcnt vmcnt(0)
	v_dual_mul_f32 v45, v72, v45 :: v_dual_mul_f32 v46, v71, v46
	global_store_b32 v[34:35], v45, off
	global_load_b32 v34, v[36:37], off
	global_store_b32 v[32:33], v46, off
	global_load_b32 v35, v[26:27], off
	v_lshlrev_b64 v[32:33], 2, v[0:1]
	v_add_co_u32 v45, vcc_lo, s2, v76
	v_add_co_ci_u32_e32 v46, vcc_lo, s3, v77, vcc_lo
	v_add_nc_u32_e32 v0, s7, v0
	s_delay_alu instid0(VALU_DEP_4)
	v_add_co_u32 v47, vcc_lo, s0, v32
	v_add_co_ci_u32_e32 v48, vcc_lo, s1, v33, vcc_lo
	v_add_co_u32 v49, vcc_lo, s2, v66
	v_add_co_ci_u32_e32 v50, vcc_lo, s3, v67, vcc_lo
	s_waitcnt vmcnt(0)
	v_dual_mul_f32 v34, v72, v34 :: v_dual_mul_f32 v35, v73, v35
	global_store_b32 v[36:37], v34, off
	global_load_b32 v36, v[45:46], off
	global_store_b32 v[26:27], v35, off
	global_load_b32 v37, v[47:48], off
	v_lshlrev_b64 v[34:35], 2, v[0:1]
	v_add_nc_u32_e32 v0, s6, v0
	s_delay_alu instid0(VALU_DEP_1) | instskip(SKIP_1) | instid1(VALU_DEP_2)
	v_lshlrev_b64 v[26:27], 2, v[0:1]
	v_add_nc_u32_e32 v0, s7, v0
	v_add_co_u32 v51, vcc_lo, s0, v26
	s_delay_alu instid0(VALU_DEP_3)
	v_add_co_ci_u32_e32 v52, vcc_lo, s1, v27, vcc_lo
	s_waitcnt vmcnt(0)
	v_dual_mul_f32 v36, v74, v36 :: v_dual_mul_f32 v37, v72, v37
	global_store_b32 v[45:46], v36, off
	global_load_b32 v53, v[49:50], off
	global_store_b32 v[47:48], v37, off
	global_load_b32 v47, v[51:52], off
	v_lshlrev_b64 v[36:37], 2, v[0:1]
	v_add_nc_u32_e32 v0, s9, v0
	v_add_co_u32 v45, vcc_lo, s2, v14
	v_add_co_ci_u32_e32 v46, vcc_lo, s3, v15, vcc_lo
	s_delay_alu instid0(VALU_DEP_3) | instskip(SKIP_4) | instid1(VALU_DEP_3)
	v_lshlrev_b64 v[26:27], 2, v[0:1]
	s_waitcnt vmcnt(1)
	v_dual_mul_f32 v53, v70, v53 :: v_dual_add_nc_u32 v0, s7, v0
	s_waitcnt vmcnt(0)
	v_mul_f32_e32 v58, v68, v47
	v_add_co_u32 v47, vcc_lo, s0, v26
	v_add_co_ci_u32_e32 v48, vcc_lo, s1, v27, vcc_lo
	global_store_b32 v[49:50], v53, off
	global_load_b32 v53, v[45:46], off
	global_store_b32 v[51:52], v58, off
	global_load_b32 v51, v[47:48], off
	v_add_co_u32 v38, vcc_lo, s4, v38
	v_add_co_ci_u32_e32 v39, vcc_lo, s5, v39, vcc_lo
	v_add_co_u32 v49, vcc_lo, s4, v12
	v_add_co_ci_u32_e32 v50, vcc_lo, s5, v13, vcc_lo
	;; [unrolled: 2-line block ×4, first 2 shown]
	s_clause 0x3
	global_load_b32 v12, v[38:39], off
	global_load_b32 v49, v[49:50], off
	;; [unrolled: 1-line block ×4, first 2 shown]
	v_lshlrev_b64 v[13:14], 2, v[0:1]
	v_add_co_u32 v18, vcc_lo, s2, v60
	v_add_co_ci_u32_e32 v19, vcc_lo, s3, v61, vcc_lo
	s_delay_alu instid0(VALU_DEP_3) | instskip(NEXT) | instid1(VALU_DEP_4)
	v_add_co_u32 v38, vcc_lo, s0, v13
	v_add_co_ci_u32_e32 v39, vcc_lo, s1, v14, vcc_lo
	v_add_co_u32 v13, vcc_lo, s4, v43
	v_add_co_ci_u32_e32 v14, vcc_lo, s5, v44, vcc_lo
	s_waitcnt vmcnt(5)
	v_mul_f32_e32 v15, v70, v53
	s_waitcnt vmcnt(4)
	v_mul_f32_e32 v51, v70, v51
	global_store_b32 v[45:46], v15, off
	global_load_b32 v45, v[18:19], off
	global_store_b32 v[47:48], v51, off
	global_load_b32 v46, v[38:39], off
	v_add_co_u32 v15, vcc_lo, s4, v16
	v_add_co_ci_u32_e32 v16, vcc_lo, s5, v17, vcc_lo
	s_clause 0x1
	global_load_b32 v13, v[13:14], off
	global_load_b32 v14, v[15:16], off
	v_add_co_u32 v43, vcc_lo, s2, v56
	s_waitcnt vmcnt(6)
	v_fmac_f32_e32 v12, v71, v49
	v_add_co_ci_u32_e32 v44, vcc_lo, s3, v57, vcc_lo
	s_waitcnt vmcnt(5)
	s_delay_alu instid0(VALU_DEP_2) | instskip(SKIP_1) | instid1(VALU_DEP_1)
	v_fmac_f32_e32 v12, v68, v50
	s_waitcnt vmcnt(4)
	v_fmac_f32_e32 v12, v72, v52
	v_add_nc_u32_e32 v0, s6, v0
	s_delay_alu instid0(VALU_DEP_1) | instskip(SKIP_2) | instid1(VALU_DEP_2)
	v_lshlrev_b64 v[15:16], 2, v[0:1]
	s_waitcnt vmcnt(3)
	v_dual_mul_f32 v17, v70, v45 :: v_dual_add_nc_u32 v0, s6, v0
	v_add_co_u32 v45, vcc_lo, s0, v15
	s_waitcnt vmcnt(2)
	v_mul_f32_e32 v47, v12, v46
	v_add_co_ci_u32_e32 v46, vcc_lo, s1, v16, vcc_lo
	global_store_b32 v[18:19], v17, off
	global_load_b32 v19, v[43:44], off
	global_store_b32 v[38:39], v47, off
	global_load_b32 v47, v[45:46], off
	v_lshlrev_b64 v[17:18], 2, v[0:1]
	v_add_co_u32 v38, vcc_lo, s2, v54
	v_add_co_ci_u32_e32 v39, vcc_lo, s3, v55, vcc_lo
	v_add_nc_u32_e32 v0, s6, v0
	s_delay_alu instid0(VALU_DEP_4)
	v_add_co_u32 v17, vcc_lo, s0, v17
	v_add_co_ci_u32_e32 v18, vcc_lo, s1, v18, vcc_lo
	v_add_co_u32 v6, vcc_lo, s2, v6
	v_add_co_ci_u32_e32 v7, vcc_lo, s3, v7, vcc_lo
	s_waitcnt vmcnt(2)
	v_fmac_f32_e32 v13, v70, v14
	s_waitcnt vmcnt(1)
	v_mul_f32_e32 v19, v70, v19
	s_waitcnt vmcnt(0)
	v_mul_f32_e32 v47, v12, v47
	global_store_b32 v[43:44], v19, off
	global_load_b32 v19, v[38:39], off
	global_store_b32 v[45:46], v47, off
	global_load_b32 v43, v[17:18], off
	v_lshlrev_b64 v[44:45], 2, v[0:1]
	v_add_nc_u32_e32 v0, s6, v0
	s_delay_alu instid0(VALU_DEP_2) | instskip(NEXT) | instid1(VALU_DEP_3)
	v_add_co_u32 v46, vcc_lo, s0, v44
	v_add_co_ci_u32_e32 v47, vcc_lo, s1, v45, vcc_lo
	v_add_co_u32 v4, vcc_lo, s2, v4
	v_add_co_ci_u32_e32 v5, vcc_lo, s3, v5, vcc_lo
	s_waitcnt vmcnt(1)
	v_mul_f32_e32 v19, v70, v19
	s_waitcnt vmcnt(0)
	v_mul_f32_e32 v43, v12, v43
	global_store_b32 v[38:39], v19, off
	global_load_b32 v19, v[6:7], off
	global_store_b32 v[17:18], v43, off
	global_load_b32 v43, v[46:47], off
	v_lshlrev_b64 v[17:18], 2, v[0:1]
	v_add_nc_u32_e32 v0, s8, v0
	s_delay_alu instid0(VALU_DEP_1) | instskip(SKIP_1) | instid1(VALU_DEP_1)
	v_lshlrev_b64 v[38:39], 2, v[0:1]
	v_add_nc_u32_e32 v0, s7, v0
	v_lshlrev_b64 v[48:49], 2, v[0:1]
	v_add_nc_u32_e32 v0, s6, v0
	s_delay_alu instid0(VALU_DEP_2) | instskip(NEXT) | instid1(VALU_DEP_3)
	v_add_co_u32 v48, vcc_lo, s0, v48
	v_add_co_ci_u32_e32 v49, vcc_lo, s1, v49, vcc_lo
	s_waitcnt vmcnt(1)
	v_mul_f32_e32 v19, v72, v19
	s_waitcnt vmcnt(0)
	v_mul_f32_e32 v43, v12, v43
	global_store_b32 v[6:7], v19, off
	global_load_b32 v19, v[4:5], off
	global_store_b32 v[46:47], v43, off
	global_load_b32 v46, v[48:49], off
	v_mov_b32_e32 v43, v1
	s_delay_alu instid0(VALU_DEP_1) | instskip(SKIP_2) | instid1(VALU_DEP_3)
	v_lshlrev_b64 v[6:7], 2, v[42:43]
	v_lshlrev_b64 v[42:43], 2, v[0:1]
	v_add_nc_u32_e32 v0, s6, v0
	v_add_co_u32 v6, vcc_lo, s2, v6
	s_delay_alu instid0(VALU_DEP_4) | instskip(NEXT) | instid1(VALU_DEP_4)
	v_add_co_ci_u32_e32 v7, vcc_lo, s3, v7, vcc_lo
	v_add_co_u32 v42, vcc_lo, s0, v42
	v_add_co_ci_u32_e32 v43, vcc_lo, s1, v43, vcc_lo
	v_add_co_u32 v40, vcc_lo, s2, v40
	v_add_co_ci_u32_e32 v41, vcc_lo, s3, v41, vcc_lo
	s_waitcnt vmcnt(0)
	v_dual_mul_f32 v19, v71, v19 :: v_dual_mul_f32 v46, v68, v46
	global_store_b32 v[4:5], v19, off
	global_load_b32 v19, v[6:7], off
	global_store_b32 v[48:49], v46, off
	global_load_b32 v46, v[42:43], off
	v_lshlrev_b64 v[4:5], 2, v[0:1]
	s_waitcnt vmcnt(1)
	v_dual_mul_f32 v19, v74, v19 :: v_dual_add_nc_u32 v0, s6, v0
	s_waitcnt vmcnt(0)
	v_mul_f32_e32 v48, v68, v46
	s_delay_alu instid0(VALU_DEP_3)
	v_add_co_u32 v46, vcc_lo, s0, v4
	v_add_co_ci_u32_e32 v47, vcc_lo, s1, v5, vcc_lo
	global_store_b32 v[42:43], v48, off
	global_store_b32 v[6:7], v19, off
	global_load_b32 v19, v[40:41], off
	global_load_b32 v42, v[46:47], off
	v_lshlrev_b64 v[6:7], 2, v[0:1]
	v_add_co_u32 v24, vcc_lo, s2, v24
	v_add_co_ci_u32_e32 v25, vcc_lo, s3, v25, vcc_lo
	v_add_nc_u32_e32 v0, s6, v0
	s_delay_alu instid0(VALU_DEP_4)
	v_add_co_u32 v6, vcc_lo, s0, v6
	v_add_co_ci_u32_e32 v7, vcc_lo, s1, v7, vcc_lo
	v_add_co_u32 v30, vcc_lo, s2, v30
	v_add_co_ci_u32_e32 v31, vcc_lo, s3, v31, vcc_lo
	s_waitcnt vmcnt(0)
	v_dual_mul_f32 v19, v74, v19 :: v_dual_mul_f32 v42, v68, v42
	global_store_b32 v[40:41], v19, off
	global_store_b32 v[46:47], v42, off
	global_load_b32 v42, v[6:7], off
	global_load_b32 v19, v[24:25], off
	v_lshlrev_b64 v[40:41], 2, v[0:1]
	s_delay_alu instid0(VALU_DEP_1) | instskip(NEXT) | instid1(VALU_DEP_2)
	v_add_co_u32 v40, vcc_lo, s0, v40
	v_add_co_ci_u32_e32 v41, vcc_lo, s1, v41, vcc_lo
	s_waitcnt vmcnt(1)
	v_mul_f32_e32 v42, v68, v42
	s_waitcnt vmcnt(0)
	v_mul_f32_e32 v19, v68, v19
	global_store_b32 v[6:7], v42, off
	v_add_co_u32 v6, vcc_lo, s4, v8
	v_add_co_ci_u32_e32 v7, vcc_lo, s5, v9, vcc_lo
	v_add_co_u32 v8, vcc_lo, s4, v10
	v_add_co_ci_u32_e32 v9, vcc_lo, s5, v11, vcc_lo
	global_store_b32 v[24:25], v19, off
	global_load_b32 v19, v[30:31], off
	global_load_b32 v24, v[40:41], off
	s_clause 0x1
	global_load_b32 v10, v[6:7], off
	global_load_b32 v11, v[8:9], off
	v_add_co_u32 v8, vcc_lo, s2, v28
	v_add_co_ci_u32_e32 v9, vcc_lo, s3, v29, vcc_lo
	s_waitcnt vmcnt(3)
	v_mul_f32_e32 v19, v70, v19
	s_waitcnt vmcnt(1)
	v_fmac_f32_e32 v69, v70, v10
	global_store_b32 v[30:31], v19, off
	s_waitcnt vmcnt(0)
	v_dual_fmac_f32 v69, v71, v11 :: v_dual_mul_f32 v24, v68, v24
	global_load_b32 v19, v[8:9], off
	v_fmac_f32_e32 v64, v69, v65
	v_add_nc_u32_e32 v0, s6, v0
	global_store_b32 v[40:41], v24, off
	v_lshlrev_b64 v[6:7], 2, v[0:1]
	v_add_nc_u32_e32 v0, s6, v0
	s_delay_alu instid0(VALU_DEP_2) | instskip(NEXT) | instid1(VALU_DEP_3)
	v_add_co_u32 v6, vcc_lo, s0, v6
	v_add_co_ci_u32_e32 v7, vcc_lo, s1, v7, vcc_lo
	s_delay_alu instid0(VALU_DEP_3)
	v_lshlrev_b64 v[10:11], 2, v[0:1]
	v_add_co_u32 v22, vcc_lo, s2, v22
	global_load_b32 v24, v[6:7], off
	v_add_co_ci_u32_e32 v23, vcc_lo, s3, v23, vcc_lo
	v_add_co_u32 v10, vcc_lo, s0, v10
	v_add_co_ci_u32_e32 v11, vcc_lo, s1, v11, vcc_lo
	s_waitcnt vmcnt(1)
	v_dual_mul_f32 v19, v69, v19 :: v_dual_add_nc_u32 v0, s6, v0
	global_store_b32 v[8:9], v19, off
	global_load_b32 v19, v[22:23], off
	v_add_co_u32 v8, vcc_lo, s2, v20
	v_add_co_ci_u32_e32 v9, vcc_lo, s3, v21, vcc_lo
	s_waitcnt vmcnt(1)
	v_mul_f32_e32 v24, v68, v24
	global_store_b32 v[6:7], v24, off
	global_load_b32 v24, v[10:11], off
	v_lshlrev_b64 v[6:7], 2, v[0:1]
	s_waitcnt vmcnt(1)
	v_dual_mul_f32 v21, v71, v19 :: v_dual_add_nc_u32 v0, s6, v0
	s_delay_alu instid0(VALU_DEP_2) | instskip(NEXT) | instid1(VALU_DEP_3)
	v_add_co_u32 v19, vcc_lo, s0, v6
	v_add_co_ci_u32_e32 v20, vcc_lo, s1, v7, vcc_lo
	global_store_b32 v[22:23], v21, off
	global_load_b32 v23, v[8:9], off
	v_add_co_u32 v21, vcc_lo, s2, v32
	v_add_co_ci_u32_e32 v22, vcc_lo, s3, v33, vcc_lo
	s_waitcnt vmcnt(1)
	v_mul_f32_e32 v24, v68, v24
	global_store_b32 v[10:11], v24, off
	global_load_b32 v24, v[19:20], off
	v_lshlrev_b64 v[10:11], 2, v[0:1]
	s_waitcnt vmcnt(1)
	v_dual_mul_f32 v25, v71, v23 :: v_dual_add_nc_u32 v0, s6, v0
	s_delay_alu instid0(VALU_DEP_2)
	v_add_co_u32 v23, vcc_lo, s0, v10
	global_store_b32 v[8:9], v25, off
	global_load_b32 v25, v[21:22], off
	v_lshlrev_b64 v[8:9], 2, v[0:1]
	v_add_nc_u32_e32 v0, s6, v0
	s_waitcnt vmcnt(1)
	v_mul_f32_e32 v28, v68, v24
	v_add_co_ci_u32_e32 v24, vcc_lo, s1, v11, vcc_lo
	global_store_b32 v[19:20], v28, off
	global_load_b32 v28, v[23:24], off
	v_add_co_u32 v19, vcc_lo, s2, v34
	v_add_co_ci_u32_e32 v20, vcc_lo, s3, v35, vcc_lo
	s_waitcnt vmcnt(1)
	v_mul_f32_e32 v25, v68, v25
	global_store_b32 v[21:22], v25, off
	global_load_b32 v25, v[19:20], off
	v_lshlrev_b64 v[21:22], 2, v[0:1]
	v_add_nc_u32_e32 v0, s7, v0
	s_waitcnt vmcnt(1)
	v_mul_f32_e32 v30, v68, v28
	v_add_co_u32 v28, vcc_lo, s0, v8
	v_add_co_ci_u32_e32 v29, vcc_lo, s1, v9, vcc_lo
	global_store_b32 v[23:24], v30, off
	v_add_co_u32 v23, vcc_lo, s2, v36
	global_load_b32 v30, v[28:29], off
	v_add_co_ci_u32_e32 v24, vcc_lo, s3, v37, vcc_lo
	v_add_co_u32 v21, vcc_lo, s0, v21
	v_add_co_ci_u32_e32 v22, vcc_lo, s1, v22, vcc_lo
	s_waitcnt vmcnt(1)
	v_mul_f32_e32 v25, v12, v25
	global_store_b32 v[19:20], v25, off
	global_load_b32 v31, v[23:24], off
	v_lshlrev_b64 v[19:20], 2, v[0:1]
	v_add_co_u32 v25, vcc_lo, s2, v26
	v_add_co_ci_u32_e32 v26, vcc_lo, s3, v27, vcc_lo
	v_add_nc_u32_e32 v0, s6, v0
	s_delay_alu instid0(VALU_DEP_4)
	v_add_co_u32 v19, vcc_lo, s0, v19
	v_add_co_ci_u32_e32 v20, vcc_lo, s1, v20, vcc_lo
	v_add_co_u32 v15, vcc_lo, s2, v15
	v_add_co_ci_u32_e32 v16, vcc_lo, s3, v16, vcc_lo
	s_waitcnt vmcnt(1)
	v_mul_f32_e32 v30, v68, v30
	global_store_b32 v[28:29], v30, off
	global_load_b32 v28, v[21:22], off
	s_waitcnt vmcnt(1)
	v_mul_f32_e32 v27, v72, v31
	global_store_b32 v[23:24], v27, off
	global_load_b32 v23, v[25:26], off
	;; [unrolled: 4-line block ×3, first 2 shown]
	v_lshlrev_b64 v[21:22], 2, v[0:1]
	v_add_nc_u32_e32 v0, s6, v0
	s_delay_alu instid0(VALU_DEP_2) | instskip(NEXT) | instid1(VALU_DEP_3)
	v_add_co_u32 v21, vcc_lo, s0, v21
	v_add_co_ci_u32_e32 v22, vcc_lo, s1, v22, vcc_lo
	s_waitcnt vmcnt(1)
	v_mul_f32_e32 v23, v68, v23
	global_store_b32 v[25:26], v23, off
	global_load_b32 v25, v[15:16], off
	v_add_co_u32 v23, vcc_lo, s2, v44
	s_waitcnt vmcnt(1)
	v_mul_f32_e32 v24, v68, v24
	global_store_b32 v[19:20], v24, off
	global_load_b32 v26, v[21:22], off
	v_lshlrev_b64 v[19:20], 2, v[0:1]
	v_add_co_ci_u32_e32 v24, vcc_lo, s3, v45, vcc_lo
	v_add_nc_u32_e32 v0, s6, v0
	s_delay_alu instid0(VALU_DEP_3) | instskip(NEXT) | instid1(VALU_DEP_4)
	v_add_co_u32 v19, vcc_lo, s0, v19
	v_add_co_ci_u32_e32 v20, vcc_lo, s1, v20, vcc_lo
	v_add_co_u32 v2, vcc_lo, s4, v2
	v_add_co_ci_u32_e32 v3, vcc_lo, s5, v3, vcc_lo
	s_waitcnt vmcnt(1)
	v_mul_f32_e32 v25, v72, v25
	global_store_b32 v[15:16], v25, off
	global_load_b32 v25, v[23:24], off
	v_add_co_u32 v15, vcc_lo, s2, v17
	v_add_co_ci_u32_e32 v16, vcc_lo, s3, v18, vcc_lo
	s_waitcnt vmcnt(1)
	v_mul_f32_e32 v26, v68, v26
	global_store_b32 v[21:22], v26, off
	global_load_b32 v21, v[19:20], off
	global_load_b32 v22, v[2:3], off
	v_lshlrev_b64 v[2:3], 2, v[0:1]
	v_add_nc_u32_e32 v0, s6, v0
	s_delay_alu instid0(VALU_DEP_2) | instskip(NEXT) | instid1(VALU_DEP_3)
	v_add_co_u32 v2, vcc_lo, s0, v2
	v_add_co_ci_u32_e32 v3, vcc_lo, s1, v3, vcc_lo
	s_waitcnt vmcnt(2)
	v_mul_f32_e32 v17, v72, v25
	global_store_b32 v[23:24], v17, off
	s_waitcnt vmcnt(1)
	v_mul_f32_e32 v18, v68, v21
	global_load_b32 v21, v[15:16], off
	s_waitcnt vmcnt(1)
	v_fmac_f32_e32 v13, v68, v22
	global_store_b32 v[19:20], v18, off
	global_load_b32 v23, v[2:3], off
	v_lshlrev_b64 v[17:18], 2, v[0:1]
	v_add_co_u32 v19, vcc_lo, s2, v38
	v_add_co_ci_u32_e32 v20, vcc_lo, s3, v39, vcc_lo
	v_add_nc_u32_e32 v0, s6, v0
	s_delay_alu instid0(VALU_DEP_4)
	v_add_co_u32 v17, vcc_lo, s0, v17
	v_add_co_ci_u32_e32 v18, vcc_lo, s1, v18, vcc_lo
	v_add_co_u32 v4, vcc_lo, s2, v4
	v_add_co_ci_u32_e32 v5, vcc_lo, s3, v5, vcc_lo
	s_waitcnt vmcnt(1)
	v_mul_f32_e32 v14, v13, v21
	s_waitcnt vmcnt(0)
	v_mul_f32_e32 v21, v13, v23
	global_store_b32 v[15:16], v14, off
	global_load_b32 v14, v[19:20], off
	global_store_b32 v[2:3], v21, off
	global_load_b32 v15, v[17:18], off
	v_lshlrev_b64 v[2:3], 2, v[0:1]
	v_add_nc_u32_e32 v0, s6, v0
	s_waitcnt vmcnt(1)
	v_mul_f32_e32 v16, v72, v14
	s_delay_alu instid0(VALU_DEP_3)
	v_add_co_u32 v14, vcc_lo, s0, v2
	s_waitcnt vmcnt(0)
	v_mul_f32_e32 v21, v13, v15
	v_add_co_ci_u32_e32 v15, vcc_lo, s1, v3, vcc_lo
	global_store_b32 v[19:20], v16, off
	global_load_b32 v19, v[4:5], off
	global_store_b32 v[17:18], v21, off
	global_load_b32 v18, v[14:15], off
	v_lshlrev_b64 v[16:17], 2, v[0:1]
	v_add_co_u32 v6, vcc_lo, s2, v6
	v_add_co_ci_u32_e32 v7, vcc_lo, s3, v7, vcc_lo
	v_add_nc_u32_e32 v0, s6, v0
	s_delay_alu instid0(VALU_DEP_4)
	v_add_co_u32 v16, vcc_lo, s0, v16
	v_add_co_ci_u32_e32 v17, vcc_lo, s1, v17, vcc_lo
	v_add_co_u32 v10, vcc_lo, s2, v10
	v_add_co_ci_u32_e32 v11, vcc_lo, s3, v11, vcc_lo
	s_waitcnt vmcnt(0)
	v_dual_mul_f32 v19, v12, v19 :: v_dual_mul_f32 v18, v13, v18
	global_store_b32 v[4:5], v19, off
	global_load_b32 v19, v[6:7], off
	global_store_b32 v[14:15], v18, off
	global_load_b32 v14, v[16:17], off
	v_lshlrev_b64 v[4:5], 2, v[0:1]
	v_add_nc_u32_e32 v0, s6, v0
	s_delay_alu instid0(VALU_DEP_2) | instskip(NEXT) | instid1(VALU_DEP_3)
	v_add_co_u32 v4, vcc_lo, s0, v4
	v_add_co_ci_u32_e32 v5, vcc_lo, s1, v5, vcc_lo
	v_add_co_u32 v8, vcc_lo, s2, v8
	v_add_co_ci_u32_e32 v9, vcc_lo, s3, v9, vcc_lo
	s_waitcnt vmcnt(1)
	v_mul_f32_e32 v15, v13, v19
	s_waitcnt vmcnt(0)
	v_mul_f32_e32 v14, v13, v14
	global_store_b32 v[6:7], v15, off
	global_load_b32 v15, v[10:11], off
	global_store_b32 v[16:17], v14, off
	global_load_b32 v14, v[4:5], off
	v_lshlrev_b64 v[6:7], 2, v[0:1]
	v_add_nc_u32_e32 v0, s6, v0
	s_delay_alu instid0(VALU_DEP_2) | instskip(NEXT) | instid1(VALU_DEP_3)
	v_add_co_u32 v6, vcc_lo, s0, v6
	v_add_co_ci_u32_e32 v7, vcc_lo, s1, v7, vcc_lo
	v_add_co_u32 v2, vcc_lo, s2, v2
	v_add_co_ci_u32_e32 v3, vcc_lo, s3, v3, vcc_lo
	s_waitcnt vmcnt(0)
	v_dual_mul_f32 v15, v70, v15 :: v_dual_mul_f32 v14, v13, v14
	global_store_b32 v[10:11], v15, off
	global_load_b32 v10, v[8:9], off
	global_store_b32 v[4:5], v14, off
	global_load_b32 v11, v[6:7], off
	v_lshlrev_b64 v[4:5], 2, v[0:1]
	v_add_nc_u32_e32 v0, s6, v0
	s_delay_alu instid0(VALU_DEP_2) | instskip(NEXT) | instid1(VALU_DEP_3)
	v_add_co_u32 v4, vcc_lo, s0, v4
	v_add_co_ci_u32_e32 v5, vcc_lo, s1, v5, vcc_lo
	s_waitcnt vmcnt(1)
	v_mul_f32_e32 v10, v13, v10
	s_waitcnt vmcnt(0)
	v_mul_f32_e32 v11, v13, v11
	global_store_b32 v[8:9], v10, off
	global_load_b32 v10, v[2:3], off
	global_store_b32 v[6:7], v11, off
	global_load_b32 v11, v[4:5], off
	v_lshlrev_b64 v[6:7], 2, v[0:1]
	v_add_nc_u32_e32 v0, s6, v0
	s_delay_alu instid0(VALU_DEP_1) | instskip(SKIP_1) | instid1(VALU_DEP_2)
	v_lshlrev_b64 v[8:9], 2, v[0:1]
	v_add_nc_u32_e32 v0, s6, v0
	v_add_co_u32 v8, vcc_lo, s2, v8
	s_delay_alu instid0(VALU_DEP_3)
	v_add_co_ci_u32_e32 v9, vcc_lo, s3, v9, vcc_lo
	v_add_co_u32 v6, vcc_lo, s0, v6
	v_add_co_ci_u32_e32 v7, vcc_lo, s1, v7, vcc_lo
	s_waitcnt vmcnt(0)
	v_dual_mul_f32 v10, v70, v10 :: v_dual_mul_f32 v11, v13, v11
	global_store_b32 v[2:3], v10, off
	global_load_b32 v24, v[8:9], off
	global_store_b32 v[4:5], v11, off
	global_load_b32 v25, v[6:7], off
	v_lshlrev_b64 v[2:3], 2, v[0:1]
	v_add_nc_u32_e32 v0, s6, v0
	s_delay_alu instid0(VALU_DEP_1) | instskip(SKIP_1) | instid1(VALU_DEP_4)
	v_lshlrev_b64 v[4:5], 2, v[0:1]
	v_add_nc_u32_e32 v0, s6, v0
	v_add_co_u32 v2, vcc_lo, s2, v2
	v_add_co_ci_u32_e32 v3, vcc_lo, s3, v3, vcc_lo
	s_delay_alu instid0(VALU_DEP_3) | instskip(SKIP_1) | instid1(VALU_DEP_1)
	v_lshlrev_b64 v[10:11], 2, v[0:1]
	v_add_nc_u32_e32 v0, s6, v0
	v_lshlrev_b64 v[14:15], 2, v[0:1]
	v_add_nc_u32_e32 v0, s6, v0
	s_delay_alu instid0(VALU_DEP_1) | instskip(SKIP_1) | instid1(VALU_DEP_1)
	v_lshlrev_b64 v[16:17], 2, v[0:1]
	v_add_nc_u32_e32 v0, s6, v0
	v_lshlrev_b64 v[18:19], 2, v[0:1]
	v_add_nc_u32_e32 v0, s6, v0
	s_delay_alu instid0(VALU_DEP_1) | instskip(SKIP_1) | instid1(VALU_DEP_1)
	v_lshlrev_b64 v[20:21], 2, v[0:1]
	v_add_nc_u32_e32 v0, s7, v0
	v_lshlrev_b64 v[22:23], 2, v[0:1]
	v_add_nc_u32_e32 v0, s6, v0
	s_waitcnt vmcnt(1)
	v_mul_f32_e32 v26, v12, v24
	s_delay_alu instid0(VALU_DEP_3)
	v_add_co_u32 v24, vcc_lo, s0, v22
	s_waitcnt vmcnt(0)
	v_mul_f32_e32 v13, v13, v25
	v_add_co_ci_u32_e32 v25, vcc_lo, s1, v23, vcc_lo
	global_store_b32 v[8:9], v26, off
	global_load_b32 v8, v[2:3], off
	global_store_b32 v[6:7], v13, off
	global_load_b32 v9, v[24:25], off
	v_lshlrev_b64 v[6:7], 2, v[0:1]
	v_add_co_u32 v4, vcc_lo, s2, v4
	v_add_co_ci_u32_e32 v5, vcc_lo, s3, v5, vcc_lo
	v_add_nc_u32_e32 v0, s6, v0
	s_delay_alu instid0(VALU_DEP_4)
	v_add_co_u32 v6, vcc_lo, s0, v6
	v_add_co_ci_u32_e32 v7, vcc_lo, s1, v7, vcc_lo
	s_waitcnt vmcnt(0)
	v_dual_mul_f32 v8, v69, v8 :: v_dual_mul_f32 v9, v70, v9
	global_store_b32 v[2:3], v8, off
	global_load_b32 v13, v[4:5], off
	global_store_b32 v[24:25], v9, off
	global_load_b32 v24, v[6:7], off
	v_lshlrev_b64 v[2:3], 2, v[0:1]
	v_add_co_u32 v8, vcc_lo, s2, v10
	v_add_co_ci_u32_e32 v9, vcc_lo, s3, v11, vcc_lo
	v_add_nc_u32_e32 v0, s6, v0
	s_delay_alu instid0(VALU_DEP_4)
	v_add_co_u32 v10, vcc_lo, s0, v2
	v_add_co_ci_u32_e32 v11, vcc_lo, s1, v3, vcc_lo
	s_waitcnt vmcnt(1)
	v_mul_f32_e32 v13, v68, v13
	s_waitcnt vmcnt(0)
	v_mul_f32_e32 v24, v72, v24
	global_store_b32 v[4:5], v13, off
	global_load_b32 v13, v[8:9], off
	global_store_b32 v[6:7], v24, off
	global_load_b32 v24, v[10:11], off
	v_lshlrev_b64 v[4:5], 2, v[0:1]
	v_add_co_u32 v6, vcc_lo, s2, v14
	v_add_co_ci_u32_e32 v7, vcc_lo, s3, v15, vcc_lo
	v_add_nc_u32_e32 v0, s6, v0
	s_delay_alu instid0(VALU_DEP_4)
	v_add_co_u32 v4, vcc_lo, s0, v4
	v_add_co_ci_u32_e32 v5, vcc_lo, s1, v5, vcc_lo
	v_add_co_u32 v15, vcc_lo, s2, v16
	v_add_co_ci_u32_e32 v16, vcc_lo, s3, v17, vcc_lo
	s_waitcnt vmcnt(0)
	v_dual_mul_f32 v13, v68, v13 :: v_dual_mul_f32 v14, v71, v24
	global_store_b32 v[8:9], v13, off
	global_load_b32 v24, v[6:7], off
	global_store_b32 v[10:11], v14, off
	global_load_b32 v25, v[4:5], off
	v_lshlrev_b64 v[8:9], 2, v[0:1]
	v_add_nc_u32_e32 v0, s6, v0
	s_delay_alu instid0(VALU_DEP_1) | instskip(SKIP_1) | instid1(VALU_DEP_1)
	v_lshlrev_b64 v[10:11], 2, v[0:1]
	v_add_nc_u32_e32 v0, s6, v0
	v_lshlrev_b64 v[13:14], 2, v[0:1]
	v_add_nc_u32_e32 v0, s6, v0
	s_delay_alu instid0(VALU_DEP_2) | instskip(NEXT) | instid1(VALU_DEP_3)
	v_add_co_u32 v13, vcc_lo, s0, v13
	v_add_co_ci_u32_e32 v14, vcc_lo, s1, v14, vcc_lo
	s_waitcnt vmcnt(0)
	v_dual_mul_f32 v17, v70, v24 :: v_dual_mul_f32 v24, v71, v25
	global_store_b32 v[6:7], v17, off
	global_load_b32 v17, v[15:16], off
	global_store_b32 v[4:5], v24, off
	global_load_b32 v24, v[13:14], off
	v_lshlrev_b64 v[4:5], 2, v[0:1]
	v_add_co_u32 v6, vcc_lo, s2, v18
	v_add_co_ci_u32_e32 v7, vcc_lo, s3, v19, vcc_lo
	v_add_nc_u32_e32 v0, s6, v0
	s_delay_alu instid0(VALU_DEP_4)
	v_add_co_u32 v4, vcc_lo, s0, v4
	v_add_co_ci_u32_e32 v5, vcc_lo, s1, v5, vcc_lo
	s_waitcnt vmcnt(0)
	v_dual_mul_f32 v17, v72, v17 :: v_dual_mul_f32 v18, v69, v24
	global_store_b32 v[15:16], v17, off
	global_load_b32 v17, v[6:7], off
	global_store_b32 v[13:14], v18, off
	global_load_b32 v18, v[4:5], off
	v_lshlrev_b64 v[13:14], 2, v[0:1]
	v_add_co_u32 v15, vcc_lo, s2, v20
	v_add_co_ci_u32_e32 v16, vcc_lo, s3, v21, vcc_lo
	v_add_nc_u32_e32 v0, s6, v0
	s_delay_alu instid0(VALU_DEP_4)
	;; [unrolled: 13-line block ×3, first 2 shown]
	v_add_co_u32 v4, vcc_lo, s0, v4
	v_add_co_ci_u32_e32 v5, vcc_lo, s1, v5, vcc_lo
	v_add_co_u32 v2, vcc_lo, s2, v2
	v_add_co_ci_u32_e32 v3, vcc_lo, s3, v3, vcc_lo
	s_waitcnt vmcnt(0)
	v_dual_mul_f32 v17, v68, v17 :: v_dual_mul_f32 v18, v69, v18
	global_store_b32 v[15:16], v17, off
	global_load_b32 v15, v[6:7], off
	global_store_b32 v[13:14], v18, off
	global_load_b32 v16, v[4:5], off
	v_lshlrev_b64 v[13:14], 2, v[0:1]
	v_add_nc_u32_e32 v0, s6, v0
	s_delay_alu instid0(VALU_DEP_2) | instskip(NEXT) | instid1(VALU_DEP_3)
	v_add_co_u32 v13, vcc_lo, s0, v13
	v_add_co_ci_u32_e32 v14, vcc_lo, s1, v14, vcc_lo
	s_waitcnt vmcnt(1)
	v_mul_f32_e32 v15, v69, v15
	s_waitcnt vmcnt(0)
	v_mul_f32_e32 v16, v69, v16
	global_store_b32 v[6:7], v15, off
	global_load_b32 v15, v[2:3], off
	global_store_b32 v[4:5], v16, off
	global_load_b32 v16, v[13:14], off
	v_lshlrev_b64 v[4:5], 2, v[0:1]
	v_add_co_u32 v6, vcc_lo, s2, v8
	v_add_co_ci_u32_e32 v7, vcc_lo, s3, v9, vcc_lo
	v_add_nc_u32_e32 v0, s6, v0
	s_delay_alu instid0(VALU_DEP_4)
	v_add_co_u32 v4, vcc_lo, s0, v4
	v_add_co_ci_u32_e32 v5, vcc_lo, s1, v5, vcc_lo
	s_waitcnt vmcnt(0)
	v_dual_mul_f32 v8, v12, v15 :: v_dual_mul_f32 v9, v69, v16
	global_store_b32 v[2:3], v8, off
	global_load_b32 v15, v[6:7], off
	global_store_b32 v[13:14], v9, off
	global_load_b32 v13, v[4:5], off
	v_lshlrev_b64 v[2:3], 2, v[0:1]
	v_add_co_u32 v8, vcc_lo, s2, v10
	v_add_co_ci_u32_e32 v9, vcc_lo, s3, v11, vcc_lo
	v_add_nc_u32_e32 v0, s6, v0
	s_delay_alu instid0(VALU_DEP_4)
	v_add_co_u32 v2, vcc_lo, s0, v2
	v_add_co_ci_u32_e32 v3, vcc_lo, s1, v3, vcc_lo
	s_waitcnt vmcnt(0)
	v_dual_mul_f32 v10, v68, v15 :: v_dual_mul_f32 v11, v69, v13
	global_store_b32 v[6:7], v10, off
	global_load_b32 v13, v[8:9], off
	global_store_b32 v[4:5], v11, off
	global_load_b32 v14, v[2:3], off
	v_lshlrev_b64 v[4:5], 2, v[0:1]
	v_add_nc_u32_e32 v0, s6, v0
	s_delay_alu instid0(VALU_DEP_1) | instskip(SKIP_1) | instid1(VALU_DEP_1)
	v_lshlrev_b64 v[6:7], 2, v[0:1]
	v_add_nc_u32_e32 v0, s7, v0
	v_lshlrev_b64 v[10:11], 2, v[0:1]
	v_add_nc_u32_e32 v0, s6, v0
	s_delay_alu instid0(VALU_DEP_2) | instskip(NEXT) | instid1(VALU_DEP_3)
	v_add_co_u32 v10, vcc_lo, s2, v10
	v_add_co_ci_u32_e32 v11, vcc_lo, s3, v11, vcc_lo
	v_add_co_u32 v4, vcc_lo, s0, v4
	v_add_co_ci_u32_e32 v5, vcc_lo, s1, v5, vcc_lo
	s_waitcnt vmcnt(0)
	v_dual_mul_f32 v13, v64, v13 :: v_dual_mul_f32 v14, v69, v14
	global_store_b32 v[8:9], v13, off
	global_load_b32 v8, v[10:11], off
	global_store_b32 v[2:3], v14, off
	global_load_b32 v9, v[4:5], off
	v_lshlrev_b64 v[2:3], 2, v[0:1]
	v_add_nc_u32_e32 v0, s6, v0
	s_delay_alu instid0(VALU_DEP_2) | instskip(NEXT) | instid1(VALU_DEP_3)
	v_add_co_u32 v2, vcc_lo, s2, v2
	v_add_co_ci_u32_e32 v3, vcc_lo, s3, v3, vcc_lo
	v_add_co_u32 v6, vcc_lo, s0, v6
	v_add_co_ci_u32_e32 v7, vcc_lo, s1, v7, vcc_lo
	s_waitcnt vmcnt(1)
	v_mul_f32_e32 v8, v69, v8
	s_waitcnt vmcnt(0)
	v_mul_f32_e32 v9, v69, v9
	global_store_b32 v[10:11], v8, off
	global_load_b32 v10, v[2:3], off
	global_store_b32 v[4:5], v9, off
	global_load_b32 v11, v[6:7], off
	v_lshlrev_b64 v[4:5], 2, v[0:1]
	v_add_nc_u32_e32 v0, s6, v0
	s_delay_alu instid0(VALU_DEP_1) | instskip(NEXT) | instid1(VALU_DEP_3)
	v_lshlrev_b64 v[8:9], 2, v[0:1]
	v_add_co_u32 v4, vcc_lo, s2, v4
	s_delay_alu instid0(VALU_DEP_4) | instskip(SKIP_2) | instid1(VALU_DEP_4)
	v_add_co_ci_u32_e32 v5, vcc_lo, s3, v5, vcc_lo
	s_waitcnt vmcnt(1)
	v_dual_mul_f32 v13, v69, v10 :: v_dual_add_nc_u32 v0, s6, v0
	v_add_co_u32 v10, vcc_lo, s0, v8
	s_waitcnt vmcnt(0)
	v_mul_f32_e32 v14, v69, v11
	v_add_co_ci_u32_e32 v11, vcc_lo, s1, v9, vcc_lo
	global_store_b32 v[2:3], v13, off
	global_load_b32 v17, v[4:5], off
	global_store_b32 v[6:7], v14, off
	global_load_b32 v18, v[10:11], off
	v_lshlrev_b64 v[2:3], 2, v[0:1]
	v_add_nc_u32_e32 v0, s7, v0
	v_add_co_u32 v8, vcc_lo, s2, v8
	v_add_co_ci_u32_e32 v9, vcc_lo, s3, v9, vcc_lo
	s_delay_alu instid0(VALU_DEP_3) | instskip(SKIP_1) | instid1(VALU_DEP_1)
	v_lshlrev_b64 v[6:7], 2, v[0:1]
	v_add_nc_u32_e32 v0, s7, v0
	v_lshlrev_b64 v[13:14], 2, v[0:1]
	v_add_nc_u32_e32 v0, s6, v0
	s_delay_alu instid0(VALU_DEP_1) | instskip(SKIP_1) | instid1(VALU_DEP_2)
	v_lshlrev_b64 v[15:16], 2, v[0:1]
	v_add_nc_u32_e32 v0, s6, v0
	v_add_co_u32 v15, vcc_lo, s0, v15
	s_delay_alu instid0(VALU_DEP_3)
	v_add_co_ci_u32_e32 v16, vcc_lo, s1, v16, vcc_lo
	v_add_co_u32 v2, vcc_lo, s2, v2
	v_add_co_ci_u32_e32 v3, vcc_lo, s3, v3, vcc_lo
	s_waitcnt vmcnt(0)
	v_dual_mul_f32 v17, v69, v17 :: v_dual_mul_f32 v18, v71, v18
	global_store_b32 v[4:5], v17, off
	global_load_b32 v17, v[8:9], off
	global_store_b32 v[10:11], v18, off
	global_load_b32 v18, v[15:16], off
	v_mad_u64_u32 v[4:5], null, s6, 9, v[0:1]
	v_mov_b32_e32 v5, v1
	s_delay_alu instid0(VALU_DEP_1) | instskip(SKIP_2) | instid1(VALU_DEP_2)
	v_lshlrev_b64 v[10:11], 2, v[4:5]
	s_waitcnt vmcnt(1)
	v_mul_f32_e32 v5, v69, v17
	v_add_co_u32 v17, vcc_lo, s0, v10
	s_waitcnt vmcnt(0)
	v_mul_f32_e32 v19, v70, v18
	v_add_co_ci_u32_e32 v18, vcc_lo, s1, v11, vcc_lo
	global_store_b32 v[8:9], v5, off
	global_load_b32 v20, v[2:3], off
	global_store_b32 v[15:16], v19, off
	global_load_b32 v15, v[17:18], off
	v_lshlrev_b64 v[8:9], 2, v[0:1]
	v_add_nc_u32_e32 v0, s6, v4
	v_add_co_u32 v6, vcc_lo, s2, v6
	v_add_co_ci_u32_e32 v7, vcc_lo, s3, v7, vcc_lo
	s_delay_alu instid0(VALU_DEP_3) | instskip(SKIP_1) | instid1(VALU_DEP_2)
	v_lshlrev_b64 v[4:5], 2, v[0:1]
	v_add_nc_u32_e32 v0, s6, v0
	v_add_co_u32 v4, vcc_lo, s0, v4
	s_delay_alu instid0(VALU_DEP_3)
	v_add_co_ci_u32_e32 v5, vcc_lo, s1, v5, vcc_lo
	v_add_co_u32 v13, vcc_lo, s2, v13
	v_add_co_ci_u32_e32 v14, vcc_lo, s3, v14, vcc_lo
	s_waitcnt vmcnt(0)
	v_dual_mul_f32 v16, v69, v20 :: v_dual_mul_f32 v15, v64, v15
	global_store_b32 v[2:3], v16, off
	global_load_b32 v16, v[6:7], off
	global_store_b32 v[17:18], v15, off
	global_load_b32 v15, v[4:5], off
	v_lshlrev_b64 v[2:3], 2, v[0:1]
	v_add_nc_u32_e32 v0, s6, v0
	s_waitcnt vmcnt(1)
	v_mul_f32_e32 v12, v12, v16
	s_waitcnt vmcnt(0)
	v_mul_f32_e32 v17, v64, v15
	v_add_co_u32 v15, vcc_lo, s0, v2
	v_add_co_ci_u32_e32 v16, vcc_lo, s1, v3, vcc_lo
	global_store_b32 v[6:7], v12, off
	global_load_b32 v12, v[13:14], off
	global_store_b32 v[4:5], v17, off
	global_load_b32 v17, v[15:16], off
	v_lshlrev_b64 v[4:5], 2, v[0:1]
	v_add_co_u32 v6, vcc_lo, s2, v8
	v_add_co_ci_u32_e32 v7, vcc_lo, s3, v9, vcc_lo
	v_add_nc_u32_e32 v0, s6, v0
	s_delay_alu instid0(VALU_DEP_4)
	v_add_co_u32 v4, vcc_lo, s0, v4
	v_add_co_ci_u32_e32 v5, vcc_lo, s1, v5, vcc_lo
	v_add_co_u32 v10, vcc_lo, s2, v10
	v_add_co_ci_u32_e32 v11, vcc_lo, s3, v11, vcc_lo
	s_waitcnt vmcnt(1)
	v_mul_f32_e32 v8, v68, v12
	s_waitcnt vmcnt(0)
	v_mul_f32_e32 v9, v64, v17
	global_store_b32 v[13:14], v8, off
	global_load_b32 v12, v[6:7], off
	global_store_b32 v[15:16], v9, off
	global_load_b32 v13, v[4:5], off
	v_lshlrev_b64 v[8:9], 2, v[0:1]
	v_add_nc_u32_e32 v0, s6, v0
	s_delay_alu instid0(VALU_DEP_2) | instskip(NEXT) | instid1(VALU_DEP_3)
	v_add_co_u32 v8, vcc_lo, s0, v8
	v_add_co_ci_u32_e32 v9, vcc_lo, s1, v9, vcc_lo
	v_add_co_u32 v2, vcc_lo, s2, v2
	v_add_co_ci_u32_e32 v3, vcc_lo, s3, v3, vcc_lo
	s_waitcnt vmcnt(1)
	v_mul_f32_e32 v12, v64, v12
	s_waitcnt vmcnt(0)
	v_mul_f32_e32 v13, v64, v13
	global_store_b32 v[6:7], v12, off
	global_load_b32 v6, v[10:11], off
	global_store_b32 v[4:5], v13, off
	global_load_b32 v7, v[8:9], off
	v_lshlrev_b64 v[4:5], 2, v[0:1]
	v_add_nc_u32_e32 v0, s6, v0
	s_delay_alu instid0(VALU_DEP_1) | instskip(SKIP_2) | instid1(VALU_DEP_4)
	v_lshlrev_b64 v[0:1], 2, v[0:1]
	s_waitcnt vmcnt(1)
	v_mul_f32_e32 v12, v69, v6
	v_add_co_u32 v6, vcc_lo, s0, v4
	s_waitcnt vmcnt(0)
	v_mul_f32_e32 v13, v64, v7
	v_add_co_ci_u32_e32 v7, vcc_lo, s1, v5, vcc_lo
	global_store_b32 v[10:11], v12, off
	global_load_b32 v10, v[2:3], off
	global_store_b32 v[8:9], v13, off
	global_load_b32 v8, v[6:7], off
	v_add_co_u32 v4, vcc_lo, s2, v4
	v_add_co_ci_u32_e32 v5, vcc_lo, s3, v5, vcc_lo
	v_add_co_u32 v0, vcc_lo, s0, v0
	v_add_co_ci_u32_e32 v1, vcc_lo, s1, v1, vcc_lo
	s_waitcnt vmcnt(0)
	v_dual_mul_f32 v9, v69, v10 :: v_dual_mul_f32 v8, v64, v8
	global_store_b32 v[2:3], v9, off
	global_store_b32 v[6:7], v8, off
	global_load_b32 v2, v[4:5], off
	global_load_b32 v3, v[0:1], off
	s_waitcnt vmcnt(0)
	v_dual_mul_f32 v2, v69, v2 :: v_dual_mul_f32 v3, v64, v3
	global_store_b32 v[4:5], v2, off
	global_store_b32 v[0:1], v3, off
	s_nop 0
	s_sendmsg sendmsg(MSG_DEALLOC_VGPRS)
	s_endpgm
	.section	.rodata,"a",@progbits
	.p2align	6, 0x0
	.amdhsa_kernel _Z12qssa2_kernelIfEvPT_S1_PKS0_
		.amdhsa_group_segment_fixed_size 0
		.amdhsa_private_segment_fixed_size 0
		.amdhsa_kernarg_size 280
		.amdhsa_user_sgpr_count 15
		.amdhsa_user_sgpr_dispatch_ptr 0
		.amdhsa_user_sgpr_queue_ptr 0
		.amdhsa_user_sgpr_kernarg_segment_ptr 1
		.amdhsa_user_sgpr_dispatch_id 0
		.amdhsa_user_sgpr_private_segment_size 0
		.amdhsa_wavefront_size32 1
		.amdhsa_uses_dynamic_stack 0
		.amdhsa_enable_private_segment 0
		.amdhsa_system_sgpr_workgroup_id_x 1
		.amdhsa_system_sgpr_workgroup_id_y 0
		.amdhsa_system_sgpr_workgroup_id_z 0
		.amdhsa_system_sgpr_workgroup_info 0
		.amdhsa_system_vgpr_workitem_id 0
		.amdhsa_next_free_vgpr 81
		.amdhsa_next_free_sgpr 16
		.amdhsa_reserve_vcc 1
		.amdhsa_float_round_mode_32 0
		.amdhsa_float_round_mode_16_64 0
		.amdhsa_float_denorm_mode_32 3
		.amdhsa_float_denorm_mode_16_64 3
		.amdhsa_dx10_clamp 1
		.amdhsa_ieee_mode 1
		.amdhsa_fp16_overflow 0
		.amdhsa_workgroup_processor_mode 1
		.amdhsa_memory_ordered 1
		.amdhsa_forward_progress 0
		.amdhsa_shared_vgpr_count 0
		.amdhsa_exception_fp_ieee_invalid_op 0
		.amdhsa_exception_fp_denorm_src 0
		.amdhsa_exception_fp_ieee_div_zero 0
		.amdhsa_exception_fp_ieee_overflow 0
		.amdhsa_exception_fp_ieee_underflow 0
		.amdhsa_exception_fp_ieee_inexact 0
		.amdhsa_exception_int_div_zero 0
	.end_amdhsa_kernel
	.section	.text._Z12qssa2_kernelIfEvPT_S1_PKS0_,"axG",@progbits,_Z12qssa2_kernelIfEvPT_S1_PKS0_,comdat
.Lfunc_end18:
	.size	_Z12qssa2_kernelIfEvPT_S1_PKS0_, .Lfunc_end18-_Z12qssa2_kernelIfEvPT_S1_PKS0_
                                        ; -- End function
	.section	.AMDGPU.csdata,"",@progbits
; Kernel info:
; codeLenInByte = 9136
; NumSgprs: 18
; NumVgprs: 81
; ScratchSize: 0
; MemoryBound: 0
; FloatMode: 240
; IeeeMode: 1
; LDSByteSize: 0 bytes/workgroup (compile time only)
; SGPRBlocks: 2
; VGPRBlocks: 10
; NumSGPRsForWavesPerEU: 18
; NumVGPRsForWavesPerEU: 81
; Occupancy: 16
; WaveLimiterHint : 0
; COMPUTE_PGM_RSRC2:SCRATCH_EN: 0
; COMPUTE_PGM_RSRC2:USER_SGPR: 15
; COMPUTE_PGM_RSRC2:TRAP_HANDLER: 0
; COMPUTE_PGM_RSRC2:TGID_X_EN: 1
; COMPUTE_PGM_RSRC2:TGID_Y_EN: 0
; COMPUTE_PGM_RSRC2:TGID_Z_EN: 0
; COMPUTE_PGM_RSRC2:TIDIG_COMP_CNT: 0
	.section	.text._Z13rdwdot_kernelIfEvPKT_S2_PS0_S0_S2_,"axG",@progbits,_Z13rdwdot_kernelIfEvPKT_S2_PS0_S0_S2_,comdat
	.protected	_Z13rdwdot_kernelIfEvPKT_S2_PS0_S0_S2_ ; -- Begin function _Z13rdwdot_kernelIfEvPKT_S2_PS0_S0_S2_
	.globl	_Z13rdwdot_kernelIfEvPKT_S2_PS0_S0_S2_
	.p2align	8
	.type	_Z13rdwdot_kernelIfEvPKT_S2_PS0_S0_S2_,@function
_Z13rdwdot_kernelIfEvPKT_S2_PS0_S0_S2_: ; @_Z13rdwdot_kernelIfEvPKT_S2_PS0_S0_S2_
; %bb.0:
	s_clause 0x5
	s_load_b128 s[4:7], s[0:1], 0x0
	s_load_b64 s[2:3], s[0:1], 0x10
	s_load_b32 s10, s[0:1], 0x18
	s_load_b64 s[8:9], s[0:1], 0x20
	s_load_b32 s11, s[0:1], 0x28
	s_load_b32 s0, s[0:1], 0x34
	v_mov_b32_e32 v3, 0
	s_waitcnt lgkmcnt(0)
	s_and_b32 s12, s0, 0xffff
	s_delay_alu instid0(SALU_CYCLE_1) | instskip(SKIP_1) | instid1(SALU_CYCLE_1)
	v_mad_u64_u32 v[1:2], null, s15, s12, v[0:1]
	s_mul_i32 s0, s11, s12
	s_lshl_b32 s1, s0, 2
	s_mul_i32 s11, s0, 6
	s_mul_i32 s12, s0, 7
	;; [unrolled: 1-line block ×3, first 2 shown]
	s_delay_alu instid0(VALU_DEP_1) | instskip(SKIP_3) | instid1(VALU_DEP_1)
	v_add_nc_u32_e32 v2, s1, v1
	s_lshl_b32 s14, s0, 1
	s_mul_i32 s15, s0, 3
	s_lshl_b32 s16, s0, 3
	v_lshlrev_b64 v[4:5], 2, v[2:3]
	v_add_nc_u32_e32 v2, s0, v2
	s_delay_alu instid0(VALU_DEP_2) | instskip(NEXT) | instid1(VALU_DEP_3)
	v_add_co_u32 v6, vcc_lo, s4, v4
	v_add_co_ci_u32_e32 v7, vcc_lo, s5, v5, vcc_lo
	v_add_co_u32 v4, vcc_lo, s6, v4
	v_add_co_ci_u32_e32 v5, vcc_lo, s7, v5, vcc_lo
	global_load_b32 v0, v[6:7], off
	global_load_b32 v4, v[4:5], off
	s_waitcnt vmcnt(0)
	v_sub_f32_e32 v0, v0, v4
	v_lshlrev_b64 v[4:5], 2, v[2:3]
	v_add_nc_u32_e32 v2, s0, v2
	s_delay_alu instid0(VALU_DEP_2) | instskip(NEXT) | instid1(VALU_DEP_3)
	v_add_co_u32 v6, vcc_lo, s4, v4
	v_add_co_ci_u32_e32 v7, vcc_lo, s5, v5, vcc_lo
	v_add_co_u32 v4, vcc_lo, s6, v4
	v_add_co_ci_u32_e32 v5, vcc_lo, s7, v5, vcc_lo
	global_load_b32 v6, v[6:7], off
	global_load_b32 v4, v[4:5], off
	s_waitcnt vmcnt(0)
	v_sub_f32_e32 v4, v6, v4
	s_delay_alu instid0(VALU_DEP_1) | instskip(SKIP_2) | instid1(VALU_DEP_2)
	v_add_f32_e32 v0, v0, v4
	v_lshlrev_b64 v[4:5], 2, v[2:3]
	v_add_nc_u32_e32 v2, s0, v2
	v_add_co_u32 v6, vcc_lo, s4, v4
	s_delay_alu instid0(VALU_DEP_3)
	v_add_co_ci_u32_e32 v7, vcc_lo, s5, v5, vcc_lo
	v_add_co_u32 v4, vcc_lo, s6, v4
	v_add_co_ci_u32_e32 v5, vcc_lo, s7, v5, vcc_lo
	global_load_b32 v6, v[6:7], off
	global_load_b32 v4, v[4:5], off
	s_waitcnt vmcnt(0)
	v_sub_f32_e32 v4, v6, v4
	s_delay_alu instid0(VALU_DEP_1) | instskip(SKIP_2) | instid1(VALU_DEP_2)
	v_add_f32_e32 v0, v0, v4
	v_lshlrev_b64 v[4:5], 2, v[2:3]
	v_add_nc_u32_e32 v2, s1, v2
	v_add_co_u32 v6, vcc_lo, s4, v4
	s_delay_alu instid0(VALU_DEP_3)
	;; [unrolled: 13-line block ×3, first 2 shown]
	v_add_co_ci_u32_e32 v7, vcc_lo, s5, v5, vcc_lo
	v_add_co_u32 v4, vcc_lo, s6, v4
	v_add_co_ci_u32_e32 v5, vcc_lo, s7, v5, vcc_lo
	global_load_b32 v0, v[6:7], off
	global_load_b32 v4, v[4:5], off
	s_waitcnt vmcnt(0)
	v_sub_f32_e32 v0, v0, v4
	v_lshlrev_b64 v[4:5], 2, v[2:3]
	v_add_nc_u32_e32 v2, s0, v2
	s_delay_alu instid0(VALU_DEP_2) | instskip(NEXT) | instid1(VALU_DEP_3)
	v_add_co_u32 v6, vcc_lo, s4, v4
	v_add_co_ci_u32_e32 v7, vcc_lo, s5, v5, vcc_lo
	v_add_co_u32 v4, vcc_lo, s6, v4
	v_add_co_ci_u32_e32 v5, vcc_lo, s7, v5, vcc_lo
	global_load_b32 v6, v[6:7], off
	global_load_b32 v4, v[4:5], off
	s_waitcnt vmcnt(0)
	v_sub_f32_e32 v4, v6, v4
	s_delay_alu instid0(VALU_DEP_1) | instskip(SKIP_2) | instid1(VALU_DEP_2)
	v_add_f32_e32 v0, v0, v4
	v_lshlrev_b64 v[4:5], 2, v[2:3]
	v_add_nc_u32_e32 v2, s0, v2
	v_add_co_u32 v6, vcc_lo, s4, v4
	s_delay_alu instid0(VALU_DEP_3)
	v_add_co_ci_u32_e32 v7, vcc_lo, s5, v5, vcc_lo
	v_add_co_u32 v4, vcc_lo, s6, v4
	v_add_co_ci_u32_e32 v5, vcc_lo, s7, v5, vcc_lo
	global_load_b32 v6, v[6:7], off
	global_load_b32 v4, v[4:5], off
	s_waitcnt vmcnt(0)
	v_sub_f32_e32 v4, v6, v4
	s_delay_alu instid0(VALU_DEP_1) | instskip(SKIP_1) | instid1(VALU_DEP_1)
	v_add_f32_e32 v0, v0, v4
	v_lshlrev_b64 v[4:5], 2, v[2:3]
	v_add_co_u32 v6, vcc_lo, s4, v4
	s_delay_alu instid0(VALU_DEP_2)
	v_add_co_ci_u32_e32 v7, vcc_lo, s5, v5, vcc_lo
	v_add_co_u32 v4, vcc_lo, s6, v4
	v_add_co_ci_u32_e32 v5, vcc_lo, s7, v5, vcc_lo
	global_load_b32 v2, v[6:7], off
	global_load_b32 v4, v[4:5], off
	s_waitcnt vmcnt(0)
	v_sub_f32_e32 v2, v2, v4
	s_delay_alu instid0(VALU_DEP_1) | instskip(NEXT) | instid1(VALU_DEP_1)
	v_dual_add_f32 v9, v0, v2 :: v_dual_mov_b32 v2, v3
	v_lshlrev_b64 v[4:5], 2, v[1:2]
	s_delay_alu instid0(VALU_DEP_1) | instskip(NEXT) | instid1(VALU_DEP_2)
	v_add_co_u32 v6, vcc_lo, s4, v4
	v_add_co_ci_u32_e32 v7, vcc_lo, s5, v5, vcc_lo
	v_add_co_u32 v4, vcc_lo, s6, v4
	v_add_co_ci_u32_e32 v5, vcc_lo, s7, v5, vcc_lo
	global_load_b32 v0, v[6:7], off
	global_load_b32 v2, v[4:5], off
	s_waitcnt vmcnt(0)
	v_sub_f32_e32 v6, v0, v2
	v_add_nc_u32_e32 v2, s0, v1
	s_delay_alu instid0(VALU_DEP_1) | instskip(SKIP_1) | instid1(VALU_DEP_2)
	v_lshlrev_b64 v[0:1], 2, v[2:3]
	v_add_nc_u32_e32 v2, s0, v2
	v_add_co_u32 v4, vcc_lo, s4, v0
	s_delay_alu instid0(VALU_DEP_3)
	v_add_co_ci_u32_e32 v5, vcc_lo, s5, v1, vcc_lo
	global_load_b32 v7, v[4:5], off
	v_add_co_u32 v4, vcc_lo, s6, v0
	v_add_co_ci_u32_e32 v5, vcc_lo, s7, v1, vcc_lo
	global_load_b32 v4, v[4:5], off
	s_waitcnt vmcnt(0)
	v_sub_f32_e32 v4, v7, v4
	s_delay_alu instid0(VALU_DEP_1) | instskip(SKIP_2) | instid1(VALU_DEP_2)
	v_sub_f32_e32 v10, v4, v6
	v_lshlrev_b64 v[4:5], 2, v[2:3]
	v_add_nc_u32_e32 v2, s11, v2
	v_add_co_u32 v6, vcc_lo, s4, v4
	s_delay_alu instid0(VALU_DEP_3)
	v_add_co_ci_u32_e32 v7, vcc_lo, s5, v5, vcc_lo
	v_add_co_u32 v4, vcc_lo, s6, v4
	v_add_co_ci_u32_e32 v5, vcc_lo, s7, v5, vcc_lo
	global_load_b32 v6, v[6:7], off
	global_load_b32 v4, v[4:5], off
	s_waitcnt vmcnt(0)
	v_sub_f32_e32 v4, v6, v4
	s_delay_alu instid0(VALU_DEP_1) | instskip(NEXT) | instid1(VALU_DEP_1)
	v_add_f32_e32 v4, v10, v4
	v_sub_f32_e32 v4, v4, v8
	s_delay_alu instid0(VALU_DEP_1) | instskip(SKIP_2) | instid1(VALU_DEP_2)
	v_sub_f32_e32 v8, v4, v8
	v_lshlrev_b64 v[4:5], 2, v[2:3]
	v_add_nc_u32_e32 v2, s0, v2
	v_add_co_u32 v6, vcc_lo, s4, v4
	s_delay_alu instid0(VALU_DEP_3)
	v_add_co_ci_u32_e32 v7, vcc_lo, s5, v5, vcc_lo
	v_add_co_u32 v4, vcc_lo, s6, v4
	v_add_co_ci_u32_e32 v5, vcc_lo, s7, v5, vcc_lo
	global_load_b32 v6, v[6:7], off
	global_load_b32 v4, v[4:5], off
	s_waitcnt vmcnt(0)
	v_sub_f32_e32 v4, v6, v4
	s_delay_alu instid0(VALU_DEP_1) | instskip(SKIP_2) | instid1(VALU_DEP_2)
	v_sub_f32_e32 v8, v8, v4
	v_lshlrev_b64 v[4:5], 2, v[2:3]
	v_add_nc_u32_e32 v2, s12, v2
	v_add_co_u32 v6, vcc_lo, s4, v4
	s_delay_alu instid0(VALU_DEP_3)
	v_add_co_ci_u32_e32 v7, vcc_lo, s5, v5, vcc_lo
	v_add_co_u32 v4, vcc_lo, s6, v4
	v_add_co_ci_u32_e32 v5, vcc_lo, s7, v5, vcc_lo
	global_load_b32 v6, v[6:7], off
	global_load_b32 v4, v[4:5], off
	s_waitcnt vmcnt(0)
	v_sub_f32_e32 v4, v6, v4
	s_delay_alu instid0(VALU_DEP_1) | instskip(NEXT) | instid1(VALU_DEP_1)
	v_sub_f32_e32 v4, v8, v4
	v_sub_f32_e32 v8, v4, v9
	v_lshlrev_b64 v[4:5], 2, v[2:3]
	v_add_nc_u32_e32 v2, s0, v2
	s_delay_alu instid0(VALU_DEP_2) | instskip(NEXT) | instid1(VALU_DEP_3)
	v_add_co_u32 v6, vcc_lo, s4, v4
	v_add_co_ci_u32_e32 v7, vcc_lo, s5, v5, vcc_lo
	v_add_co_u32 v4, vcc_lo, s6, v4
	v_add_co_ci_u32_e32 v5, vcc_lo, s7, v5, vcc_lo
	global_load_b32 v6, v[6:7], off
	global_load_b32 v4, v[4:5], off
	s_waitcnt vmcnt(0)
	v_sub_f32_e32 v4, v6, v4
	s_delay_alu instid0(VALU_DEP_1) | instskip(SKIP_2) | instid1(VALU_DEP_2)
	v_sub_f32_e32 v8, v8, v4
	v_lshlrev_b64 v[4:5], 2, v[2:3]
	v_add_nc_u32_e32 v2, s0, v2
	v_add_co_u32 v6, vcc_lo, s4, v4
	s_delay_alu instid0(VALU_DEP_3)
	v_add_co_ci_u32_e32 v7, vcc_lo, s5, v5, vcc_lo
	v_add_co_u32 v4, vcc_lo, s6, v4
	v_add_co_ci_u32_e32 v5, vcc_lo, s7, v5, vcc_lo
	global_load_b32 v6, v[6:7], off
	global_load_b32 v4, v[4:5], off
	s_waitcnt vmcnt(0)
	v_sub_f32_e32 v4, v6, v4
	s_delay_alu instid0(VALU_DEP_1) | instskip(SKIP_2) | instid1(VALU_DEP_2)
	v_sub_f32_e32 v8, v8, v4
	v_lshlrev_b64 v[4:5], 2, v[2:3]
	v_add_nc_u32_e32 v2, s13, v2
	v_add_co_u32 v6, vcc_lo, s4, v4
	s_delay_alu instid0(VALU_DEP_3)
	;; [unrolled: 13-line block ×5, first 2 shown]
	v_add_co_ci_u32_e32 v7, vcc_lo, s5, v5, vcc_lo
	v_add_co_u32 v4, vcc_lo, s6, v4
	v_add_co_ci_u32_e32 v5, vcc_lo, s7, v5, vcc_lo
	global_load_b32 v6, v[6:7], off
	global_load_b32 v4, v[4:5], off
	s_waitcnt vmcnt(0)
	v_sub_f32_e32 v4, v6, v4
	s_delay_alu instid0(VALU_DEP_1) | instskip(SKIP_2) | instid1(VALU_DEP_2)
	v_add_f32_e32 v8, v8, v4
	v_lshlrev_b64 v[4:5], 2, v[2:3]
	v_add_nc_u32_e32 v2, s0, v2
	v_add_co_u32 v6, vcc_lo, s4, v4
	s_delay_alu instid0(VALU_DEP_3)
	v_add_co_ci_u32_e32 v7, vcc_lo, s5, v5, vcc_lo
	v_add_co_u32 v4, vcc_lo, s6, v4
	v_add_co_ci_u32_e32 v5, vcc_lo, s7, v5, vcc_lo
	global_load_b32 v6, v[6:7], off
	global_load_b32 v4, v[4:5], off
	s_waitcnt vmcnt(0)
	v_sub_f32_e32 v4, v6, v4
	s_delay_alu instid0(VALU_DEP_1) | instskip(SKIP_2) | instid1(VALU_DEP_2)
	v_add_f32_e32 v8, v8, v4
	v_lshlrev_b64 v[4:5], 2, v[2:3]
	v_add_nc_u32_e32 v2, s0, v2
	v_add_co_u32 v6, vcc_lo, s4, v4
	s_delay_alu instid0(VALU_DEP_3)
	;; [unrolled: 13-line block ×5, first 2 shown]
	v_add_co_ci_u32_e32 v7, vcc_lo, s5, v5, vcc_lo
	v_add_co_u32 v4, vcc_lo, s6, v4
	v_add_co_ci_u32_e32 v5, vcc_lo, s7, v5, vcc_lo
	global_load_b32 v6, v[6:7], off
	global_load_b32 v4, v[4:5], off
	s_waitcnt vmcnt(0)
	v_sub_f32_e32 v4, v6, v4
	s_delay_alu instid0(VALU_DEP_1) | instskip(SKIP_2) | instid1(VALU_DEP_2)
	v_sub_f32_e32 v8, v8, v4
	v_lshlrev_b64 v[4:5], 2, v[2:3]
	v_add_nc_u32_e32 v2, s14, v2
	v_add_co_u32 v6, vcc_lo, s4, v4
	s_delay_alu instid0(VALU_DEP_3)
	v_add_co_ci_u32_e32 v7, vcc_lo, s5, v5, vcc_lo
	v_add_co_u32 v4, vcc_lo, s6, v4
	v_add_co_ci_u32_e32 v5, vcc_lo, s7, v5, vcc_lo
	global_load_b32 v6, v[6:7], off
	global_load_b32 v4, v[4:5], off
	s_waitcnt vmcnt(0)
	v_sub_f32_e32 v4, v6, v4
	s_delay_alu instid0(VALU_DEP_1) | instskip(SKIP_2) | instid1(VALU_DEP_2)
	v_sub_f32_e32 v8, v8, v4
	v_lshlrev_b64 v[4:5], 2, v[2:3]
	v_add_nc_u32_e32 v2, s14, v2
	v_add_co_u32 v6, vcc_lo, s4, v4
	s_delay_alu instid0(VALU_DEP_3)
	v_add_co_ci_u32_e32 v7, vcc_lo, s5, v5, vcc_lo
	v_add_co_u32 v4, vcc_lo, s6, v4
	v_add_co_ci_u32_e32 v5, vcc_lo, s7, v5, vcc_lo
	global_load_b32 v6, v[6:7], off
	global_load_b32 v4, v[4:5], off
	s_waitcnt vmcnt(0)
	v_sub_f32_e32 v4, v6, v4
	s_delay_alu instid0(VALU_DEP_1) | instskip(SKIP_2) | instid1(VALU_DEP_2)
	v_add_f32_e32 v8, v8, v4
	v_lshlrev_b64 v[4:5], 2, v[2:3]
	v_add_nc_u32_e32 v2, s14, v2
	v_add_co_u32 v6, vcc_lo, s4, v4
	s_delay_alu instid0(VALU_DEP_3)
	v_add_co_ci_u32_e32 v7, vcc_lo, s5, v5, vcc_lo
	v_add_co_u32 v4, vcc_lo, s6, v4
	v_add_co_ci_u32_e32 v5, vcc_lo, s7, v5, vcc_lo
	global_load_b32 v6, v[6:7], off
	global_load_b32 v4, v[4:5], off
	s_waitcnt vmcnt(0)
	v_sub_f32_e32 v4, v6, v4
	s_delay_alu instid0(VALU_DEP_1) | instskip(SKIP_2) | instid1(VALU_DEP_2)
	v_add_f32_e32 v8, v8, v4
	v_lshlrev_b64 v[4:5], 2, v[2:3]
	v_add_nc_u32_e32 v2, s0, v2
	v_add_co_u32 v6, vcc_lo, s4, v4
	s_delay_alu instid0(VALU_DEP_3)
	v_add_co_ci_u32_e32 v7, vcc_lo, s5, v5, vcc_lo
	v_add_co_u32 v4, vcc_lo, s6, v4
	v_add_co_ci_u32_e32 v5, vcc_lo, s7, v5, vcc_lo
	global_load_b32 v6, v[6:7], off
	global_load_b32 v4, v[4:5], off
	s_waitcnt vmcnt(0)
	v_sub_f32_e32 v4, v6, v4
	s_delay_alu instid0(VALU_DEP_1) | instskip(SKIP_2) | instid1(VALU_DEP_2)
	v_sub_f32_e32 v8, v8, v4
	v_lshlrev_b64 v[4:5], 2, v[2:3]
	v_add_nc_u32_e32 v2, s0, v2
	v_add_co_u32 v6, vcc_lo, s4, v4
	s_delay_alu instid0(VALU_DEP_3)
	v_add_co_ci_u32_e32 v7, vcc_lo, s5, v5, vcc_lo
	v_add_co_u32 v4, vcc_lo, s6, v4
	v_add_co_ci_u32_e32 v5, vcc_lo, s7, v5, vcc_lo
	global_load_b32 v6, v[6:7], off
	global_load_b32 v4, v[4:5], off
	s_waitcnt vmcnt(0)
	v_sub_f32_e32 v4, v6, v4
	s_delay_alu instid0(VALU_DEP_1) | instskip(SKIP_2) | instid1(VALU_DEP_2)
	v_add_f32_e32 v8, v8, v4
	v_lshlrev_b64 v[4:5], 2, v[2:3]
	v_add_nc_u32_e32 v2, s14, v2
	v_add_co_u32 v6, vcc_lo, s4, v4
	s_delay_alu instid0(VALU_DEP_3)
	v_add_co_ci_u32_e32 v7, vcc_lo, s5, v5, vcc_lo
	v_add_co_u32 v4, vcc_lo, s6, v4
	v_add_co_ci_u32_e32 v5, vcc_lo, s7, v5, vcc_lo
	global_load_b32 v6, v[6:7], off
	global_load_b32 v4, v[4:5], off
	s_waitcnt vmcnt(0)
	v_sub_f32_e32 v4, v6, v4
	s_delay_alu instid0(VALU_DEP_1) | instskip(SKIP_2) | instid1(VALU_DEP_2)
	v_add_f32_e32 v8, v8, v4
	v_lshlrev_b64 v[4:5], 2, v[2:3]
	v_add_nc_u32_e32 v2, s0, v2
	v_add_co_u32 v6, vcc_lo, s4, v4
	s_delay_alu instid0(VALU_DEP_3)
	v_add_co_ci_u32_e32 v7, vcc_lo, s5, v5, vcc_lo
	v_add_co_u32 v4, vcc_lo, s6, v4
	v_add_co_ci_u32_e32 v5, vcc_lo, s7, v5, vcc_lo
	global_load_b32 v6, v[6:7], off
	global_load_b32 v4, v[4:5], off
	s_waitcnt vmcnt(0)
	v_sub_f32_e32 v4, v6, v4
	s_delay_alu instid0(VALU_DEP_1) | instskip(NEXT) | instid1(VALU_DEP_1)
	v_add_f32_e32 v5, v8, v4
	v_add_f32_e32 v8, v4, v5
	v_lshlrev_b64 v[4:5], 2, v[2:3]
	v_add_nc_u32_e32 v2, s1, v2
	s_delay_alu instid0(VALU_DEP_2) | instskip(NEXT) | instid1(VALU_DEP_3)
	v_add_co_u32 v6, vcc_lo, s4, v4
	v_add_co_ci_u32_e32 v7, vcc_lo, s5, v5, vcc_lo
	v_add_co_u32 v4, vcc_lo, s6, v4
	v_add_co_ci_u32_e32 v5, vcc_lo, s7, v5, vcc_lo
	global_load_b32 v6, v[6:7], off
	global_load_b32 v4, v[4:5], off
	s_waitcnt vmcnt(0)
	v_sub_f32_e32 v4, v6, v4
	s_delay_alu instid0(VALU_DEP_1) | instskip(SKIP_2) | instid1(VALU_DEP_2)
	v_add_f32_e32 v8, v8, v4
	v_lshlrev_b64 v[4:5], 2, v[2:3]
	v_add_nc_u32_e32 v2, s15, v2
	v_add_co_u32 v6, vcc_lo, s4, v4
	s_delay_alu instid0(VALU_DEP_3)
	v_add_co_ci_u32_e32 v7, vcc_lo, s5, v5, vcc_lo
	v_add_co_u32 v4, vcc_lo, s6, v4
	v_add_co_ci_u32_e32 v5, vcc_lo, s7, v5, vcc_lo
	global_load_b32 v6, v[6:7], off
	global_load_b32 v4, v[4:5], off
	s_waitcnt vmcnt(0)
	v_sub_f32_e32 v4, v6, v4
	s_delay_alu instid0(VALU_DEP_1) | instskip(SKIP_2) | instid1(VALU_DEP_2)
	v_add_f32_e32 v8, v8, v4
	v_lshlrev_b64 v[4:5], 2, v[2:3]
	v_add_nc_u32_e32 v2, s14, v2
	v_add_co_u32 v6, vcc_lo, s4, v4
	s_delay_alu instid0(VALU_DEP_3)
	v_add_co_ci_u32_e32 v7, vcc_lo, s5, v5, vcc_lo
	v_add_co_u32 v4, vcc_lo, s6, v4
	v_add_co_ci_u32_e32 v5, vcc_lo, s7, v5, vcc_lo
	global_load_b32 v6, v[6:7], off
	global_load_b32 v4, v[4:5], off
	s_waitcnt vmcnt(0)
	v_sub_f32_e32 v4, v6, v4
	s_delay_alu instid0(VALU_DEP_1) | instskip(SKIP_2) | instid1(VALU_DEP_2)
	v_sub_f32_e32 v8, v8, v4
	v_lshlrev_b64 v[4:5], 2, v[2:3]
	v_add_nc_u32_e32 v2, s0, v2
	v_add_co_u32 v6, vcc_lo, s4, v4
	s_delay_alu instid0(VALU_DEP_3)
	v_add_co_ci_u32_e32 v7, vcc_lo, s5, v5, vcc_lo
	v_add_co_u32 v4, vcc_lo, s6, v4
	v_add_co_ci_u32_e32 v5, vcc_lo, s7, v5, vcc_lo
	global_load_b32 v6, v[6:7], off
	global_load_b32 v4, v[4:5], off
	s_waitcnt vmcnt(0)
	v_sub_f32_e32 v4, v6, v4
	s_delay_alu instid0(VALU_DEP_1) | instskip(SKIP_2) | instid1(VALU_DEP_2)
	v_add_f32_e32 v8, v8, v4
	v_lshlrev_b64 v[4:5], 2, v[2:3]
	v_add_nc_u32_e32 v2, s0, v2
	v_add_co_u32 v6, vcc_lo, s4, v4
	s_delay_alu instid0(VALU_DEP_3)
	v_add_co_ci_u32_e32 v7, vcc_lo, s5, v5, vcc_lo
	v_add_co_u32 v4, vcc_lo, s6, v4
	v_add_co_ci_u32_e32 v5, vcc_lo, s7, v5, vcc_lo
	global_load_b32 v6, v[6:7], off
	global_load_b32 v4, v[4:5], off
	s_waitcnt vmcnt(0)
	v_sub_f32_e32 v4, v6, v4
	s_delay_alu instid0(VALU_DEP_1) | instskip(SKIP_2) | instid1(VALU_DEP_2)
	v_add_f32_e32 v8, v8, v4
	;; [unrolled: 13-line block ×4, first 2 shown]
	v_lshlrev_b64 v[4:5], 2, v[2:3]
	v_add_nc_u32_e32 v2, s0, v2
	v_add_co_u32 v6, vcc_lo, s4, v4
	s_delay_alu instid0(VALU_DEP_3)
	v_add_co_ci_u32_e32 v7, vcc_lo, s5, v5, vcc_lo
	v_add_co_u32 v4, vcc_lo, s6, v4
	v_add_co_ci_u32_e32 v5, vcc_lo, s7, v5, vcc_lo
	global_load_b32 v6, v[6:7], off
	global_load_b32 v4, v[4:5], off
	s_waitcnt vmcnt(0)
	v_sub_f32_e32 v4, v6, v4
	s_delay_alu instid0(VALU_DEP_1) | instskip(SKIP_2) | instid1(VALU_DEP_2)
	v_sub_f32_e32 v8, v8, v4
	v_lshlrev_b64 v[4:5], 2, v[2:3]
	v_add_nc_u32_e32 v2, s13, v2
	v_add_co_u32 v6, vcc_lo, s4, v4
	s_delay_alu instid0(VALU_DEP_3)
	v_add_co_ci_u32_e32 v7, vcc_lo, s5, v5, vcc_lo
	v_add_co_u32 v4, vcc_lo, s6, v4
	v_add_co_ci_u32_e32 v5, vcc_lo, s7, v5, vcc_lo
	global_load_b32 v6, v[6:7], off
	global_load_b32 v4, v[4:5], off
	s_waitcnt vmcnt(0)
	v_sub_f32_e32 v4, v6, v4
	s_delay_alu instid0(VALU_DEP_1) | instskip(SKIP_2) | instid1(VALU_DEP_2)
	v_sub_f32_e32 v8, v8, v4
	v_lshlrev_b64 v[4:5], 2, v[2:3]
	v_add_nc_u32_e32 v2, s0, v2
	v_add_co_u32 v6, vcc_lo, s4, v4
	s_delay_alu instid0(VALU_DEP_3)
	v_add_co_ci_u32_e32 v7, vcc_lo, s5, v5, vcc_lo
	v_add_co_u32 v4, vcc_lo, s6, v4
	v_add_co_ci_u32_e32 v5, vcc_lo, s7, v5, vcc_lo
	global_load_b32 v6, v[6:7], off
	global_load_b32 v4, v[4:5], off
	s_waitcnt vmcnt(0)
	v_sub_f32_e32 v4, v6, v4
	s_delay_alu instid0(VALU_DEP_1) | instskip(SKIP_2) | instid1(VALU_DEP_2)
	v_add_f32_e32 v8, v8, v4
	v_lshlrev_b64 v[4:5], 2, v[2:3]
	v_add_nc_u32_e32 v2, s0, v2
	v_add_co_u32 v6, vcc_lo, s4, v4
	s_delay_alu instid0(VALU_DEP_3)
	v_add_co_ci_u32_e32 v7, vcc_lo, s5, v5, vcc_lo
	v_add_co_u32 v4, vcc_lo, s6, v4
	v_add_co_ci_u32_e32 v5, vcc_lo, s7, v5, vcc_lo
	global_load_b32 v6, v[6:7], off
	global_load_b32 v4, v[4:5], off
	s_waitcnt vmcnt(0)
	v_sub_f32_e32 v4, v6, v4
	s_delay_alu instid0(VALU_DEP_1) | instskip(SKIP_2) | instid1(VALU_DEP_2)
	v_sub_f32_e32 v8, v8, v4
	v_lshlrev_b64 v[4:5], 2, v[2:3]
	v_add_nc_u32_e32 v2, s16, v2
	v_add_co_u32 v6, vcc_lo, s4, v4
	s_delay_alu instid0(VALU_DEP_3)
	v_add_co_ci_u32_e32 v7, vcc_lo, s5, v5, vcc_lo
	v_add_co_u32 v4, vcc_lo, s6, v4
	v_add_co_ci_u32_e32 v5, vcc_lo, s7, v5, vcc_lo
	global_load_b32 v6, v[6:7], off
	global_load_b32 v4, v[4:5], off
	s_waitcnt vmcnt(0)
	v_sub_f32_e32 v4, v6, v4
	s_delay_alu instid0(VALU_DEP_1) | instskip(SKIP_2) | instid1(VALU_DEP_2)
	v_add_f32_e32 v8, v8, v4
	v_lshlrev_b64 v[4:5], 2, v[2:3]
	v_add_nc_u32_e32 v2, s1, v2
	v_add_co_u32 v6, vcc_lo, s4, v4
	s_delay_alu instid0(VALU_DEP_3)
	v_add_co_ci_u32_e32 v7, vcc_lo, s5, v5, vcc_lo
	v_add_co_u32 v4, vcc_lo, s6, v4
	v_add_co_ci_u32_e32 v5, vcc_lo, s7, v5, vcc_lo
	global_load_b32 v6, v[6:7], off
	global_load_b32 v4, v[4:5], off
	s_waitcnt vmcnt(0)
	v_sub_f32_e32 v4, v6, v4
	s_delay_alu instid0(VALU_DEP_1) | instskip(SKIP_2) | instid1(VALU_DEP_2)
	v_add_f32_e32 v8, v8, v4
	;; [unrolled: 13-line block ×5, first 2 shown]
	v_lshlrev_b64 v[4:5], 2, v[2:3]
	v_add_nc_u32_e32 v2, s0, v2
	v_add_co_u32 v6, vcc_lo, s4, v4
	s_delay_alu instid0(VALU_DEP_3)
	v_add_co_ci_u32_e32 v7, vcc_lo, s5, v5, vcc_lo
	v_add_co_u32 v4, vcc_lo, s6, v4
	v_add_co_ci_u32_e32 v5, vcc_lo, s7, v5, vcc_lo
	global_load_b32 v6, v[6:7], off
	global_load_b32 v4, v[4:5], off
	s_waitcnt vmcnt(0)
	v_sub_f32_e32 v4, v6, v4
	s_delay_alu instid0(VALU_DEP_1) | instskip(SKIP_2) | instid1(VALU_DEP_2)
	v_sub_f32_e32 v8, v8, v4
	v_lshlrev_b64 v[4:5], 2, v[2:3]
	v_add_nc_u32_e32 v2, s0, v2
	v_add_co_u32 v6, vcc_lo, s4, v4
	s_delay_alu instid0(VALU_DEP_3)
	v_add_co_ci_u32_e32 v7, vcc_lo, s5, v5, vcc_lo
	v_add_co_u32 v4, vcc_lo, s6, v4
	v_add_co_ci_u32_e32 v5, vcc_lo, s7, v5, vcc_lo
	global_load_b32 v6, v[6:7], off
	global_load_b32 v4, v[4:5], off
	s_waitcnt vmcnt(0)
	v_sub_f32_e32 v4, v6, v4
	s_delay_alu instid0(VALU_DEP_1) | instskip(SKIP_2) | instid1(VALU_DEP_2)
	v_sub_f32_e32 v8, v8, v4
	;; [unrolled: 13-line block ×4, first 2 shown]
	v_lshlrev_b64 v[4:5], 2, v[2:3]
	v_add_nc_u32_e32 v2, s15, v2
	v_add_co_u32 v6, vcc_lo, s4, v4
	s_delay_alu instid0(VALU_DEP_3)
	v_add_co_ci_u32_e32 v7, vcc_lo, s5, v5, vcc_lo
	v_add_co_u32 v4, vcc_lo, s6, v4
	v_add_co_ci_u32_e32 v5, vcc_lo, s7, v5, vcc_lo
	global_load_b32 v6, v[6:7], off
	global_load_b32 v4, v[4:5], off
	s_waitcnt vmcnt(0)
	v_sub_f32_e32 v4, v6, v4
	s_delay_alu instid0(VALU_DEP_1) | instskip(SKIP_2) | instid1(VALU_DEP_2)
	v_add_f32_e32 v8, v8, v4
	v_lshlrev_b64 v[4:5], 2, v[2:3]
	v_add_nc_u32_e32 v2, s0, v2
	v_add_co_u32 v6, vcc_lo, s4, v4
	s_delay_alu instid0(VALU_DEP_3)
	v_add_co_ci_u32_e32 v7, vcc_lo, s5, v5, vcc_lo
	v_add_co_u32 v4, vcc_lo, s6, v4
	v_add_co_ci_u32_e32 v5, vcc_lo, s7, v5, vcc_lo
	global_load_b32 v6, v[6:7], off
	global_load_b32 v4, v[4:5], off
	s_waitcnt vmcnt(0)
	v_sub_f32_e32 v4, v6, v4
	s_delay_alu instid0(VALU_DEP_1) | instskip(SKIP_2) | instid1(VALU_DEP_2)
	v_sub_f32_e32 v8, v8, v4
	v_lshlrev_b64 v[4:5], 2, v[2:3]
	v_add_nc_u32_e32 v2, s11, v2
	v_add_co_u32 v6, vcc_lo, s4, v4
	s_delay_alu instid0(VALU_DEP_3)
	v_add_co_ci_u32_e32 v7, vcc_lo, s5, v5, vcc_lo
	v_add_co_u32 v4, vcc_lo, s6, v4
	v_add_co_ci_u32_e32 v5, vcc_lo, s7, v5, vcc_lo
	global_load_b32 v6, v[6:7], off
	global_load_b32 v4, v[4:5], off
	s_waitcnt vmcnt(0)
	v_sub_f32_e32 v4, v6, v4
	s_delay_alu instid0(VALU_DEP_1) | instskip(SKIP_2) | instid1(VALU_DEP_2)
	v_add_f32_e32 v8, v8, v4
	v_lshlrev_b64 v[4:5], 2, v[2:3]
	v_add_nc_u32_e32 v2, s0, v2
	v_add_co_u32 v6, vcc_lo, s4, v4
	s_delay_alu instid0(VALU_DEP_3)
	v_add_co_ci_u32_e32 v7, vcc_lo, s5, v5, vcc_lo
	v_add_co_u32 v4, vcc_lo, s6, v4
	v_add_co_ci_u32_e32 v5, vcc_lo, s7, v5, vcc_lo
	global_load_b32 v6, v[6:7], off
	global_load_b32 v4, v[4:5], off
	s_waitcnt vmcnt(0)
	v_sub_f32_e32 v4, v6, v4
	s_delay_alu instid0(VALU_DEP_1) | instskip(SKIP_2) | instid1(VALU_DEP_2)
	v_add_f32_e32 v8, v8, v4
	;; [unrolled: 13-line block ×5, first 2 shown]
	v_lshlrev_b64 v[4:5], 2, v[2:3]
	v_add_nc_u32_e32 v2, s0, v2
	v_add_co_u32 v6, vcc_lo, s4, v4
	s_delay_alu instid0(VALU_DEP_3)
	v_add_co_ci_u32_e32 v7, vcc_lo, s5, v5, vcc_lo
	v_add_co_u32 v4, vcc_lo, s6, v4
	v_add_co_ci_u32_e32 v5, vcc_lo, s7, v5, vcc_lo
	global_load_b32 v6, v[6:7], off
	global_load_b32 v4, v[4:5], off
	s_waitcnt vmcnt(0)
	v_sub_f32_e32 v4, v6, v4
	s_delay_alu instid0(VALU_DEP_1) | instskip(SKIP_2) | instid1(VALU_DEP_2)
	v_sub_f32_e32 v8, v8, v4
	v_lshlrev_b64 v[4:5], 2, v[2:3]
	v_add_nc_u32_e32 v2, s0, v2
	v_add_co_u32 v6, vcc_lo, s4, v4
	s_delay_alu instid0(VALU_DEP_3)
	v_add_co_ci_u32_e32 v7, vcc_lo, s5, v5, vcc_lo
	v_add_co_u32 v4, vcc_lo, s6, v4
	v_add_co_ci_u32_e32 v5, vcc_lo, s7, v5, vcc_lo
	global_load_b32 v6, v[6:7], off
	global_load_b32 v4, v[4:5], off
	s_waitcnt vmcnt(0)
	v_sub_f32_e32 v4, v6, v4
	s_delay_alu instid0(VALU_DEP_1) | instskip(SKIP_2) | instid1(VALU_DEP_2)
	v_sub_f32_e32 v8, v8, v4
	;; [unrolled: 13-line block ×5, first 2 shown]
	v_lshlrev_b64 v[4:5], 2, v[2:3]
	v_add_nc_u32_e32 v2, s0, v2
	v_add_co_u32 v6, vcc_lo, s4, v4
	s_delay_alu instid0(VALU_DEP_3)
	v_add_co_ci_u32_e32 v7, vcc_lo, s5, v5, vcc_lo
	v_add_co_u32 v4, vcc_lo, s6, v4
	v_add_co_ci_u32_e32 v5, vcc_lo, s7, v5, vcc_lo
	global_load_b32 v6, v[6:7], off
	global_load_b32 v4, v[4:5], off
	s_waitcnt vmcnt(0)
	v_sub_f32_e32 v4, v6, v4
	s_delay_alu instid0(VALU_DEP_1) | instskip(SKIP_1) | instid1(VALU_DEP_1)
	v_sub_f32_e32 v8, v8, v4
	v_lshlrev_b64 v[4:5], 2, v[2:3]
	v_add_co_u32 v6, vcc_lo, s4, v4
	s_delay_alu instid0(VALU_DEP_2)
	v_add_co_ci_u32_e32 v7, vcc_lo, s5, v5, vcc_lo
	v_add_co_u32 v4, vcc_lo, s6, v4
	v_add_co_ci_u32_e32 v5, vcc_lo, s7, v5, vcc_lo
	global_load_b32 v6, v[6:7], off
	global_load_b32 v4, v[4:5], off
	s_waitcnt vmcnt(0)
	v_sub_f32_e32 v4, v6, v4
	s_delay_alu instid0(VALU_DEP_1) | instskip(SKIP_2) | instid1(VALU_DEP_1)
	v_add_f32_e32 v9, v8, v4
	v_mad_u64_u32 v[4:5], null, s0, 11, v[2:3]
	v_mov_b32_e32 v5, v3
	v_lshlrev_b64 v[5:6], 2, v[4:5]
	s_delay_alu instid0(VALU_DEP_1) | instskip(NEXT) | instid1(VALU_DEP_2)
	v_add_co_u32 v7, vcc_lo, s4, v5
	v_add_co_ci_u32_e32 v8, vcc_lo, s5, v6, vcc_lo
	v_add_co_u32 v5, vcc_lo, s6, v5
	v_add_co_ci_u32_e32 v6, vcc_lo, s7, v6, vcc_lo
	global_load_b32 v2, v[7:8], off
	global_load_b32 v5, v[5:6], off
	s_waitcnt vmcnt(0)
	v_sub_f32_e32 v2, v2, v5
	s_delay_alu instid0(VALU_DEP_1) | instskip(SKIP_1) | instid1(VALU_DEP_1)
	v_add_f32_e32 v8, v9, v2
	v_add_nc_u32_e32 v2, s14, v4
	v_lshlrev_b64 v[4:5], 2, v[2:3]
	v_add_nc_u32_e32 v2, s0, v2
	s_delay_alu instid0(VALU_DEP_2) | instskip(NEXT) | instid1(VALU_DEP_3)
	v_add_co_u32 v6, vcc_lo, s4, v4
	v_add_co_ci_u32_e32 v7, vcc_lo, s5, v5, vcc_lo
	v_add_co_u32 v4, vcc_lo, s6, v4
	v_add_co_ci_u32_e32 v5, vcc_lo, s7, v5, vcc_lo
	global_load_b32 v6, v[6:7], off
	global_load_b32 v4, v[4:5], off
	s_waitcnt vmcnt(0)
	v_sub_f32_e32 v4, v6, v4
	s_delay_alu instid0(VALU_DEP_1) | instskip(SKIP_2) | instid1(VALU_DEP_2)
	v_sub_f32_e32 v8, v8, v4
	v_lshlrev_b64 v[4:5], 2, v[2:3]
	v_add_nc_u32_e32 v2, s0, v2
	v_add_co_u32 v6, vcc_lo, s4, v4
	s_delay_alu instid0(VALU_DEP_3)
	v_add_co_ci_u32_e32 v7, vcc_lo, s5, v5, vcc_lo
	v_add_co_u32 v4, vcc_lo, s6, v4
	v_add_co_ci_u32_e32 v5, vcc_lo, s7, v5, vcc_lo
	global_load_b32 v6, v[6:7], off
	global_load_b32 v4, v[4:5], off
	s_waitcnt vmcnt(0)
	v_sub_f32_e32 v4, v6, v4
	s_delay_alu instid0(VALU_DEP_1) | instskip(SKIP_2) | instid1(VALU_DEP_2)
	v_sub_f32_e32 v8, v8, v4
	v_lshlrev_b64 v[4:5], 2, v[2:3]
	v_add_nc_u32_e32 v2, s11, v2
	v_add_co_u32 v6, vcc_lo, s4, v4
	s_delay_alu instid0(VALU_DEP_3)
	;; [unrolled: 13-line block ×5, first 2 shown]
	v_add_co_ci_u32_e32 v7, vcc_lo, s5, v5, vcc_lo
	v_add_co_u32 v4, vcc_lo, s6, v4
	v_add_co_ci_u32_e32 v5, vcc_lo, s7, v5, vcc_lo
	global_load_b32 v6, v[6:7], off
	global_load_b32 v4, v[4:5], off
	s_waitcnt vmcnt(0)
	v_sub_f32_e32 v4, v6, v4
	s_delay_alu instid0(VALU_DEP_1) | instskip(SKIP_2) | instid1(VALU_DEP_2)
	v_add_f32_e32 v8, v8, v4
	v_lshlrev_b64 v[4:5], 2, v[2:3]
	v_add_nc_u32_e32 v2, s15, v2
	v_add_co_u32 v6, vcc_lo, s4, v4
	s_delay_alu instid0(VALU_DEP_3)
	v_add_co_ci_u32_e32 v7, vcc_lo, s5, v5, vcc_lo
	v_add_co_u32 v4, vcc_lo, s6, v4
	v_add_co_ci_u32_e32 v5, vcc_lo, s7, v5, vcc_lo
	global_load_b32 v6, v[6:7], off
	global_load_b32 v4, v[4:5], off
	s_waitcnt vmcnt(0)
	v_sub_f32_e32 v4, v6, v4
	s_delay_alu instid0(VALU_DEP_1) | instskip(SKIP_2) | instid1(VALU_DEP_2)
	v_add_f32_e32 v8, v8, v4
	v_lshlrev_b64 v[4:5], 2, v[2:3]
	v_add_nc_u32_e32 v2, s0, v2
	v_add_co_u32 v6, vcc_lo, s4, v4
	s_delay_alu instid0(VALU_DEP_3)
	v_add_co_ci_u32_e32 v7, vcc_lo, s5, v5, vcc_lo
	v_add_co_u32 v4, vcc_lo, s6, v4
	v_add_co_ci_u32_e32 v5, vcc_lo, s7, v5, vcc_lo
	global_load_b32 v6, v[6:7], off
	global_load_b32 v4, v[4:5], off
	s_waitcnt vmcnt(0)
	v_sub_f32_e32 v4, v6, v4
	s_delay_alu instid0(VALU_DEP_1) | instskip(SKIP_2) | instid1(VALU_DEP_2)
	v_sub_f32_e32 v8, v8, v4
	v_lshlrev_b64 v[4:5], 2, v[2:3]
	v_add_nc_u32_e32 v2, s14, v2
	v_add_co_u32 v6, vcc_lo, s4, v4
	s_delay_alu instid0(VALU_DEP_3)
	v_add_co_ci_u32_e32 v7, vcc_lo, s5, v5, vcc_lo
	v_add_co_u32 v4, vcc_lo, s6, v4
	v_add_co_ci_u32_e32 v5, vcc_lo, s7, v5, vcc_lo
	global_load_b32 v6, v[6:7], off
	global_load_b32 v4, v[4:5], off
	s_waitcnt vmcnt(0)
	v_sub_f32_e32 v4, v6, v4
	s_delay_alu instid0(VALU_DEP_1) | instskip(SKIP_2) | instid1(VALU_DEP_2)
	v_sub_f32_e32 v8, v8, v4
	v_lshlrev_b64 v[4:5], 2, v[2:3]
	v_add_nc_u32_e32 v2, s12, v2
	v_add_co_u32 v6, vcc_lo, s4, v4
	s_delay_alu instid0(VALU_DEP_3)
	v_add_co_ci_u32_e32 v7, vcc_lo, s5, v5, vcc_lo
	v_add_co_u32 v4, vcc_lo, s6, v4
	v_add_co_ci_u32_e32 v5, vcc_lo, s7, v5, vcc_lo
	global_load_b32 v6, v[6:7], off
	global_load_b32 v4, v[4:5], off
	s_waitcnt vmcnt(0)
	v_sub_f32_e32 v4, v6, v4
	s_delay_alu instid0(VALU_DEP_1) | instskip(SKIP_2) | instid1(VALU_DEP_2)
	v_add_f32_e32 v8, v8, v4
	v_lshlrev_b64 v[4:5], 2, v[2:3]
	v_add_nc_u32_e32 v2, s13, v2
	v_add_co_u32 v6, vcc_lo, s4, v4
	s_delay_alu instid0(VALU_DEP_3)
	v_add_co_ci_u32_e32 v7, vcc_lo, s5, v5, vcc_lo
	v_add_co_u32 v4, vcc_lo, s6, v4
	v_add_co_ci_u32_e32 v5, vcc_lo, s7, v5, vcc_lo
	global_load_b32 v6, v[6:7], off
	global_load_b32 v4, v[4:5], off
	s_waitcnt vmcnt(0)
	v_sub_f32_e32 v4, v6, v4
	s_delay_alu instid0(VALU_DEP_1) | instskip(SKIP_2) | instid1(VALU_DEP_2)
	v_sub_f32_e32 v8, v8, v4
	v_lshlrev_b64 v[4:5], 2, v[2:3]
	v_add_nc_u32_e32 v2, s0, v2
	v_add_co_u32 v6, vcc_lo, s4, v4
	s_delay_alu instid0(VALU_DEP_3)
	v_add_co_ci_u32_e32 v7, vcc_lo, s5, v5, vcc_lo
	v_add_co_u32 v4, vcc_lo, s6, v4
	v_add_co_ci_u32_e32 v5, vcc_lo, s7, v5, vcc_lo
	global_load_b32 v6, v[6:7], off
	global_load_b32 v4, v[4:5], off
	s_waitcnt vmcnt(0)
	v_sub_f32_e32 v4, v6, v4
	s_delay_alu instid0(VALU_DEP_1) | instskip(SKIP_2) | instid1(VALU_DEP_2)
	v_sub_f32_e32 v8, v8, v4
	;; [unrolled: 13-line block ×6, first 2 shown]
	v_lshlrev_b64 v[4:5], 2, v[2:3]
	v_add_nc_u32_e32 v2, s11, v2
	v_add_co_u32 v6, vcc_lo, s4, v4
	s_delay_alu instid0(VALU_DEP_3)
	v_add_co_ci_u32_e32 v7, vcc_lo, s5, v5, vcc_lo
	v_add_co_u32 v4, vcc_lo, s6, v4
	v_add_co_ci_u32_e32 v5, vcc_lo, s7, v5, vcc_lo
	global_load_b32 v6, v[6:7], off
	global_load_b32 v4, v[4:5], off
	s_waitcnt vmcnt(0)
	v_sub_f32_e32 v4, v6, v4
	s_delay_alu instid0(VALU_DEP_1) | instskip(SKIP_3) | instid1(VALU_DEP_2)
	v_add_f32_e32 v8, v8, v4
	v_lshlrev_b64 v[4:5], 2, v[2:3]
	v_add_nc_u32_e32 v2, s0, v2
	s_load_b32 s0, s[8:9], 0x4
	v_add_co_u32 v6, vcc_lo, s4, v4
	s_delay_alu instid0(VALU_DEP_3)
	v_add_co_ci_u32_e32 v7, vcc_lo, s5, v5, vcc_lo
	v_add_co_u32 v4, vcc_lo, s6, v4
	v_add_co_ci_u32_e32 v5, vcc_lo, s7, v5, vcc_lo
	global_load_b32 v6, v[6:7], off
	v_lshlrev_b64 v[2:3], 2, v[2:3]
	global_load_b32 v4, v[4:5], off
	v_add_co_u32 v5, vcc_lo, s4, v2
	s_waitcnt vmcnt(0)
	v_sub_f32_e32 v4, v6, v4
	v_add_co_ci_u32_e32 v6, vcc_lo, s5, v3, vcc_lo
	v_add_co_u32 v2, vcc_lo, s6, v2
	v_add_co_ci_u32_e32 v3, vcc_lo, s7, v3, vcc_lo
	global_load_b32 v5, v[5:6], off
	v_sub_f32_e32 v4, v8, v4
	v_add_co_u32 v0, vcc_lo, s2, v0
	global_load_b32 v2, v[2:3], off
	v_add_co_ci_u32_e32 v1, vcc_lo, s3, v1, vcc_lo
	s_waitcnt vmcnt(0)
	v_sub_f32_e32 v2, v5, v2
	s_delay_alu instid0(VALU_DEP_1) | instskip(NEXT) | instid1(VALU_DEP_1)
	v_sub_f32_e32 v2, v4, v2
	v_mul_f32_e32 v2, s10, v2
	s_waitcnt lgkmcnt(0)
	s_delay_alu instid0(VALU_DEP_1)
	v_mul_f32_e32 v2, s0, v2
	global_store_b32 v[0:1], v2, off
	s_nop 0
	s_sendmsg sendmsg(MSG_DEALLOC_VGPRS)
	s_endpgm
	.section	.rodata,"a",@progbits
	.p2align	6, 0x0
	.amdhsa_kernel _Z13rdwdot_kernelIfEvPKT_S2_PS0_S0_S2_
		.amdhsa_group_segment_fixed_size 0
		.amdhsa_private_segment_fixed_size 0
		.amdhsa_kernarg_size 296
		.amdhsa_user_sgpr_count 15
		.amdhsa_user_sgpr_dispatch_ptr 0
		.amdhsa_user_sgpr_queue_ptr 0
		.amdhsa_user_sgpr_kernarg_segment_ptr 1
		.amdhsa_user_sgpr_dispatch_id 0
		.amdhsa_user_sgpr_private_segment_size 0
		.amdhsa_wavefront_size32 1
		.amdhsa_uses_dynamic_stack 0
		.amdhsa_enable_private_segment 0
		.amdhsa_system_sgpr_workgroup_id_x 1
		.amdhsa_system_sgpr_workgroup_id_y 0
		.amdhsa_system_sgpr_workgroup_id_z 0
		.amdhsa_system_sgpr_workgroup_info 0
		.amdhsa_system_vgpr_workitem_id 0
		.amdhsa_next_free_vgpr 11
		.amdhsa_next_free_sgpr 17
		.amdhsa_reserve_vcc 1
		.amdhsa_float_round_mode_32 0
		.amdhsa_float_round_mode_16_64 0
		.amdhsa_float_denorm_mode_32 3
		.amdhsa_float_denorm_mode_16_64 3
		.amdhsa_dx10_clamp 1
		.amdhsa_ieee_mode 1
		.amdhsa_fp16_overflow 0
		.amdhsa_workgroup_processor_mode 1
		.amdhsa_memory_ordered 1
		.amdhsa_forward_progress 0
		.amdhsa_shared_vgpr_count 0
		.amdhsa_exception_fp_ieee_invalid_op 0
		.amdhsa_exception_fp_denorm_src 0
		.amdhsa_exception_fp_ieee_div_zero 0
		.amdhsa_exception_fp_ieee_overflow 0
		.amdhsa_exception_fp_ieee_underflow 0
		.amdhsa_exception_fp_ieee_inexact 0
		.amdhsa_exception_int_div_zero 0
	.end_amdhsa_kernel
	.section	.text._Z13rdwdot_kernelIfEvPKT_S2_PS0_S0_S2_,"axG",@progbits,_Z13rdwdot_kernelIfEvPKT_S2_PS0_S0_S2_,comdat
.Lfunc_end19:
	.size	_Z13rdwdot_kernelIfEvPKT_S2_PS0_S0_S2_, .Lfunc_end19-_Z13rdwdot_kernelIfEvPKT_S2_PS0_S0_S2_
                                        ; -- End function
	.section	.AMDGPU.csdata,"",@progbits
; Kernel info:
; codeLenInByte = 6292
; NumSgprs: 19
; NumVgprs: 11
; ScratchSize: 0
; MemoryBound: 0
; FloatMode: 240
; IeeeMode: 1
; LDSByteSize: 0 bytes/workgroup (compile time only)
; SGPRBlocks: 2
; VGPRBlocks: 1
; NumSGPRsForWavesPerEU: 19
; NumVGPRsForWavesPerEU: 11
; Occupancy: 16
; WaveLimiterHint : 0
; COMPUTE_PGM_RSRC2:SCRATCH_EN: 0
; COMPUTE_PGM_RSRC2:USER_SGPR: 15
; COMPUTE_PGM_RSRC2:TRAP_HANDLER: 0
; COMPUTE_PGM_RSRC2:TGID_X_EN: 1
; COMPUTE_PGM_RSRC2:TGID_Y_EN: 0
; COMPUTE_PGM_RSRC2:TGID_Z_EN: 0
; COMPUTE_PGM_RSRC2:TIDIG_COMP_CNT: 0
	.section	.text._Z14rdwdot2_kernelIfEvPKT_S2_PS0_S0_S2_,"axG",@progbits,_Z14rdwdot2_kernelIfEvPKT_S2_PS0_S0_S2_,comdat
	.protected	_Z14rdwdot2_kernelIfEvPKT_S2_PS0_S0_S2_ ; -- Begin function _Z14rdwdot2_kernelIfEvPKT_S2_PS0_S0_S2_
	.globl	_Z14rdwdot2_kernelIfEvPKT_S2_PS0_S0_S2_
	.p2align	8
	.type	_Z14rdwdot2_kernelIfEvPKT_S2_PS0_S0_S2_,@function
_Z14rdwdot2_kernelIfEvPKT_S2_PS0_S0_S2_: ; @_Z14rdwdot2_kernelIfEvPKT_S2_PS0_S0_S2_
; %bb.0:
	s_clause 0x2
	s_load_b32 s2, s[0:1], 0x34
	s_load_b32 s8, s[0:1], 0x28
	s_load_b128 s[4:7], s[0:1], 0x0
	s_waitcnt lgkmcnt(0)
	s_and_b32 s2, s2, 0xffff
	s_delay_alu instid0(SALU_CYCLE_1)
	s_mul_i32 s8, s8, s2
	s_mul_i32 s15, s15, s2
	;; [unrolled: 1-line block ×3, first 2 shown]
	s_lshl_b32 s9, s8, 1
	v_mov_b32_e32 v1, 0
	v_add3_u32 v0, s2, s15, v0
	s_mul_i32 s10, s8, 3
	s_load_b64 s[2:3], s[0:1], 0x10
	s_delay_alu instid0(VALU_DEP_1) | instskip(SKIP_2) | instid1(VALU_DEP_2)
	v_mad_u64_u32 v[4:5], null, s8, 25, v[0:1]
	v_lshlrev_b64 v[2:3], 2, v[0:1]
	v_mov_b32_e32 v5, v1
	v_add_co_u32 v6, vcc_lo, s4, v2
	s_delay_alu instid0(VALU_DEP_2) | instskip(NEXT) | instid1(VALU_DEP_4)
	v_lshlrev_b64 v[10:11], 2, v[4:5]
	v_add_co_ci_u32_e32 v7, vcc_lo, s5, v3, vcc_lo
	v_add_co_u32 v8, vcc_lo, s6, v2
	v_add_co_ci_u32_e32 v9, vcc_lo, s7, v3, vcc_lo
	v_mad_u64_u32 v[12:13], null, s8, 19, v[4:5]
	v_add_co_u32 v4, vcc_lo, s4, v10
	v_add_co_ci_u32_e32 v5, vcc_lo, s5, v11, vcc_lo
	global_load_b32 v2, v[6:7], off
	v_add_co_u32 v6, vcc_lo, s6, v10
	v_add_co_ci_u32_e32 v7, vcc_lo, s7, v11, vcc_lo
	global_load_b32 v3, v[8:9], off
	global_load_b32 v4, v[4:5], off
	;; [unrolled: 1-line block ×3, first 2 shown]
	v_dual_mov_b32 v13, v1 :: v_dual_add_nc_u32 v0, s9, v12
	s_delay_alu instid0(VALU_DEP_1) | instskip(NEXT) | instid1(VALU_DEP_2)
	v_lshlrev_b64 v[10:11], 2, v[0:1]
	v_lshlrev_b64 v[8:9], 2, v[12:13]
	v_mad_u64_u32 v[12:13], null, s8, 18, v[0:1]
	v_mov_b32_e32 v13, v1
	s_delay_alu instid0(VALU_DEP_3) | instskip(NEXT) | instid1(VALU_DEP_4)
	v_add_co_u32 v6, vcc_lo, s4, v8
	v_add_co_ci_u32_e32 v7, vcc_lo, s5, v9, vcc_lo
	v_add_co_u32 v8, vcc_lo, s6, v8
	v_add_co_ci_u32_e32 v9, vcc_lo, s7, v9, vcc_lo
	v_add_co_u32 v14, vcc_lo, s4, v10
	v_lshlrev_b64 v[16:17], 2, v[12:13]
	v_add_co_ci_u32_e32 v15, vcc_lo, s5, v11, vcc_lo
	v_add_co_u32 v10, vcc_lo, s6, v10
	v_add_co_ci_u32_e32 v11, vcc_lo, s7, v11, vcc_lo
	v_add_nc_u32_e32 v0, s8, v12
	v_add_co_u32 v18, vcc_lo, s4, v16
	v_add_co_ci_u32_e32 v19, vcc_lo, s5, v17, vcc_lo
	global_load_b32 v6, v[6:7], off
	global_load_b32 v9, v[8:9], off
	;; [unrolled: 1-line block ×5, first 2 shown]
	v_lshlrev_b64 v[11:12], 2, v[0:1]
	v_add_nc_u32_e32 v0, s8, v0
	v_add_co_u32 v13, vcc_lo, s6, v16
	v_add_co_ci_u32_e32 v14, vcc_lo, s7, v17, vcc_lo
	s_delay_alu instid0(VALU_DEP_4) | instskip(NEXT) | instid1(VALU_DEP_4)
	v_add_co_u32 v15, vcc_lo, s4, v11
	v_lshlrev_b64 v[17:18], 2, v[0:1]
	v_add_nc_u32_e32 v0, s8, v0
	v_add_co_ci_u32_e32 v16, vcc_lo, s5, v12, vcc_lo
	v_add_co_u32 v19, vcc_lo, s6, v11
	v_add_co_ci_u32_e32 v20, vcc_lo, s7, v12, vcc_lo
	v_add_co_u32 v21, vcc_lo, s4, v17
	v_add_co_ci_u32_e32 v22, vcc_lo, s5, v18, vcc_lo
	global_load_b32 v13, v[13:14], off
	global_load_b32 v11, v[15:16], off
	global_load_b32 v12, v[19:20], off
	global_load_b32 v14, v[21:22], off
	v_lshlrev_b64 v[15:16], 2, v[0:1]
	v_add_co_u32 v17, vcc_lo, s6, v17
	v_add_co_ci_u32_e32 v18, vcc_lo, s7, v18, vcc_lo
	v_add_nc_u32_e32 v0, s8, v0
	s_delay_alu instid0(VALU_DEP_4)
	v_add_co_u32 v19, vcc_lo, s4, v15
	v_add_co_ci_u32_e32 v20, vcc_lo, s5, v16, vcc_lo
	v_add_co_u32 v21, vcc_lo, s6, v15
	v_add_co_ci_u32_e32 v22, vcc_lo, s7, v16, vcc_lo
	global_load_b32 v34, v[17:18], off
	v_lshlrev_b64 v[16:17], 2, v[0:1]
	v_add_nc_u32_e32 v0, s10, v0
	global_load_b32 v15, v[19:20], off
	global_load_b32 v35, v[21:22], off
	v_add_co_u32 v18, vcc_lo, s4, v16
	v_lshlrev_b64 v[20:21], 2, v[0:1]
	v_add_co_ci_u32_e32 v19, vcc_lo, s5, v17, vcc_lo
	v_add_co_u32 v16, vcc_lo, s6, v16
	v_add_nc_u32_e32 v0, s10, v0
	v_add_co_ci_u32_e32 v17, vcc_lo, s7, v17, vcc_lo
	v_add_co_u32 v22, vcc_lo, s4, v20
	v_add_co_ci_u32_e32 v23, vcc_lo, s5, v21, vcc_lo
	global_load_b32 v36, v[18:19], off
	v_lshlrev_b64 v[18:19], 2, v[0:1]
	v_add_co_u32 v20, vcc_lo, s6, v20
	v_add_nc_u32_e32 v0, s8, v0
	v_add_co_ci_u32_e32 v21, vcc_lo, s7, v21, vcc_lo
	global_load_b32 v37, v[16:17], off
	global_load_b32 v38, v[22:23], off
	;; [unrolled: 1-line block ×3, first 2 shown]
	v_add_co_u32 v16, vcc_lo, s4, v18
	v_lshlrev_b64 v[20:21], 2, v[0:1]
	v_add_co_ci_u32_e32 v17, vcc_lo, s5, v19, vcc_lo
	v_add_co_u32 v18, vcc_lo, s6, v18
	v_add_nc_u32_e32 v0, s8, v0
	v_add_co_ci_u32_e32 v19, vcc_lo, s7, v19, vcc_lo
	v_add_co_u32 v22, vcc_lo, s4, v20
	v_add_co_ci_u32_e32 v23, vcc_lo, s5, v21, vcc_lo
	v_add_co_u32 v20, vcc_lo, s6, v20
	v_add_co_ci_u32_e32 v21, vcc_lo, s7, v21, vcc_lo
	global_load_b32 v40, v[16:17], off
	global_load_b32 v41, v[18:19], off
	;; [unrolled: 1-line block ×4, first 2 shown]
	s_waitcnt vmcnt(20)
	v_dual_sub_f32 v2, v2, v3 :: v_dual_sub_f32 v3, v4, v5
	v_lshlrev_b64 v[24:25], 2, v[0:1]
	v_add_nc_u32_e32 v0, s8, v0
	s_delay_alu instid0(VALU_DEP_3) | instskip(NEXT) | instid1(VALU_DEP_2)
	v_add_f32_e32 v2, v2, v3
	v_lshlrev_b64 v[16:17], 2, v[0:1]
	v_lshl_add_u32 v0, s8, 3, v0
	v_add_co_u32 v18, vcc_lo, s4, v24
	v_add_co_ci_u32_e32 v19, vcc_lo, s5, v25, vcc_lo
	s_delay_alu instid0(VALU_DEP_3) | instskip(SKIP_4) | instid1(VALU_DEP_4)
	v_mad_u64_u32 v[20:21], null, 0xffffff46, s8, v[0:1]
	v_mov_b32_e32 v21, v1
	v_add_co_u32 v22, vcc_lo, s6, v24
	v_add_co_ci_u32_e32 v23, vcc_lo, s7, v25, vcc_lo
	v_add_co_u32 v24, vcc_lo, s4, v16
	v_mad_u64_u32 v[26:27], null, 0x7d, s8, v[20:21]
	v_mov_b32_e32 v27, v1
	v_add_co_ci_u32_e32 v25, vcc_lo, s5, v17, vcc_lo
	global_load_b32 v44, v[18:19], off
	global_load_b32 v45, v[22:23], off
	global_load_b32 v46, v[24:25], off
	v_add_co_u32 v16, vcc_lo, s6, v16
	v_lshlrev_b64 v[18:19], 2, v[26:27]
	v_add_co_ci_u32_e32 v17, vcc_lo, s7, v17, vcc_lo
	v_mad_u64_u32 v[22:23], null, s8, 45, v[26:27]
	v_mov_b32_e32 v23, v1
	s_delay_alu instid0(VALU_DEP_4)
	v_add_co_u32 v24, vcc_lo, s4, v18
	v_add_co_ci_u32_e32 v25, vcc_lo, s5, v19, vcc_lo
	v_add_co_u32 v18, vcc_lo, s6, v18
	v_add_co_ci_u32_e32 v19, vcc_lo, s7, v19, vcc_lo
	global_load_b32 v47, v[16:17], off
	global_load_b32 v48, v[24:25], off
	;; [unrolled: 1-line block ×3, first 2 shown]
	v_lshlrev_b64 v[16:17], 2, v[0:1]
	v_lshlrev_b64 v[26:27], 2, v[22:23]
	s_waitcnt vmcnt(24)
	v_sub_f32_e32 v6, v6, v9
	s_waitcnt vmcnt(20)
	v_sub_f32_e32 v4, v10, v13
	v_add_co_u32 v28, vcc_lo, s4, v16
	v_add_co_ci_u32_e32 v29, vcc_lo, s5, v17, vcc_lo
	v_add_co_u32 v18, vcc_lo, s4, v26
	v_add_co_ci_u32_e32 v19, vcc_lo, s5, v27, vcc_lo
	;; [unrolled: 2-line block ×3, first 2 shown]
	global_load_b32 v50, v[18:19], off
	v_add_f32_e32 v2, v2, v6
	s_waitcnt vmcnt(17)
	v_dual_sub_f32 v6, v7, v8 :: v_dual_sub_f32 v3, v14, v34
	s_waitcnt vmcnt(13)
	v_sub_f32_e32 v9, v36, v37
	s_waitcnt vmcnt(1)
	v_dual_sub_f32 v5, v48, v49 :: v_dual_add_nc_u32 v0, s8, v22
	s_delay_alu instid0(VALU_DEP_1) | instskip(NEXT) | instid1(VALU_DEP_2)
	v_add_f32_e32 v5, v4, v5
	v_lshlrev_b64 v[22:23], 2, v[0:1]
	s_delay_alu instid0(VALU_DEP_2) | instskip(NEXT) | instid1(VALU_DEP_2)
	v_dual_add_f32 v5, v3, v5 :: v_dual_add_nc_u32 v0, s9, v0
	v_add_co_u32 v26, vcc_lo, s4, v22
	s_delay_alu instid0(VALU_DEP_3)
	v_add_co_ci_u32_e32 v27, vcc_lo, s5, v23, vcc_lo
	v_add_co_u32 v22, vcc_lo, s6, v22
	v_add_co_ci_u32_e32 v23, vcc_lo, s7, v23, vcc_lo
	global_load_b32 v51, v[24:25], off
	global_load_b32 v52, v[26:27], off
	;; [unrolled: 1-line block ×3, first 2 shown]
	v_lshlrev_b64 v[18:19], 2, v[0:1]
	v_dual_add_f32 v5, v9, v5 :: v_dual_add_nc_u32 v0, s8, v0
	s_delay_alu instid0(VALU_DEP_1) | instskip(NEXT) | instid1(VALU_DEP_3)
	v_mad_u64_u32 v[26:27], null, s8, 6, v[0:1]
	v_add_co_u32 v22, vcc_lo, s4, v18
	v_lshlrev_b64 v[24:25], 2, v[0:1]
	v_add_co_ci_u32_e32 v23, vcc_lo, s5, v19, vcc_lo
	v_mov_b32_e32 v27, v1
	v_add_co_u32 v18, vcc_lo, s6, v18
	v_add_co_ci_u32_e32 v19, vcc_lo, s7, v19, vcc_lo
	v_add_co_u32 v30, vcc_lo, s4, v24
	s_delay_alu instid0(VALU_DEP_4)
	v_lshlrev_b64 v[32:33], 2, v[26:27]
	v_add_co_ci_u32_e32 v31, vcc_lo, s5, v25, vcc_lo
	v_add_co_u32 v24, vcc_lo, s6, v24
	v_add_co_ci_u32_e32 v25, vcc_lo, s7, v25, vcc_lo
	v_add_nc_u32_e32 v0, s9, v26
	global_load_b32 v54, v[22:23], off
	global_load_b32 v55, v[18:19], off
	;; [unrolled: 1-line block ×4, first 2 shown]
	v_add_co_u32 v18, vcc_lo, s4, v32
	v_add_co_ci_u32_e32 v19, vcc_lo, s5, v33, vcc_lo
	v_add_co_u32 v22, vcc_lo, s6, v32
	v_lshlrev_b64 v[24:25], 2, v[0:1]
	v_add_nc_u32_e32 v0, s8, v0
	v_add_co_ci_u32_e32 v23, vcc_lo, s7, v33, vcc_lo
	v_add_co_u32 v16, vcc_lo, s6, v16
	v_add_co_ci_u32_e32 v17, vcc_lo, s7, v17, vcc_lo
	global_load_b32 v32, v[18:19], off
	global_load_b32 v33, v[22:23], off
	v_add_co_u32 v18, vcc_lo, s4, v24
	v_add_co_ci_u32_e32 v19, vcc_lo, s5, v25, vcc_lo
	v_add_co_u32 v24, vcc_lo, s6, v24
	v_add_co_ci_u32_e32 v25, vcc_lo, s7, v25, vcc_lo
	s_waitcnt vmcnt(8)
	v_sub_f32_e32 v7, v50, v51
	v_lshlrev_b64 v[22:23], 2, v[0:1]
	s_delay_alu instid0(VALU_DEP_2) | instskip(SKIP_1) | instid1(VALU_DEP_3)
	v_dual_sub_f32 v5, v5, v7 :: v_dual_add_nc_u32 v0, s9, v0
	v_sub_f32_e32 v7, v38, v39
	v_add_co_u32 v26, vcc_lo, s4, v22
	s_delay_alu instid0(VALU_DEP_3)
	v_lshlrev_b64 v[30:31], 2, v[0:1]
	v_add_co_ci_u32_e32 v27, vcc_lo, s5, v23, vcc_lo
	v_add_co_u32 v22, vcc_lo, s6, v22
	v_add_co_ci_u32_e32 v23, vcc_lo, s7, v23, vcc_lo
	global_load_b32 v58, v[18:19], off
	global_load_b32 v24, v[24:25], off
	;; [unrolled: 1-line block ×4, first 2 shown]
	v_add_co_u32 v18, vcc_lo, s4, v30
	v_add_co_ci_u32_e32 v19, vcc_lo, s5, v31, vcc_lo
	v_add_co_u32 v22, vcc_lo, s6, v30
	v_add_co_ci_u32_e32 v23, vcc_lo, s7, v31, vcc_lo
	global_load_b32 v27, v[28:29], off
	global_load_b32 v16, v[16:17], off
	;; [unrolled: 1-line block ×4, first 2 shown]
	v_add_f32_e32 v2, v2, v6
	s_waitcnt vmcnt(14)
	v_sub_f32_e32 v6, v52, v53
	s_clause 0x1
	s_load_b64 s[4:5], s[0:1], 0x20
	s_load_b32 s6, s[0:1], 0x18
	s_waitcnt lgkmcnt(0)
	s_load_b64 s[0:1], s[4:5], 0x4c
	v_dual_sub_f32 v5, v5, v6 :: v_dual_sub_f32 v6, v40, v41
	v_sub_f32_e32 v2, v2, v4
	s_delay_alu instid0(VALU_DEP_2) | instskip(NEXT) | instid1(VALU_DEP_1)
	v_dual_sub_f32 v4, v11, v12 :: v_dual_sub_f32 v5, v5, v7
	v_sub_f32_e32 v2, v2, v4
	s_waitcnt vmcnt(12)
	v_sub_f32_e32 v4, v54, v55
	s_delay_alu instid0(VALU_DEP_2) | instskip(NEXT) | instid1(VALU_DEP_2)
	v_sub_f32_e32 v2, v2, v3
	v_dual_sub_f32 v4, v5, v4 :: v_dual_sub_f32 v5, v15, v35
	s_waitcnt vmcnt(10)
	v_sub_f32_e32 v3, v56, v57
	s_delay_alu instid0(VALU_DEP_2) | instskip(SKIP_1) | instid1(VALU_DEP_2)
	v_sub_f32_e32 v2, v2, v5
	v_sub_f32_e32 v5, v44, v45
	;; [unrolled: 1-line block ×3, first 2 shown]
	s_delay_alu instid0(VALU_DEP_1) | instskip(SKIP_2) | instid1(VALU_DEP_1)
	v_add_f32_e32 v2, v2, v7
	v_sub_f32_e32 v7, v46, v47
	v_sub_f32_e32 v3, v4, v3
	;; [unrolled: 1-line block ×3, first 2 shown]
	s_waitcnt vmcnt(0)
	v_dual_sub_f32 v9, v27, v16 :: v_dual_sub_f32 v10, v17, v18
	v_sub_f32_e32 v4, v42, v43
	s_delay_alu instid0(VALU_DEP_1) | instskip(NEXT) | instid1(VALU_DEP_1)
	v_sub_f32_e32 v3, v3, v4
	v_sub_f32_e32 v3, v3, v5
	s_delay_alu instid0(VALU_DEP_1) | instskip(SKIP_1) | instid1(VALU_DEP_2)
	v_dual_sub_f32 v3, v3, v7 :: v_dual_add_f32 v2, v2, v6
	v_sub_f32_e32 v6, v32, v33
	v_add_f32_e32 v2, v2, v4
	v_sub_f32_e32 v4, v58, v24
	s_delay_alu instid0(VALU_DEP_3) | instskip(NEXT) | instid1(VALU_DEP_3)
	v_add_f32_e32 v6, v6, v3
	v_add_f32_e32 v5, v2, v5
	v_mad_u64_u32 v[2:3], null, 0xffffff48, s8, v[0:1]
	v_sub_f32_e32 v0, v25, v26
	s_delay_alu instid0(VALU_DEP_4) | instskip(NEXT) | instid1(VALU_DEP_4)
	v_add_f32_e32 v4, v4, v6
	v_add_f32_e32 v8, v5, v7
	v_mov_b32_e32 v3, v1
	s_delay_alu instid0(VALU_DEP_3)
	v_add_f32_e32 v11, v0, v4
	v_lshlrev_b64 v[4:5], 2, v[20:21]
	v_add_nc_u32_e32 v0, s8, v2
	v_add_f32_e32 v8, v8, v9
	v_lshlrev_b64 v[6:7], 2, v[2:3]
	v_add_f32_e32 v9, v11, v10
	v_add_co_u32 v2, vcc_lo, s2, v4
	v_add_co_ci_u32_e32 v3, vcc_lo, s3, v5, vcc_lo
	v_lshlrev_b64 v[4:5], 2, v[0:1]
	v_mul_f32_e32 v0, s6, v8
	v_mul_f32_e32 v8, s6, v9
	v_add_co_u32 v6, vcc_lo, s2, v6
	v_add_co_ci_u32_e32 v7, vcc_lo, s3, v7, vcc_lo
	s_waitcnt lgkmcnt(0)
	v_mul_f32_e32 v0, s0, v0
	v_add_co_u32 v4, vcc_lo, s2, v4
	v_mul_f32_e32 v8, s1, v8
	v_add_co_ci_u32_e32 v5, vcc_lo, s3, v5, vcc_lo
	s_clause 0x2
	global_store_b32 v[2:3], v0, off
	global_store_b32 v[6:7], v8, off
	;; [unrolled: 1-line block ×3, first 2 shown]
	s_nop 0
	s_sendmsg sendmsg(MSG_DEALLOC_VGPRS)
	s_endpgm
	.section	.rodata,"a",@progbits
	.p2align	6, 0x0
	.amdhsa_kernel _Z14rdwdot2_kernelIfEvPKT_S2_PS0_S0_S2_
		.amdhsa_group_segment_fixed_size 0
		.amdhsa_private_segment_fixed_size 0
		.amdhsa_kernarg_size 296
		.amdhsa_user_sgpr_count 15
		.amdhsa_user_sgpr_dispatch_ptr 0
		.amdhsa_user_sgpr_queue_ptr 0
		.amdhsa_user_sgpr_kernarg_segment_ptr 1
		.amdhsa_user_sgpr_dispatch_id 0
		.amdhsa_user_sgpr_private_segment_size 0
		.amdhsa_wavefront_size32 1
		.amdhsa_uses_dynamic_stack 0
		.amdhsa_enable_private_segment 0
		.amdhsa_system_sgpr_workgroup_id_x 1
		.amdhsa_system_sgpr_workgroup_id_y 0
		.amdhsa_system_sgpr_workgroup_id_z 0
		.amdhsa_system_sgpr_workgroup_info 0
		.amdhsa_system_vgpr_workitem_id 0
		.amdhsa_next_free_vgpr 59
		.amdhsa_next_free_sgpr 16
		.amdhsa_reserve_vcc 1
		.amdhsa_float_round_mode_32 0
		.amdhsa_float_round_mode_16_64 0
		.amdhsa_float_denorm_mode_32 3
		.amdhsa_float_denorm_mode_16_64 3
		.amdhsa_dx10_clamp 1
		.amdhsa_ieee_mode 1
		.amdhsa_fp16_overflow 0
		.amdhsa_workgroup_processor_mode 1
		.amdhsa_memory_ordered 1
		.amdhsa_forward_progress 0
		.amdhsa_shared_vgpr_count 0
		.amdhsa_exception_fp_ieee_invalid_op 0
		.amdhsa_exception_fp_denorm_src 0
		.amdhsa_exception_fp_ieee_div_zero 0
		.amdhsa_exception_fp_ieee_overflow 0
		.amdhsa_exception_fp_ieee_underflow 0
		.amdhsa_exception_fp_ieee_inexact 0
		.amdhsa_exception_int_div_zero 0
	.end_amdhsa_kernel
	.section	.text._Z14rdwdot2_kernelIfEvPKT_S2_PS0_S0_S2_,"axG",@progbits,_Z14rdwdot2_kernelIfEvPKT_S2_PS0_S0_S2_,comdat
.Lfunc_end20:
	.size	_Z14rdwdot2_kernelIfEvPKT_S2_PS0_S0_S2_, .Lfunc_end20-_Z14rdwdot2_kernelIfEvPKT_S2_PS0_S0_S2_
                                        ; -- End function
	.section	.AMDGPU.csdata,"",@progbits
; Kernel info:
; codeLenInByte = 1936
; NumSgprs: 18
; NumVgprs: 59
; ScratchSize: 0
; MemoryBound: 0
; FloatMode: 240
; IeeeMode: 1
; LDSByteSize: 0 bytes/workgroup (compile time only)
; SGPRBlocks: 2
; VGPRBlocks: 7
; NumSGPRsForWavesPerEU: 18
; NumVGPRsForWavesPerEU: 59
; Occupancy: 16
; WaveLimiterHint : 0
; COMPUTE_PGM_RSRC2:SCRATCH_EN: 0
; COMPUTE_PGM_RSRC2:USER_SGPR: 15
; COMPUTE_PGM_RSRC2:TRAP_HANDLER: 0
; COMPUTE_PGM_RSRC2:TGID_X_EN: 1
; COMPUTE_PGM_RSRC2:TGID_Y_EN: 0
; COMPUTE_PGM_RSRC2:TGID_Z_EN: 0
; COMPUTE_PGM_RSRC2:TIDIG_COMP_CNT: 0
	.section	.text._Z14rdwdot3_kernelIfEvPKT_S2_PS0_S0_S2_,"axG",@progbits,_Z14rdwdot3_kernelIfEvPKT_S2_PS0_S0_S2_,comdat
	.protected	_Z14rdwdot3_kernelIfEvPKT_S2_PS0_S0_S2_ ; -- Begin function _Z14rdwdot3_kernelIfEvPKT_S2_PS0_S0_S2_
	.globl	_Z14rdwdot3_kernelIfEvPKT_S2_PS0_S0_S2_
	.p2align	8
	.type	_Z14rdwdot3_kernelIfEvPKT_S2_PS0_S0_S2_,@function
_Z14rdwdot3_kernelIfEvPKT_S2_PS0_S0_S2_: ; @_Z14rdwdot3_kernelIfEvPKT_S2_PS0_S0_S2_
; %bb.0:
	s_clause 0x5
	s_load_b128 s[4:7], s[0:1], 0x0
	s_load_b64 s[8:9], s[0:1], 0x10
	s_load_b32 s16, s[0:1], 0x18
	s_load_b64 s[12:13], s[0:1], 0x20
	s_load_b32 s14, s[0:1], 0x28
	s_load_b32 s0, s[0:1], 0x34
	v_mov_b32_e32 v1, 0
	s_waitcnt lgkmcnt(0)
	s_and_b32 s0, s0, 0xffff
	s_delay_alu instid0(SALU_CYCLE_1)
	s_mul_i32 s14, s14, s0
	s_mul_i32 s15, s15, s0
	;; [unrolled: 1-line block ×3, first 2 shown]
	s_lshl_b32 s0, s14, 3
	v_add3_u32 v0, s1, s15, v0
	s_mul_i32 s21, s14, 6
	s_lshl_b32 s22, s14, 2
	s_mul_i32 s20, s14, 12
	s_lshl_b32 s15, s14, 1
	v_lshlrev_b64 v[2:3], 2, v[0:1]
	s_mul_i32 s19, s14, 3
	s_mul_i32 s18, s14, 39
	;; [unrolled: 1-line block ×3, first 2 shown]
	s_delay_alu instid0(VALU_DEP_1) | instskip(NEXT) | instid1(VALU_DEP_2)
	v_add_co_u32 v4, vcc_lo, s4, v2
	v_add_co_ci_u32_e32 v5, vcc_lo, s5, v3, vcc_lo
	v_add_co_u32 v2, vcc_lo, s6, v2
	v_add_co_ci_u32_e32 v3, vcc_lo, s7, v3, vcc_lo
	global_load_b32 v4, v[4:5], off
	global_load_b32 v2, v[2:3], off
	s_waitcnt vmcnt(0)
	v_sub_f32_e32 v6, v4, v2
	v_add_nc_u32_e32 v0, s0, v0
	s_delay_alu instid0(VALU_DEP_1) | instskip(NEXT) | instid1(VALU_DEP_1)
	v_lshlrev_b64 v[2:3], 2, v[0:1]
	v_add_co_u32 v4, vcc_lo, s4, v2
	s_delay_alu instid0(VALU_DEP_2)
	v_add_co_ci_u32_e32 v5, vcc_lo, s5, v3, vcc_lo
	v_add_co_u32 v2, vcc_lo, s6, v2
	v_add_co_ci_u32_e32 v3, vcc_lo, s7, v3, vcc_lo
	global_load_b32 v4, v[4:5], off
	global_load_b32 v2, v[2:3], off
	s_waitcnt vmcnt(0)
	v_sub_f32_e32 v2, v4, v2
	s_delay_alu instid0(VALU_DEP_1) | instskip(SKIP_2) | instid1(VALU_DEP_1)
	v_sub_f32_e32 v5, v6, v2
	v_mad_u64_u32 v[2:3], null, 0xffffffa5, s14, v[0:1]
	v_mov_b32_e32 v3, v1
	v_lshlrev_b64 v[3:4], 2, v[2:3]
	s_delay_alu instid0(VALU_DEP_1) | instskip(NEXT) | instid1(VALU_DEP_2)
	v_add_co_u32 v6, vcc_lo, s4, v3
	v_add_co_ci_u32_e32 v7, vcc_lo, s5, v4, vcc_lo
	v_add_co_u32 v3, vcc_lo, s6, v3
	v_add_co_ci_u32_e32 v4, vcc_lo, s7, v4, vcc_lo
	global_load_b32 v0, v[6:7], off
	global_load_b32 v3, v[3:4], off
	s_waitcnt vmcnt(0)
	v_sub_f32_e32 v4, v0, v3
	v_add_nc_u32_e32 v0, s21, v2
	s_delay_alu instid0(VALU_DEP_1) | instskip(SKIP_1) | instid1(VALU_DEP_2)
	v_lshlrev_b64 v[2:3], 2, v[0:1]
	v_add_nc_u32_e32 v0, s22, v0
	v_add_co_u32 v6, vcc_lo, s4, v2
	s_delay_alu instid0(VALU_DEP_3)
	v_add_co_ci_u32_e32 v7, vcc_lo, s5, v3, vcc_lo
	v_add_co_u32 v2, vcc_lo, s6, v2
	v_add_co_ci_u32_e32 v3, vcc_lo, s7, v3, vcc_lo
	global_load_b32 v6, v[6:7], off
	global_load_b32 v2, v[2:3], off
	s_waitcnt vmcnt(0)
	v_sub_f32_e32 v2, v6, v2
	s_delay_alu instid0(VALU_DEP_1) | instskip(SKIP_2) | instid1(VALU_DEP_2)
	v_add_f32_e32 v4, v4, v2
	v_lshlrev_b64 v[2:3], 2, v[0:1]
	v_add_nc_u32_e32 v0, s20, v0
	v_add_co_u32 v6, vcc_lo, s4, v2
	s_delay_alu instid0(VALU_DEP_3)
	v_add_co_ci_u32_e32 v7, vcc_lo, s5, v3, vcc_lo
	v_add_co_u32 v2, vcc_lo, s6, v2
	v_add_co_ci_u32_e32 v3, vcc_lo, s7, v3, vcc_lo
	global_load_b32 v6, v[6:7], off
	global_load_b32 v2, v[2:3], off
	s_waitcnt vmcnt(0)
	v_sub_f32_e32 v2, v6, v2
	s_delay_alu instid0(VALU_DEP_1) | instskip(SKIP_2) | instid1(VALU_DEP_2)
	v_add_f32_e32 v4, v4, v2
	v_lshlrev_b64 v[2:3], 2, v[0:1]
	v_add_nc_u32_e32 v0, s15, v0
	v_add_co_u32 v6, vcc_lo, s4, v2
	s_delay_alu instid0(VALU_DEP_3)
	v_add_co_ci_u32_e32 v7, vcc_lo, s5, v3, vcc_lo
	v_add_co_u32 v2, vcc_lo, s6, v2
	v_add_co_ci_u32_e32 v3, vcc_lo, s7, v3, vcc_lo
	global_load_b32 v6, v[6:7], off
	global_load_b32 v2, v[2:3], off
	s_waitcnt vmcnt(0)
	v_sub_f32_e32 v2, v6, v2
	s_delay_alu instid0(VALU_DEP_1) | instskip(SKIP_3) | instid1(VALU_DEP_2)
	v_add_f32_e32 v4, v4, v2
	v_lshlrev_b64 v[2:3], 2, v[0:1]
	v_add_nc_u32_e32 v0, s0, v0
	s_mul_i32 s0, s14, 7
	v_add_co_u32 v6, vcc_lo, s4, v2
	s_delay_alu instid0(VALU_DEP_3)
	v_add_co_ci_u32_e32 v7, vcc_lo, s5, v3, vcc_lo
	v_add_co_u32 v2, vcc_lo, s6, v2
	v_add_co_ci_u32_e32 v3, vcc_lo, s7, v3, vcc_lo
	global_load_b32 v6, v[6:7], off
	global_load_b32 v2, v[2:3], off
	s_waitcnt vmcnt(0)
	v_sub_f32_e32 v2, v6, v2
	s_delay_alu instid0(VALU_DEP_1) | instskip(SKIP_2) | instid1(VALU_DEP_2)
	v_add_f32_e32 v4, v4, v2
	v_lshlrev_b64 v[2:3], 2, v[0:1]
	v_add_nc_u32_e32 v0, s0, v0
	v_add_co_u32 v6, vcc_lo, s4, v2
	s_delay_alu instid0(VALU_DEP_3)
	v_add_co_ci_u32_e32 v7, vcc_lo, s5, v3, vcc_lo
	v_add_co_u32 v2, vcc_lo, s6, v2
	v_add_co_ci_u32_e32 v3, vcc_lo, s7, v3, vcc_lo
	global_load_b32 v6, v[6:7], off
	global_load_b32 v2, v[2:3], off
	s_waitcnt vmcnt(0)
	v_sub_f32_e32 v2, v6, v2
	s_delay_alu instid0(VALU_DEP_1) | instskip(SKIP_2) | instid1(VALU_DEP_2)
	v_add_f32_e32 v4, v4, v2
	v_lshlrev_b64 v[2:3], 2, v[0:1]
	v_add_nc_u32_e32 v0, s14, v0
	;; [unrolled: 13-line block ×3, first 2 shown]
	v_add_co_u32 v6, vcc_lo, s4, v2
	s_delay_alu instid0(VALU_DEP_3)
	v_add_co_ci_u32_e32 v7, vcc_lo, s5, v3, vcc_lo
	v_add_co_u32 v2, vcc_lo, s6, v2
	v_add_co_ci_u32_e32 v3, vcc_lo, s7, v3, vcc_lo
	global_load_b32 v6, v[6:7], off
	global_load_b32 v2, v[2:3], off
	s_waitcnt vmcnt(0)
	v_sub_f32_e32 v2, v6, v2
	s_delay_alu instid0(VALU_DEP_1) | instskip(SKIP_2) | instid1(VALU_DEP_2)
	v_sub_f32_e32 v4, v4, v2
	v_lshlrev_b64 v[2:3], 2, v[0:1]
	v_add_nc_u32_e32 v0, s14, v0
	v_add_co_u32 v6, vcc_lo, s4, v2
	s_delay_alu instid0(VALU_DEP_3)
	v_add_co_ci_u32_e32 v7, vcc_lo, s5, v3, vcc_lo
	v_add_co_u32 v2, vcc_lo, s6, v2
	v_add_co_ci_u32_e32 v3, vcc_lo, s7, v3, vcc_lo
	global_load_b32 v6, v[6:7], off
	global_load_b32 v2, v[2:3], off
	s_waitcnt vmcnt(0)
	v_sub_f32_e32 v2, v6, v2
	s_delay_alu instid0(VALU_DEP_1) | instskip(SKIP_2) | instid1(VALU_DEP_2)
	v_sub_f32_e32 v4, v4, v2
	v_lshlrev_b64 v[2:3], 2, v[0:1]
	v_add_nc_u32_e32 v0, s14, v0
	;; [unrolled: 13-line block ×7, first 2 shown]
	v_add_co_u32 v6, vcc_lo, s4, v3
	s_delay_alu instid0(VALU_DEP_3)
	v_add_co_ci_u32_e32 v7, vcc_lo, s5, v4, vcc_lo
	v_add_co_u32 v3, vcc_lo, s6, v3
	v_add_co_ci_u32_e32 v4, vcc_lo, s7, v4, vcc_lo
	global_load_b32 v6, v[6:7], off
	global_load_b32 v3, v[3:4], off
	s_waitcnt vmcnt(0)
	v_sub_f32_e32 v3, v6, v3
	s_delay_alu instid0(VALU_DEP_1) | instskip(SKIP_2) | instid1(VALU_DEP_2)
	v_add_f32_e32 v8, v8, v3
	v_lshlrev_b64 v[3:4], 2, v[0:1]
	v_add_nc_u32_e32 v0, s0, v0
	v_add_co_u32 v6, vcc_lo, s4, v3
	s_delay_alu instid0(VALU_DEP_3)
	v_add_co_ci_u32_e32 v7, vcc_lo, s5, v4, vcc_lo
	v_add_co_u32 v3, vcc_lo, s6, v3
	v_add_co_ci_u32_e32 v4, vcc_lo, s7, v4, vcc_lo
	global_load_b32 v6, v[6:7], off
	global_load_b32 v3, v[3:4], off
	s_waitcnt vmcnt(0)
	v_sub_f32_e32 v3, v6, v3
	s_delay_alu instid0(VALU_DEP_1) | instskip(SKIP_2) | instid1(VALU_DEP_2)
	v_add_f32_e32 v8, v8, v3
	v_lshlrev_b64 v[3:4], 2, v[0:1]
	v_add_nc_u32_e32 v0, s21, v0
	v_add_co_u32 v6, vcc_lo, s4, v3
	s_delay_alu instid0(VALU_DEP_3)
	v_add_co_ci_u32_e32 v7, vcc_lo, s5, v4, vcc_lo
	v_add_co_u32 v3, vcc_lo, s6, v3
	v_add_co_ci_u32_e32 v4, vcc_lo, s7, v4, vcc_lo
	global_load_b32 v6, v[6:7], off
	global_load_b32 v3, v[3:4], off
	s_waitcnt vmcnt(0)
	v_sub_f32_e32 v3, v6, v3
	s_delay_alu instid0(VALU_DEP_1) | instskip(SKIP_2) | instid1(VALU_DEP_2)
	v_sub_f32_e32 v8, v8, v3
	v_lshlrev_b64 v[3:4], 2, v[0:1]
	v_add_nc_u32_e32 v0, s19, v0
	v_add_co_u32 v6, vcc_lo, s4, v3
	s_delay_alu instid0(VALU_DEP_3)
	v_add_co_ci_u32_e32 v7, vcc_lo, s5, v4, vcc_lo
	v_add_co_u32 v3, vcc_lo, s6, v3
	v_add_co_ci_u32_e32 v4, vcc_lo, s7, v4, vcc_lo
	global_load_b32 v6, v[6:7], off
	global_load_b32 v3, v[3:4], off
	s_waitcnt vmcnt(0)
	v_sub_f32_e32 v3, v6, v3
	s_delay_alu instid0(VALU_DEP_1) | instskip(SKIP_2) | instid1(VALU_DEP_2)
	v_add_f32_e32 v8, v8, v3
	v_lshlrev_b64 v[3:4], 2, v[0:1]
	v_add_nc_u32_e32 v0, s14, v0
	v_add_co_u32 v6, vcc_lo, s4, v3
	s_delay_alu instid0(VALU_DEP_3)
	v_add_co_ci_u32_e32 v7, vcc_lo, s5, v4, vcc_lo
	v_add_co_u32 v3, vcc_lo, s6, v3
	v_add_co_ci_u32_e32 v4, vcc_lo, s7, v4, vcc_lo
	global_load_b32 v6, v[6:7], off
	global_load_b32 v3, v[3:4], off
	s_waitcnt vmcnt(0)
	v_sub_f32_e32 v3, v6, v3
	s_delay_alu instid0(VALU_DEP_1) | instskip(SKIP_2) | instid1(VALU_DEP_2)
	v_add_f32_e32 v8, v8, v3
	v_lshlrev_b64 v[3:4], 2, v[0:1]
	v_add_nc_u32_e32 v0, s14, v0
	v_add_co_u32 v6, vcc_lo, s4, v3
	s_delay_alu instid0(VALU_DEP_3)
	v_add_co_ci_u32_e32 v7, vcc_lo, s5, v4, vcc_lo
	v_add_co_u32 v3, vcc_lo, s6, v3
	v_add_co_ci_u32_e32 v4, vcc_lo, s7, v4, vcc_lo
	global_load_b32 v6, v[6:7], off
	global_load_b32 v3, v[3:4], off
	s_waitcnt vmcnt(0)
	v_sub_f32_e32 v3, v6, v3
	s_delay_alu instid0(VALU_DEP_1) | instskip(SKIP_2) | instid1(VALU_DEP_2)
	v_add_f32_e32 v8, v8, v3
	v_lshlrev_b64 v[3:4], 2, v[0:1]
	v_add_nc_u32_e32 v0, s18, v0
	v_add_co_u32 v6, vcc_lo, s4, v3
	s_delay_alu instid0(VALU_DEP_3)
	v_add_co_ci_u32_e32 v7, vcc_lo, s5, v4, vcc_lo
	v_add_co_u32 v3, vcc_lo, s6, v3
	v_add_co_ci_u32_e32 v4, vcc_lo, s7, v4, vcc_lo
	global_load_b32 v6, v[6:7], off
	global_load_b32 v3, v[3:4], off
	s_waitcnt vmcnt(0)
	v_sub_f32_e32 v3, v6, v3
	s_delay_alu instid0(VALU_DEP_1) | instskip(SKIP_1) | instid1(VALU_DEP_1)
	v_add_f32_e32 v8, v8, v3
	v_lshlrev_b64 v[3:4], 2, v[0:1]
	v_add_co_u32 v6, vcc_lo, s4, v3
	s_delay_alu instid0(VALU_DEP_2)
	v_add_co_ci_u32_e32 v7, vcc_lo, s5, v4, vcc_lo
	v_add_co_u32 v3, vcc_lo, s6, v3
	v_add_co_ci_u32_e32 v4, vcc_lo, s7, v4, vcc_lo
	global_load_b32 v6, v[6:7], off
	global_load_b32 v3, v[3:4], off
	s_waitcnt vmcnt(0)
	v_sub_f32_e32 v3, v6, v3
	s_delay_alu instid0(VALU_DEP_1) | instskip(SKIP_2) | instid1(VALU_DEP_1)
	v_add_f32_e32 v10, v8, v3
	v_mad_u64_u32 v[3:4], null, s14, 14, v[0:1]
	v_mov_b32_e32 v4, v1
	v_lshlrev_b64 v[6:7], 2, v[3:4]
	s_delay_alu instid0(VALU_DEP_1) | instskip(NEXT) | instid1(VALU_DEP_2)
	v_add_co_u32 v8, vcc_lo, s4, v6
	v_add_co_ci_u32_e32 v9, vcc_lo, s5, v7, vcc_lo
	v_add_co_u32 v6, vcc_lo, s6, v6
	v_add_co_ci_u32_e32 v7, vcc_lo, s7, v7, vcc_lo
	global_load_b32 v0, v[8:9], off
	global_load_b32 v4, v[6:7], off
	s_waitcnt vmcnt(0)
	v_sub_f32_e32 v0, v0, v4
	s_delay_alu instid0(VALU_DEP_1) | instskip(SKIP_1) | instid1(VALU_DEP_1)
	v_add_f32_e32 v8, v10, v0
	v_add_nc_u32_e32 v0, s21, v3
	v_lshlrev_b64 v[3:4], 2, v[0:1]
	v_add_nc_u32_e32 v0, s20, v0
	s_delay_alu instid0(VALU_DEP_2) | instskip(NEXT) | instid1(VALU_DEP_3)
	v_add_co_u32 v6, vcc_lo, s4, v3
	v_add_co_ci_u32_e32 v7, vcc_lo, s5, v4, vcc_lo
	v_add_co_u32 v3, vcc_lo, s6, v3
	v_add_co_ci_u32_e32 v4, vcc_lo, s7, v4, vcc_lo
	global_load_b32 v6, v[6:7], off
	global_load_b32 v3, v[3:4], off
	s_waitcnt vmcnt(0)
	v_sub_f32_e32 v7, v6, v3
	v_lshlrev_b64 v[3:4], 2, v[0:1]
	v_add_nc_u32_e32 v0, s17, v0
	s_delay_alu instid0(VALU_DEP_3) | instskip(NEXT) | instid1(VALU_DEP_3)
	v_add_f32_e32 v6, v8, v7
	v_add_co_u32 v8, vcc_lo, s4, v3
	s_delay_alu instid0(VALU_DEP_4)
	v_add_co_ci_u32_e32 v9, vcc_lo, s5, v4, vcc_lo
	v_add_co_u32 v3, vcc_lo, s6, v3
	v_add_co_ci_u32_e32 v4, vcc_lo, s7, v4, vcc_lo
	global_load_b32 v8, v[8:9], off
	global_load_b32 v3, v[3:4], off
	s_waitcnt vmcnt(0)
	v_sub_f32_e32 v3, v8, v3
	s_delay_alu instid0(VALU_DEP_1) | instskip(SKIP_1) | instid1(VALU_DEP_1)
	v_add_f32_e32 v6, v6, v3
	v_lshlrev_b64 v[3:4], 2, v[0:1]
	v_add_co_u32 v8, vcc_lo, s4, v3
	s_delay_alu instid0(VALU_DEP_2)
	v_add_co_ci_u32_e32 v9, vcc_lo, s5, v4, vcc_lo
	v_add_co_u32 v3, vcc_lo, s6, v3
	v_add_co_ci_u32_e32 v4, vcc_lo, s7, v4, vcc_lo
	global_load_b32 v8, v[8:9], off
	global_load_b32 v3, v[3:4], off
	s_waitcnt vmcnt(0)
	v_sub_f32_e32 v3, v8, v3
	s_delay_alu instid0(VALU_DEP_1) | instskip(SKIP_2) | instid1(VALU_DEP_1)
	v_add_f32_e32 v6, v6, v3
	v_mad_u64_u32 v[3:4], null, s14, 11, v[0:1]
	v_mov_b32_e32 v4, v1
	v_lshlrev_b64 v[8:9], 2, v[3:4]
	s_delay_alu instid0(VALU_DEP_1) | instskip(NEXT) | instid1(VALU_DEP_2)
	v_add_co_u32 v10, vcc_lo, s4, v8
	v_add_co_ci_u32_e32 v11, vcc_lo, s5, v9, vcc_lo
	v_add_co_u32 v8, vcc_lo, s6, v8
	v_add_co_ci_u32_e32 v9, vcc_lo, s7, v9, vcc_lo
	global_load_b32 v0, v[10:11], off
	global_load_b32 v4, v[8:9], off
	s_waitcnt vmcnt(0)
	v_mad_u64_u32 v[8:9], null, s14, 13, v[3:4]
	v_dual_mov_b32 v9, v1 :: v_dual_sub_f32 v0, v0, v4
	s_delay_alu instid0(VALU_DEP_1) | instskip(NEXT) | instid1(VALU_DEP_2)
	v_lshlrev_b64 v[3:4], 2, v[8:9]
	v_add_f32_e32 v0, v6, v0
	s_delay_alu instid0(VALU_DEP_2) | instskip(NEXT) | instid1(VALU_DEP_3)
	v_add_co_u32 v9, vcc_lo, s4, v3
	v_add_co_ci_u32_e32 v10, vcc_lo, s5, v4, vcc_lo
	v_add_co_u32 v3, vcc_lo, s6, v3
	v_add_co_ci_u32_e32 v4, vcc_lo, s7, v4, vcc_lo
	global_load_b32 v6, v[9:10], off
	global_load_b32 v3, v[3:4], off
	s_waitcnt vmcnt(0)
	v_sub_f32_e32 v3, v6, v3
	s_delay_alu instid0(VALU_DEP_1) | instskip(SKIP_1) | instid1(VALU_DEP_1)
	v_add_f32_e32 v6, v0, v3
	v_add_nc_u32_e32 v0, s19, v8
	v_lshlrev_b64 v[3:4], 2, v[0:1]
	s_delay_alu instid0(VALU_DEP_1) | instskip(NEXT) | instid1(VALU_DEP_2)
	v_add_co_u32 v8, vcc_lo, s4, v3
	v_add_co_ci_u32_e32 v9, vcc_lo, s5, v4, vcc_lo
	v_add_co_u32 v3, vcc_lo, s6, v3
	v_add_co_ci_u32_e32 v4, vcc_lo, s7, v4, vcc_lo
	global_load_b32 v8, v[8:9], off
	global_load_b32 v3, v[3:4], off
	s_clause 0x2
	s_load_b128 s[0:3], s[12:13], 0x30
	s_load_b64 s[10:11], s[12:13], 0x40
	s_load_b32 s12, s[12:13], 0x48
	s_waitcnt vmcnt(0)
	v_sub_f32_e32 v3, v8, v3
	s_delay_alu instid0(VALU_DEP_1) | instskip(NEXT) | instid1(VALU_DEP_1)
	v_add_f32_e32 v3, v6, v3
	v_mul_f32_e32 v3, s16, v3
	s_waitcnt lgkmcnt(0)
	s_delay_alu instid0(VALU_DEP_1) | instskip(SKIP_3) | instid1(VALU_DEP_1)
	v_mul_f32_e32 v6, s0, v3
	v_mad_u64_u32 v[3:4], null, 0xffffff41, s14, v[0:1]
	v_mov_b32_e32 v4, v1
	s_mul_i32 s0, s14, 10
	v_lshlrev_b64 v[8:9], 2, v[3:4]
	s_delay_alu instid0(VALU_DEP_1) | instskip(NEXT) | instid1(VALU_DEP_2)
	v_add_co_u32 v8, vcc_lo, s8, v8
	v_add_co_ci_u32_e32 v9, vcc_lo, s9, v9, vcc_lo
	global_store_b32 v[8:9], v6, off
	v_mad_u64_u32 v[8:9], null, s14, 44, v[3:4]
	v_mov_b32_e32 v9, v1
	s_delay_alu instid0(VALU_DEP_1) | instskip(NEXT) | instid1(VALU_DEP_1)
	v_lshlrev_b64 v[3:4], 2, v[8:9]
	v_add_co_u32 v9, vcc_lo, s4, v3
	s_delay_alu instid0(VALU_DEP_2)
	v_add_co_ci_u32_e32 v10, vcc_lo, s5, v4, vcc_lo
	v_add_co_u32 v3, vcc_lo, s6, v3
	v_add_co_ci_u32_e32 v4, vcc_lo, s7, v4, vcc_lo
	global_load_b32 v0, v[9:10], off
	global_load_b32 v3, v[3:4], off
	s_waitcnt vmcnt(0)
	v_sub_f32_e32 v6, v0, v3
	v_add_nc_u32_e32 v0, s14, v8
	s_delay_alu instid0(VALU_DEP_1) | instskip(NEXT) | instid1(VALU_DEP_1)
	v_lshlrev_b64 v[3:4], 2, v[0:1]
	v_add_co_u32 v8, vcc_lo, s4, v3
	s_delay_alu instid0(VALU_DEP_2)
	v_add_co_ci_u32_e32 v9, vcc_lo, s5, v4, vcc_lo
	v_add_co_u32 v3, vcc_lo, s6, v3
	v_add_co_ci_u32_e32 v4, vcc_lo, s7, v4, vcc_lo
	global_load_b32 v8, v[8:9], off
	global_load_b32 v3, v[3:4], off
	s_waitcnt vmcnt(0)
	v_sub_f32_e32 v3, v8, v3
	v_mad_u64_u32 v[8:9], null, s14, 53, v[0:1]
	s_delay_alu instid0(VALU_DEP_2) | instskip(NEXT) | instid1(VALU_DEP_1)
	v_dual_mov_b32 v9, v1 :: v_dual_add_f32 v6, v6, v3
	v_lshlrev_b64 v[3:4], 2, v[8:9]
	s_delay_alu instid0(VALU_DEP_1) | instskip(NEXT) | instid1(VALU_DEP_2)
	v_add_co_u32 v9, vcc_lo, s4, v3
	v_add_co_ci_u32_e32 v10, vcc_lo, s5, v4, vcc_lo
	v_add_co_u32 v3, vcc_lo, s6, v3
	v_add_co_ci_u32_e32 v4, vcc_lo, s7, v4, vcc_lo
	global_load_b32 v0, v[9:10], off
	global_load_b32 v3, v[3:4], off
	s_waitcnt vmcnt(0)
	v_dual_sub_f32 v3, v0, v3 :: v_dual_add_nc_u32 v0, s15, v8
	s_delay_alu instid0(VALU_DEP_1) | instskip(NEXT) | instid1(VALU_DEP_2)
	v_add_f32_e32 v6, v6, v3
	v_lshlrev_b64 v[8:9], 2, v[0:1]
	v_add_nc_u32_e32 v0, s15, v0
	s_delay_alu instid0(VALU_DEP_2) | instskip(NEXT) | instid1(VALU_DEP_3)
	v_add_co_u32 v10, vcc_lo, s4, v8
	v_add_co_ci_u32_e32 v11, vcc_lo, s5, v9, vcc_lo
	v_add_co_u32 v8, vcc_lo, s6, v8
	v_add_co_ci_u32_e32 v9, vcc_lo, s7, v9, vcc_lo
	global_load_b32 v4, v[10:11], off
	global_load_b32 v8, v[8:9], off
	s_waitcnt vmcnt(0)
	v_sub_f32_e32 v4, v4, v8
	s_delay_alu instid0(VALU_DEP_1) | instskip(NEXT) | instid1(VALU_DEP_1)
	v_add_f32_e32 v6, v6, v4
	v_sub_f32_e32 v10, v6, v5
	v_lshlrev_b64 v[5:6], 2, v[0:1]
	v_add_nc_u32_e32 v0, s14, v0
	s_delay_alu instid0(VALU_DEP_2) | instskip(NEXT) | instid1(VALU_DEP_3)
	v_add_co_u32 v8, vcc_lo, s4, v5
	v_add_co_ci_u32_e32 v9, vcc_lo, s5, v6, vcc_lo
	v_add_co_u32 v5, vcc_lo, s6, v5
	v_add_co_ci_u32_e32 v6, vcc_lo, s7, v6, vcc_lo
	global_load_b32 v8, v[8:9], off
	global_load_b32 v5, v[5:6], off
	s_waitcnt vmcnt(0)
	v_sub_f32_e32 v5, v8, v5
	s_delay_alu instid0(VALU_DEP_1) | instskip(SKIP_2) | instid1(VALU_DEP_2)
	v_add_f32_e32 v10, v10, v5
	v_lshlrev_b64 v[5:6], 2, v[0:1]
	v_add_nc_u32_e32 v0, s14, v0
	v_add_co_u32 v8, vcc_lo, s4, v5
	s_delay_alu instid0(VALU_DEP_3)
	v_add_co_ci_u32_e32 v9, vcc_lo, s5, v6, vcc_lo
	v_add_co_u32 v5, vcc_lo, s6, v5
	v_add_co_ci_u32_e32 v6, vcc_lo, s7, v6, vcc_lo
	global_load_b32 v8, v[8:9], off
	global_load_b32 v5, v[5:6], off
	s_waitcnt vmcnt(0)
	v_sub_f32_e32 v6, v8, v5
	v_lshlrev_b64 v[8:9], 2, v[0:1]
	s_delay_alu instid0(VALU_DEP_2) | instskip(NEXT) | instid1(VALU_DEP_2)
	v_dual_sub_f32 v5, v10, v6 :: v_dual_add_nc_u32 v0, s14, v0
	v_add_co_u32 v10, vcc_lo, s4, v8
	s_delay_alu instid0(VALU_DEP_3)
	v_add_co_ci_u32_e32 v11, vcc_lo, s5, v9, vcc_lo
	v_add_co_u32 v8, vcc_lo, s6, v8
	v_add_co_ci_u32_e32 v9, vcc_lo, s7, v9, vcc_lo
	global_load_b32 v10, v[10:11], off
	global_load_b32 v8, v[8:9], off
	s_waitcnt vmcnt(0)
	v_sub_f32_e32 v8, v10, v8
	s_delay_alu instid0(VALU_DEP_1) | instskip(SKIP_2) | instid1(VALU_DEP_2)
	v_sub_f32_e32 v12, v5, v8
	v_lshlrev_b64 v[8:9], 2, v[0:1]
	v_add_nc_u32_e32 v0, s14, v0
	v_add_co_u32 v10, vcc_lo, s4, v8
	s_delay_alu instid0(VALU_DEP_3)
	v_add_co_ci_u32_e32 v11, vcc_lo, s5, v9, vcc_lo
	v_add_co_u32 v8, vcc_lo, s6, v8
	v_add_co_ci_u32_e32 v9, vcc_lo, s7, v9, vcc_lo
	global_load_b32 v5, v[10:11], off
	global_load_b32 v8, v[8:9], off
	s_waitcnt vmcnt(0)
	v_sub_f32_e32 v5, v5, v8
	v_lshlrev_b64 v[8:9], 2, v[0:1]
	v_add_nc_u32_e32 v0, s14, v0
	s_delay_alu instid0(VALU_DEP_3) | instskip(NEXT) | instid1(VALU_DEP_3)
	v_sub_f32_e32 v12, v12, v5
	v_add_co_u32 v10, vcc_lo, s4, v8
	s_delay_alu instid0(VALU_DEP_4)
	v_add_co_ci_u32_e32 v11, vcc_lo, s5, v9, vcc_lo
	v_add_co_u32 v8, vcc_lo, s6, v8
	v_add_co_ci_u32_e32 v9, vcc_lo, s7, v9, vcc_lo
	global_load_b32 v10, v[10:11], off
	global_load_b32 v8, v[8:9], off
	s_waitcnt vmcnt(0)
	v_sub_f32_e32 v8, v10, v8
	s_delay_alu instid0(VALU_DEP_1) | instskip(SKIP_2) | instid1(VALU_DEP_2)
	v_sub_f32_e32 v12, v12, v8
	v_lshlrev_b64 v[8:9], 2, v[0:1]
	v_add_nc_u32_e32 v0, s14, v0
	v_add_co_u32 v10, vcc_lo, s4, v8
	s_delay_alu instid0(VALU_DEP_3)
	v_add_co_ci_u32_e32 v11, vcc_lo, s5, v9, vcc_lo
	v_add_co_u32 v8, vcc_lo, s6, v8
	v_add_co_ci_u32_e32 v9, vcc_lo, s7, v9, vcc_lo
	global_load_b32 v10, v[10:11], off
	global_load_b32 v8, v[8:9], off
	s_waitcnt vmcnt(0)
	v_sub_f32_e32 v8, v10, v8
	s_delay_alu instid0(VALU_DEP_1) | instskip(SKIP_2) | instid1(VALU_DEP_2)
	v_sub_f32_e32 v12, v12, v8
	v_lshlrev_b64 v[8:9], 2, v[0:1]
	v_add_nc_u32_e32 v0, s20, v0
	v_add_co_u32 v10, vcc_lo, s4, v8
	s_delay_alu instid0(VALU_DEP_3)
	;; [unrolled: 13-line block ×3, first 2 shown]
	v_add_co_ci_u32_e32 v11, vcc_lo, s5, v9, vcc_lo
	v_add_co_u32 v8, vcc_lo, s6, v8
	v_add_co_ci_u32_e32 v9, vcc_lo, s7, v9, vcc_lo
	global_load_b32 v10, v[10:11], off
	global_load_b32 v8, v[8:9], off
	s_waitcnt vmcnt(0)
	v_sub_f32_e32 v8, v10, v8
	s_delay_alu instid0(VALU_DEP_1) | instskip(SKIP_2) | instid1(VALU_DEP_2)
	v_add_f32_e32 v12, v12, v8
	v_lshlrev_b64 v[8:9], 2, v[0:1]
	v_add_nc_u32_e32 v0, s14, v0
	v_add_co_u32 v10, vcc_lo, s4, v8
	s_delay_alu instid0(VALU_DEP_3)
	v_add_co_ci_u32_e32 v11, vcc_lo, s5, v9, vcc_lo
	v_add_co_u32 v8, vcc_lo, s6, v8
	v_add_co_ci_u32_e32 v9, vcc_lo, s7, v9, vcc_lo
	global_load_b32 v10, v[10:11], off
	global_load_b32 v8, v[8:9], off
	s_waitcnt vmcnt(0)
	v_sub_f32_e32 v8, v10, v8
	s_delay_alu instid0(VALU_DEP_1) | instskip(SKIP_2) | instid1(VALU_DEP_2)
	v_add_f32_e32 v12, v12, v8
	v_lshlrev_b64 v[8:9], 2, v[0:1]
	v_add_nc_u32_e32 v0, s21, v0
	v_add_co_u32 v10, vcc_lo, s4, v8
	s_delay_alu instid0(VALU_DEP_3)
	v_add_co_ci_u32_e32 v11, vcc_lo, s5, v9, vcc_lo
	v_add_co_u32 v8, vcc_lo, s6, v8
	v_add_co_ci_u32_e32 v9, vcc_lo, s7, v9, vcc_lo
	global_load_b32 v10, v[10:11], off
	global_load_b32 v8, v[8:9], off
	s_waitcnt vmcnt(0)
	v_sub_f32_e32 v8, v10, v8
	s_delay_alu instid0(VALU_DEP_1) | instskip(SKIP_1) | instid1(VALU_DEP_1)
	v_add_f32_e32 v12, v12, v8
	v_lshlrev_b64 v[8:9], 2, v[0:1]
	v_add_co_u32 v10, vcc_lo, s4, v8
	s_delay_alu instid0(VALU_DEP_2)
	v_add_co_ci_u32_e32 v11, vcc_lo, s5, v9, vcc_lo
	v_add_co_u32 v8, vcc_lo, s6, v8
	v_add_co_ci_u32_e32 v9, vcc_lo, s7, v9, vcc_lo
	global_load_b32 v10, v[10:11], off
	global_load_b32 v8, v[8:9], off
	s_waitcnt vmcnt(0)
	v_sub_f32_e32 v8, v10, v8
	s_delay_alu instid0(VALU_DEP_1) | instskip(NEXT) | instid1(VALU_DEP_1)
	v_add_f32_e32 v8, v12, v8
	v_mul_f32_e32 v8, s16, v8
	s_delay_alu instid0(VALU_DEP_1) | instskip(SKIP_3) | instid1(VALU_DEP_1)
	v_mul_f32_e32 v11, s1, v8
	v_mad_u64_u32 v[8:9], null, 0xffffff7e, s14, v[0:1]
	v_mov_b32_e32 v9, v1
	s_mul_i32 s1, s14, 0x4d
	v_lshlrev_b64 v[9:10], 2, v[8:9]
	v_add_nc_u32_e32 v0, s1, v8
	s_delay_alu instid0(VALU_DEP_2) | instskip(NEXT) | instid1(VALU_DEP_3)
	v_add_co_u32 v9, vcc_lo, s8, v9
	v_add_co_ci_u32_e32 v10, vcc_lo, s9, v10, vcc_lo
	global_store_b32 v[9:10], v11, off
	v_lshlrev_b64 v[8:9], 2, v[0:1]
	v_add_nc_u32_e32 v0, s14, v0
	s_delay_alu instid0(VALU_DEP_2) | instskip(NEXT) | instid1(VALU_DEP_3)
	v_add_co_u32 v10, vcc_lo, s4, v8
	v_add_co_ci_u32_e32 v11, vcc_lo, s5, v9, vcc_lo
	v_add_co_u32 v8, vcc_lo, s6, v8
	v_add_co_ci_u32_e32 v9, vcc_lo, s7, v9, vcc_lo
	global_load_b32 v10, v[10:11], off
	global_load_b32 v8, v[8:9], off
	s_waitcnt vmcnt(0)
	v_sub_f32_e32 v12, v10, v8
	v_lshlrev_b64 v[8:9], 2, v[0:1]
	v_add_nc_u32_e32 v0, s19, v0
	s_delay_alu instid0(VALU_DEP_2) | instskip(NEXT) | instid1(VALU_DEP_3)
	v_add_co_u32 v10, vcc_lo, s4, v8
	v_add_co_ci_u32_e32 v11, vcc_lo, s5, v9, vcc_lo
	v_add_co_u32 v8, vcc_lo, s6, v8
	v_add_co_ci_u32_e32 v9, vcc_lo, s7, v9, vcc_lo
	global_load_b32 v10, v[10:11], off
	global_load_b32 v8, v[8:9], off
	s_waitcnt vmcnt(0)
	v_sub_f32_e32 v8, v10, v8
	s_delay_alu instid0(VALU_DEP_1) | instskip(SKIP_2) | instid1(VALU_DEP_2)
	v_add_f32_e32 v12, v12, v8
	v_lshlrev_b64 v[8:9], 2, v[0:1]
	v_add_nc_u32_e32 v0, s0, v0
	v_add_co_u32 v10, vcc_lo, s4, v8
	s_delay_alu instid0(VALU_DEP_3)
	v_add_co_ci_u32_e32 v11, vcc_lo, s5, v9, vcc_lo
	v_add_co_u32 v8, vcc_lo, s6, v8
	v_add_co_ci_u32_e32 v9, vcc_lo, s7, v9, vcc_lo
	global_load_b32 v10, v[10:11], off
	global_load_b32 v8, v[8:9], off
	s_waitcnt vmcnt(0)
	v_sub_f32_e32 v8, v10, v8
	v_lshlrev_b64 v[9:10], 2, v[0:1]
	s_delay_alu instid0(VALU_DEP_2) | instskip(NEXT) | instid1(VALU_DEP_2)
	v_add_f32_e32 v13, v12, v8
	v_add_co_u32 v11, vcc_lo, s4, v9
	s_delay_alu instid0(VALU_DEP_3)
	v_add_co_ci_u32_e32 v12, vcc_lo, s5, v10, vcc_lo
	v_add_co_u32 v9, vcc_lo, s6, v9
	v_add_co_ci_u32_e32 v10, vcc_lo, s7, v10, vcc_lo
	global_load_b32 v11, v[11:12], off
	global_load_b32 v9, v[9:10], off
	s_waitcnt vmcnt(0)
	v_sub_f32_e32 v9, v11, v9
	s_delay_alu instid0(VALU_DEP_1) | instskip(SKIP_2) | instid1(VALU_DEP_1)
	v_add_f32_e32 v14, v13, v9
	v_mad_u64_u32 v[9:10], null, s14, 27, v[0:1]
	v_mov_b32_e32 v10, v1
	v_lshlrev_b64 v[10:11], 2, v[9:10]
	s_delay_alu instid0(VALU_DEP_1) | instskip(NEXT) | instid1(VALU_DEP_2)
	v_add_co_u32 v12, vcc_lo, s4, v10
	v_add_co_ci_u32_e32 v13, vcc_lo, s5, v11, vcc_lo
	v_add_co_u32 v10, vcc_lo, s6, v10
	v_add_co_ci_u32_e32 v11, vcc_lo, s7, v11, vcc_lo
	global_load_b32 v0, v[12:13], off
	global_load_b32 v10, v[10:11], off
	s_waitcnt vmcnt(0)
	v_sub_f32_e32 v0, v0, v10
	s_delay_alu instid0(VALU_DEP_1) | instskip(SKIP_1) | instid1(VALU_DEP_1)
	v_dual_add_f32 v13, v14, v0 :: v_dual_add_nc_u32 v0, s0, v9
	s_mul_i32 s0, s14, 15
	v_lshlrev_b64 v[9:10], 2, v[0:1]
	v_add_nc_u32_e32 v0, s14, v0
	s_delay_alu instid0(VALU_DEP_2) | instskip(NEXT) | instid1(VALU_DEP_3)
	v_add_co_u32 v11, vcc_lo, s4, v9
	v_add_co_ci_u32_e32 v12, vcc_lo, s5, v10, vcc_lo
	v_add_co_u32 v9, vcc_lo, s6, v9
	v_add_co_ci_u32_e32 v10, vcc_lo, s7, v10, vcc_lo
	global_load_b32 v11, v[11:12], off
	global_load_b32 v9, v[9:10], off
	s_waitcnt vmcnt(0)
	v_sub_f32_e32 v9, v11, v9
	s_delay_alu instid0(VALU_DEP_1) | instskip(SKIP_2) | instid1(VALU_DEP_2)
	v_add_f32_e32 v13, v13, v9
	v_lshlrev_b64 v[9:10], 2, v[0:1]
	v_add_nc_u32_e32 v0, s20, v0
	v_add_co_u32 v11, vcc_lo, s4, v9
	s_delay_alu instid0(VALU_DEP_3)
	v_add_co_ci_u32_e32 v12, vcc_lo, s5, v10, vcc_lo
	v_add_co_u32 v9, vcc_lo, s6, v9
	v_add_co_ci_u32_e32 v10, vcc_lo, s7, v10, vcc_lo
	global_load_b32 v11, v[11:12], off
	global_load_b32 v9, v[9:10], off
	s_waitcnt vmcnt(0)
	v_sub_f32_e32 v9, v11, v9
	s_delay_alu instid0(VALU_DEP_1) | instskip(SKIP_2) | instid1(VALU_DEP_2)
	v_add_f32_e32 v13, v13, v9
	v_lshlrev_b64 v[9:10], 2, v[0:1]
	v_add_nc_u32_e32 v0, s14, v0
	v_add_co_u32 v11, vcc_lo, s4, v9
	s_delay_alu instid0(VALU_DEP_3)
	v_add_co_ci_u32_e32 v12, vcc_lo, s5, v10, vcc_lo
	v_add_co_u32 v9, vcc_lo, s6, v9
	v_add_co_ci_u32_e32 v10, vcc_lo, s7, v10, vcc_lo
	global_load_b32 v11, v[11:12], off
	global_load_b32 v9, v[9:10], off
	s_waitcnt vmcnt(0)
	v_sub_f32_e32 v9, v11, v9
	s_delay_alu instid0(VALU_DEP_1) | instskip(SKIP_2) | instid1(VALU_DEP_2)
	v_sub_f32_e32 v13, v13, v9
	v_lshlrev_b64 v[9:10], 2, v[0:1]
	v_add_nc_u32_e32 v0, s14, v0
	v_add_co_u32 v11, vcc_lo, s4, v9
	s_delay_alu instid0(VALU_DEP_3)
	v_add_co_ci_u32_e32 v12, vcc_lo, s5, v10, vcc_lo
	v_add_co_u32 v9, vcc_lo, s6, v9
	v_add_co_ci_u32_e32 v10, vcc_lo, s7, v10, vcc_lo
	global_load_b32 v11, v[11:12], off
	global_load_b32 v9, v[9:10], off
	s_waitcnt vmcnt(0)
	v_sub_f32_e32 v9, v11, v9
	s_delay_alu instid0(VALU_DEP_1) | instskip(SKIP_2) | instid1(VALU_DEP_2)
	v_sub_f32_e32 v13, v13, v9
	;; [unrolled: 13-line block ×4, first 2 shown]
	v_lshlrev_b64 v[9:10], 2, v[0:1]
	v_add_nc_u32_e32 v0, s15, v0
	v_add_co_u32 v11, vcc_lo, s4, v9
	s_delay_alu instid0(VALU_DEP_3)
	v_add_co_ci_u32_e32 v12, vcc_lo, s5, v10, vcc_lo
	v_add_co_u32 v9, vcc_lo, s6, v9
	v_add_co_ci_u32_e32 v10, vcc_lo, s7, v10, vcc_lo
	global_load_b32 v11, v[11:12], off
	global_load_b32 v9, v[9:10], off
	s_waitcnt vmcnt(0)
	v_sub_f32_e32 v9, v11, v9
	s_delay_alu instid0(VALU_DEP_1) | instskip(NEXT) | instid1(VALU_DEP_1)
	v_sub_f32_e32 v9, v13, v9
	v_sub_f32_e32 v7, v9, v7
	v_lshlrev_b64 v[9:10], 2, v[0:1]
	v_add_nc_u32_e32 v0, s14, v0
	s_delay_alu instid0(VALU_DEP_2) | instskip(NEXT) | instid1(VALU_DEP_3)
	v_add_co_u32 v11, vcc_lo, s4, v9
	v_add_co_ci_u32_e32 v12, vcc_lo, s5, v10, vcc_lo
	v_add_co_u32 v9, vcc_lo, s6, v9
	v_add_co_ci_u32_e32 v10, vcc_lo, s7, v10, vcc_lo
	global_load_b32 v11, v[11:12], off
	global_load_b32 v9, v[9:10], off
	s_waitcnt vmcnt(0)
	v_sub_f32_e32 v9, v11, v9
	s_delay_alu instid0(VALU_DEP_1) | instskip(SKIP_2) | instid1(VALU_DEP_2)
	v_sub_f32_e32 v7, v7, v9
	v_lshlrev_b64 v[9:10], 2, v[0:1]
	v_add_nc_u32_e32 v0, s14, v0
	v_add_co_u32 v11, vcc_lo, s4, v9
	s_delay_alu instid0(VALU_DEP_3)
	v_add_co_ci_u32_e32 v12, vcc_lo, s5, v10, vcc_lo
	v_add_co_u32 v9, vcc_lo, s6, v9
	v_add_co_ci_u32_e32 v10, vcc_lo, s7, v10, vcc_lo
	global_load_b32 v11, v[11:12], off
	global_load_b32 v9, v[9:10], off
	s_waitcnt vmcnt(0)
	v_sub_f32_e32 v9, v11, v9
	s_delay_alu instid0(VALU_DEP_1) | instskip(SKIP_2) | instid1(VALU_DEP_2)
	v_sub_f32_e32 v13, v7, v9
	v_lshlrev_b64 v[9:10], 2, v[0:1]
	v_add_nc_u32_e32 v0, s14, v0
	v_add_co_u32 v11, vcc_lo, s4, v9
	s_delay_alu instid0(VALU_DEP_3)
	v_add_co_ci_u32_e32 v12, vcc_lo, s5, v10, vcc_lo
	v_add_co_u32 v9, vcc_lo, s6, v9
	v_add_co_ci_u32_e32 v10, vcc_lo, s7, v10, vcc_lo
	global_load_b32 v7, v[11:12], off
	global_load_b32 v9, v[9:10], off
	s_waitcnt vmcnt(0)
	v_sub_f32_e32 v7, v7, v9
	v_lshlrev_b64 v[9:10], 2, v[0:1]
	s_delay_alu instid0(VALU_DEP_2) | instskip(NEXT) | instid1(VALU_DEP_2)
	v_dual_sub_f32 v13, v13, v7 :: v_dual_add_nc_u32 v0, s14, v0
	v_add_co_u32 v11, vcc_lo, s4, v9
	s_delay_alu instid0(VALU_DEP_3)
	v_add_co_ci_u32_e32 v12, vcc_lo, s5, v10, vcc_lo
	v_add_co_u32 v9, vcc_lo, s6, v9
	v_add_co_ci_u32_e32 v10, vcc_lo, s7, v10, vcc_lo
	global_load_b32 v11, v[11:12], off
	global_load_b32 v9, v[9:10], off
	s_waitcnt vmcnt(0)
	v_sub_f32_e32 v9, v11, v9
	s_delay_alu instid0(VALU_DEP_1) | instskip(SKIP_2) | instid1(VALU_DEP_2)
	v_sub_f32_e32 v13, v13, v9
	v_lshlrev_b64 v[9:10], 2, v[0:1]
	v_add_nc_u32_e32 v0, s14, v0
	v_add_co_u32 v11, vcc_lo, s4, v9
	s_delay_alu instid0(VALU_DEP_3)
	v_add_co_ci_u32_e32 v12, vcc_lo, s5, v10, vcc_lo
	v_add_co_u32 v9, vcc_lo, s6, v9
	v_add_co_ci_u32_e32 v10, vcc_lo, s7, v10, vcc_lo
	global_load_b32 v11, v[11:12], off
	global_load_b32 v9, v[9:10], off
	s_waitcnt vmcnt(0)
	v_sub_f32_e32 v9, v11, v9
	s_delay_alu instid0(VALU_DEP_1) | instskip(SKIP_2) | instid1(VALU_DEP_2)
	v_sub_f32_e32 v13, v13, v9
	v_lshlrev_b64 v[9:10], 2, v[0:1]
	v_add_nc_u32_e32 v0, s14, v0
	;; [unrolled: 13-line block ×6, first 2 shown]
	v_add_co_u32 v11, vcc_lo, s4, v9
	s_delay_alu instid0(VALU_DEP_3)
	v_add_co_ci_u32_e32 v12, vcc_lo, s5, v10, vcc_lo
	v_add_co_u32 v9, vcc_lo, s6, v9
	v_add_co_ci_u32_e32 v10, vcc_lo, s7, v10, vcc_lo
	global_load_b32 v11, v[11:12], off
	global_load_b32 v9, v[9:10], off
	s_waitcnt vmcnt(0)
	v_sub_f32_e32 v9, v11, v9
	s_delay_alu instid0(VALU_DEP_1) | instskip(SKIP_2) | instid1(VALU_DEP_2)
	v_add_f32_e32 v13, v13, v9
	v_lshlrev_b64 v[9:10], 2, v[0:1]
	v_add_nc_u32_e32 v0, s15, v0
	v_add_co_u32 v11, vcc_lo, s4, v9
	s_delay_alu instid0(VALU_DEP_3)
	v_add_co_ci_u32_e32 v12, vcc_lo, s5, v10, vcc_lo
	v_add_co_u32 v9, vcc_lo, s6, v9
	v_add_co_ci_u32_e32 v10, vcc_lo, s7, v10, vcc_lo
	global_load_b32 v11, v[11:12], off
	global_load_b32 v9, v[9:10], off
	s_waitcnt vmcnt(0)
	v_sub_f32_e32 v9, v11, v9
	s_delay_alu instid0(VALU_DEP_1) | instskip(SKIP_2) | instid1(VALU_DEP_2)
	v_add_f32_e32 v13, v13, v9
	v_lshlrev_b64 v[9:10], 2, v[0:1]
	v_add_nc_u32_e32 v0, s0, v0
	v_add_co_u32 v11, vcc_lo, s4, v9
	s_delay_alu instid0(VALU_DEP_3)
	v_add_co_ci_u32_e32 v12, vcc_lo, s5, v10, vcc_lo
	v_add_co_u32 v9, vcc_lo, s6, v9
	v_add_co_ci_u32_e32 v10, vcc_lo, s7, v10, vcc_lo
	global_load_b32 v11, v[11:12], off
	global_load_b32 v9, v[9:10], off
	s_waitcnt vmcnt(0)
	v_sub_f32_e32 v9, v11, v9
	s_delay_alu instid0(VALU_DEP_1) | instskip(SKIP_1) | instid1(VALU_DEP_1)
	v_add_f32_e32 v13, v13, v9
	v_lshlrev_b64 v[9:10], 2, v[0:1]
	v_add_co_u32 v11, vcc_lo, s4, v9
	s_delay_alu instid0(VALU_DEP_2)
	v_add_co_ci_u32_e32 v12, vcc_lo, s5, v10, vcc_lo
	v_add_co_u32 v9, vcc_lo, s6, v9
	v_add_co_ci_u32_e32 v10, vcc_lo, s7, v10, vcc_lo
	global_load_b32 v11, v[11:12], off
	global_load_b32 v9, v[9:10], off
	s_waitcnt vmcnt(0)
	v_sub_f32_e32 v9, v11, v9
	s_delay_alu instid0(VALU_DEP_1) | instskip(NEXT) | instid1(VALU_DEP_1)
	v_add_f32_e32 v9, v13, v9
	v_mul_f32_e32 v9, s16, v9
	s_delay_alu instid0(VALU_DEP_1) | instskip(SKIP_2) | instid1(VALU_DEP_1)
	v_mul_f32_e32 v13, s2, v9
	v_mad_u64_u32 v[9:10], null, 0xffffff50, s14, v[0:1]
	v_mov_b32_e32 v10, v1
	v_lshlrev_b64 v[11:12], 2, v[9:10]
	s_delay_alu instid0(VALU_DEP_1) | instskip(NEXT) | instid1(VALU_DEP_2)
	v_add_co_u32 v11, vcc_lo, s8, v11
	v_add_co_ci_u32_e32 v12, vcc_lo, s9, v12, vcc_lo
	global_store_b32 v[11:12], v13, off
	v_mad_u64_u32 v[11:12], null, 0x4e, s14, v[9:10]
	v_mov_b32_e32 v12, v1
	s_delay_alu instid0(VALU_DEP_1) | instskip(NEXT) | instid1(VALU_DEP_1)
	v_lshlrev_b64 v[9:10], 2, v[11:12]
	v_add_co_u32 v12, vcc_lo, s4, v9
	s_delay_alu instid0(VALU_DEP_2)
	v_add_co_ci_u32_e32 v13, vcc_lo, s5, v10, vcc_lo
	v_add_co_u32 v9, vcc_lo, s6, v9
	v_add_co_ci_u32_e32 v10, vcc_lo, s7, v10, vcc_lo
	global_load_b32 v0, v[12:13], off
	global_load_b32 v9, v[9:10], off
	s_waitcnt vmcnt(0)
	v_dual_sub_f32 v13, v0, v9 :: v_dual_add_nc_u32 v0, s1, v11
	s_delay_alu instid0(VALU_DEP_1) | instskip(SKIP_1) | instid1(VALU_DEP_2)
	v_lshlrev_b64 v[9:10], 2, v[0:1]
	v_add_nc_u32_e32 v0, s17, v0
	v_add_co_u32 v11, vcc_lo, s4, v9
	s_delay_alu instid0(VALU_DEP_3)
	v_add_co_ci_u32_e32 v12, vcc_lo, s5, v10, vcc_lo
	v_add_co_u32 v9, vcc_lo, s6, v9
	v_add_co_ci_u32_e32 v10, vcc_lo, s7, v10, vcc_lo
	global_load_b32 v11, v[11:12], off
	global_load_b32 v9, v[9:10], off
	s_waitcnt vmcnt(0)
	v_sub_f32_e32 v9, v11, v9
	s_delay_alu instid0(VALU_DEP_1) | instskip(SKIP_2) | instid1(VALU_DEP_2)
	v_add_f32_e32 v13, v13, v9
	v_lshlrev_b64 v[9:10], 2, v[0:1]
	v_add_nc_u32_e32 v0, s19, v0
	v_add_co_u32 v11, vcc_lo, s4, v9
	s_delay_alu instid0(VALU_DEP_3)
	v_add_co_ci_u32_e32 v12, vcc_lo, s5, v10, vcc_lo
	v_add_co_u32 v9, vcc_lo, s6, v9
	v_add_co_ci_u32_e32 v10, vcc_lo, s7, v10, vcc_lo
	global_load_b32 v11, v[11:12], off
	global_load_b32 v9, v[9:10], off
	s_waitcnt vmcnt(0)
	v_sub_f32_e32 v9, v11, v9
	s_delay_alu instid0(VALU_DEP_1) | instskip(SKIP_2) | instid1(VALU_DEP_2)
	v_add_f32_e32 v13, v13, v9
	;; [unrolled: 13-line block ×4, first 2 shown]
	v_lshlrev_b64 v[9:10], 2, v[0:1]
	v_add_nc_u32_e32 v0, s14, v0
	v_add_co_u32 v11, vcc_lo, s4, v9
	s_delay_alu instid0(VALU_DEP_3)
	v_add_co_ci_u32_e32 v12, vcc_lo, s5, v10, vcc_lo
	v_add_co_u32 v9, vcc_lo, s6, v9
	v_add_co_ci_u32_e32 v10, vcc_lo, s7, v10, vcc_lo
	global_load_b32 v11, v[11:12], off
	global_load_b32 v9, v[9:10], off
	s_waitcnt vmcnt(0)
	v_sub_f32_e32 v9, v11, v9
	s_delay_alu instid0(VALU_DEP_1) | instskip(SKIP_2) | instid1(VALU_DEP_2)
	v_sub_f32_e32 v13, v13, v9
	v_lshlrev_b64 v[9:10], 2, v[0:1]
	v_add_nc_u32_e32 v0, s14, v0
	v_add_co_u32 v11, vcc_lo, s4, v9
	s_delay_alu instid0(VALU_DEP_3)
	v_add_co_ci_u32_e32 v12, vcc_lo, s5, v10, vcc_lo
	v_add_co_u32 v9, vcc_lo, s6, v9
	v_add_co_ci_u32_e32 v10, vcc_lo, s7, v10, vcc_lo
	global_load_b32 v11, v[11:12], off
	global_load_b32 v9, v[9:10], off
	s_waitcnt vmcnt(0)
	v_sub_f32_e32 v9, v11, v9
	s_delay_alu instid0(VALU_DEP_1) | instskip(SKIP_2) | instid1(VALU_DEP_2)
	v_sub_f32_e32 v13, v13, v9
	;; [unrolled: 13-line block ×3, first 2 shown]
	v_lshlrev_b64 v[9:10], 2, v[0:1]
	v_add_nc_u32_e32 v0, s14, v0
	v_add_co_u32 v11, vcc_lo, s4, v9
	s_delay_alu instid0(VALU_DEP_3)
	v_add_co_ci_u32_e32 v12, vcc_lo, s5, v10, vcc_lo
	v_add_co_u32 v9, vcc_lo, s6, v9
	v_add_co_ci_u32_e32 v10, vcc_lo, s7, v10, vcc_lo
	global_load_b32 v11, v[11:12], off
	global_load_b32 v9, v[9:10], off
	s_waitcnt vmcnt(0)
	v_sub_f32_e32 v9, v11, v9
	s_delay_alu instid0(VALU_DEP_1) | instskip(SKIP_1) | instid1(VALU_DEP_1)
	v_sub_f32_e32 v13, v13, v9
	v_lshlrev_b64 v[9:10], 2, v[0:1]
	v_add_co_u32 v11, vcc_lo, s4, v9
	s_delay_alu instid0(VALU_DEP_2)
	v_add_co_ci_u32_e32 v12, vcc_lo, s5, v10, vcc_lo
	v_add_co_u32 v9, vcc_lo, s6, v9
	v_add_co_ci_u32_e32 v10, vcc_lo, s7, v10, vcc_lo
	global_load_b32 v11, v[11:12], off
	global_load_b32 v9, v[9:10], off
	s_waitcnt vmcnt(0)
	v_sub_f32_e32 v9, v11, v9
	s_delay_alu instid0(VALU_DEP_1) | instskip(NEXT) | instid1(VALU_DEP_1)
	v_sub_f32_e32 v9, v13, v9
	v_mul_f32_e32 v9, s16, v9
	s_delay_alu instid0(VALU_DEP_1) | instskip(SKIP_2) | instid1(VALU_DEP_1)
	v_mul_f32_e32 v13, s3, v9
	v_mad_u64_u32 v[9:10], null, 0xffffff58, s14, v[0:1]
	v_mov_b32_e32 v10, v1
	v_lshlrev_b64 v[11:12], 2, v[9:10]
	s_delay_alu instid0(VALU_DEP_1) | instskip(NEXT) | instid1(VALU_DEP_2)
	v_add_co_u32 v11, vcc_lo, s8, v11
	v_add_co_ci_u32_e32 v12, vcc_lo, s9, v12, vcc_lo
	global_store_b32 v[11:12], v13, off
	v_mad_u64_u32 v[11:12], null, s14, 23, v[9:10]
	v_mov_b32_e32 v12, v1
	s_delay_alu instid0(VALU_DEP_1) | instskip(NEXT) | instid1(VALU_DEP_1)
	v_lshlrev_b64 v[9:10], 2, v[11:12]
	v_add_co_u32 v12, vcc_lo, s4, v9
	s_delay_alu instid0(VALU_DEP_2)
	v_add_co_ci_u32_e32 v13, vcc_lo, s5, v10, vcc_lo
	v_add_co_u32 v9, vcc_lo, s6, v9
	v_add_co_ci_u32_e32 v10, vcc_lo, s7, v10, vcc_lo
	global_load_b32 v0, v[12:13], off
	global_load_b32 v9, v[9:10], off
	s_waitcnt vmcnt(0)
	v_sub_f32_e32 v0, v0, v9
	s_delay_alu instid0(VALU_DEP_1) | instskip(SKIP_2) | instid1(VALU_DEP_1)
	v_sub_f32_e32 v0, v0, v8
	v_mad_u64_u32 v[8:9], null, 0x45, s14, v[11:12]
	v_mov_b32_e32 v9, v1
	v_lshlrev_b64 v[9:10], 2, v[8:9]
	s_delay_alu instid0(VALU_DEP_1) | instskip(NEXT) | instid1(VALU_DEP_2)
	v_add_co_u32 v11, vcc_lo, s4, v9
	v_add_co_ci_u32_e32 v12, vcc_lo, s5, v10, vcc_lo
	v_add_co_u32 v9, vcc_lo, s6, v9
	v_add_co_ci_u32_e32 v10, vcc_lo, s7, v10, vcc_lo
	global_load_b32 v11, v[11:12], off
	global_load_b32 v9, v[9:10], off
	s_waitcnt vmcnt(0)
	v_sub_f32_e32 v9, v11, v9
	s_delay_alu instid0(VALU_DEP_1) | instskip(SKIP_1) | instid1(VALU_DEP_1)
	v_sub_f32_e32 v12, v0, v9
	v_add_nc_u32_e32 v0, s14, v8
	v_lshlrev_b64 v[8:9], 2, v[0:1]
	v_add_nc_u32_e32 v0, s14, v0
	s_delay_alu instid0(VALU_DEP_2) | instskip(NEXT) | instid1(VALU_DEP_3)
	v_add_co_u32 v10, vcc_lo, s4, v8
	v_add_co_ci_u32_e32 v11, vcc_lo, s5, v9, vcc_lo
	v_add_co_u32 v8, vcc_lo, s6, v8
	v_add_co_ci_u32_e32 v9, vcc_lo, s7, v9, vcc_lo
	global_load_b32 v10, v[10:11], off
	global_load_b32 v8, v[8:9], off
	s_waitcnt vmcnt(0)
	v_sub_f32_e32 v8, v10, v8
	s_delay_alu instid0(VALU_DEP_1) | instskip(SKIP_2) | instid1(VALU_DEP_2)
	v_sub_f32_e32 v12, v12, v8
	v_lshlrev_b64 v[8:9], 2, v[0:1]
	v_add_nc_u32_e32 v0, s15, v0
	v_add_co_u32 v10, vcc_lo, s4, v8
	s_delay_alu instid0(VALU_DEP_3)
	v_add_co_ci_u32_e32 v11, vcc_lo, s5, v9, vcc_lo
	v_add_co_u32 v8, vcc_lo, s6, v8
	v_add_co_ci_u32_e32 v9, vcc_lo, s7, v9, vcc_lo
	global_load_b32 v10, v[10:11], off
	global_load_b32 v8, v[8:9], off
	s_waitcnt vmcnt(0)
	v_sub_f32_e32 v8, v10, v8
	s_delay_alu instid0(VALU_DEP_1) | instskip(NEXT) | instid1(VALU_DEP_1)
	v_sub_f32_e32 v8, v12, v8
	v_sub_f32_e32 v3, v8, v3
	v_lshlrev_b64 v[8:9], 2, v[0:1]
	v_add_nc_u32_e32 v0, s0, v0
	s_delay_alu instid0(VALU_DEP_2) | instskip(NEXT) | instid1(VALU_DEP_3)
	v_add_co_u32 v10, vcc_lo, s4, v8
	v_add_co_ci_u32_e32 v11, vcc_lo, s5, v9, vcc_lo
	v_add_co_u32 v8, vcc_lo, s6, v8
	v_add_co_ci_u32_e32 v9, vcc_lo, s7, v9, vcc_lo
	global_load_b32 v10, v[10:11], off
	global_load_b32 v8, v[8:9], off
	s_waitcnt vmcnt(0)
	v_sub_f32_e32 v8, v10, v8
	s_delay_alu instid0(VALU_DEP_1) | instskip(NEXT) | instid1(VALU_DEP_1)
	v_sub_f32_e32 v3, v3, v8
	v_sub_f32_e32 v3, v3, v4
	s_delay_alu instid0(VALU_DEP_1) | instskip(NEXT) | instid1(VALU_DEP_1)
	v_sub_f32_e32 v3, v3, v4
	v_add_f32_e32 v6, v6, v3
	v_lshlrev_b64 v[3:4], 2, v[0:1]
	v_add_nc_u32_e32 v0, s15, v0
	s_delay_alu instid0(VALU_DEP_2) | instskip(NEXT) | instid1(VALU_DEP_3)
	v_add_co_u32 v8, vcc_lo, s4, v3
	v_add_co_ci_u32_e32 v9, vcc_lo, s5, v4, vcc_lo
	v_add_co_u32 v3, vcc_lo, s6, v3
	v_add_co_ci_u32_e32 v4, vcc_lo, s7, v4, vcc_lo
	global_load_b32 v8, v[8:9], off
	global_load_b32 v3, v[3:4], off
	s_waitcnt vmcnt(0)
	v_sub_f32_e32 v10, v8, v3
	v_lshlrev_b64 v[3:4], 2, v[0:1]
	v_add_nc_u32_e32 v0, s15, v0
	s_delay_alu instid0(VALU_DEP_3) | instskip(NEXT) | instid1(VALU_DEP_3)
	v_add_f32_e32 v6, v10, v6
	v_add_co_u32 v8, vcc_lo, s4, v3
	s_delay_alu instid0(VALU_DEP_4)
	v_add_co_ci_u32_e32 v9, vcc_lo, s5, v4, vcc_lo
	v_add_co_u32 v3, vcc_lo, s6, v3
	v_add_co_ci_u32_e32 v4, vcc_lo, s7, v4, vcc_lo
	global_load_b32 v8, v[8:9], off
	global_load_b32 v3, v[3:4], off
	s_waitcnt vmcnt(0)
	v_sub_f32_e32 v11, v8, v3
	v_lshlrev_b64 v[3:4], 2, v[0:1]
	s_delay_alu instid0(VALU_DEP_2) | instskip(NEXT) | instid1(VALU_DEP_2)
	v_add_f32_e32 v6, v11, v6
	v_add_co_u32 v8, vcc_lo, s4, v3
	s_delay_alu instid0(VALU_DEP_3)
	v_add_co_ci_u32_e32 v9, vcc_lo, s5, v4, vcc_lo
	v_add_co_u32 v3, vcc_lo, s6, v3
	v_add_co_ci_u32_e32 v4, vcc_lo, s7, v4, vcc_lo
	global_load_b32 v8, v[8:9], off
	global_load_b32 v3, v[3:4], off
	s_waitcnt vmcnt(0)
	v_sub_f32_e32 v12, v8, v3
	s_delay_alu instid0(VALU_DEP_1) | instskip(NEXT) | instid1(VALU_DEP_1)
	v_add_f32_e32 v3, v6, v12
	v_mul_f32_e32 v3, s16, v3
	s_delay_alu instid0(VALU_DEP_1) | instskip(SKIP_2) | instid1(VALU_DEP_1)
	v_mul_f32_e32 v6, s10, v3
	v_mad_u64_u32 v[3:4], null, 0xffffff8e, s14, v[0:1]
	v_mov_b32_e32 v4, v1
	v_lshlrev_b64 v[8:9], 2, v[3:4]
	v_add_nc_u32_e32 v0, s18, v3
	s_delay_alu instid0(VALU_DEP_2) | instskip(NEXT) | instid1(VALU_DEP_2)
	v_add_co_u32 v8, vcc_lo, s8, v8
	v_lshlrev_b64 v[3:4], 2, v[0:1]
	s_delay_alu instid0(VALU_DEP_4)
	v_add_co_ci_u32_e32 v9, vcc_lo, s9, v9, vcc_lo
	global_store_b32 v[8:9], v6, off
	v_add_co_u32 v8, vcc_lo, s4, v3
	v_add_co_ci_u32_e32 v9, vcc_lo, s5, v4, vcc_lo
	v_add_co_u32 v3, vcc_lo, s6, v3
	v_add_co_ci_u32_e32 v4, vcc_lo, s7, v4, vcc_lo
	global_load_b32 v6, v[8:9], off
	global_load_b32 v3, v[3:4], off
	s_waitcnt vmcnt(0)
	v_sub_f32_e32 v3, v6, v3
	s_delay_alu instid0(VALU_DEP_1) | instskip(NEXT) | instid1(VALU_DEP_1)
	v_add_f32_e32 v2, v2, v3
	v_add_f32_e32 v8, v5, v2
	v_mad_u64_u32 v[2:3], null, 0x44, s14, v[0:1]
	v_mov_b32_e32 v3, v1
	s_delay_alu instid0(VALU_DEP_1) | instskip(NEXT) | instid1(VALU_DEP_1)
	v_lshlrev_b64 v[3:4], 2, v[2:3]
	v_add_co_u32 v5, vcc_lo, s4, v3
	s_delay_alu instid0(VALU_DEP_2)
	v_add_co_ci_u32_e32 v6, vcc_lo, s5, v4, vcc_lo
	v_add_co_u32 v3, vcc_lo, s6, v3
	v_add_co_ci_u32_e32 v4, vcc_lo, s7, v4, vcc_lo
	global_load_b32 v0, v[5:6], off
	global_load_b32 v3, v[3:4], off
	s_waitcnt vmcnt(0)
	v_sub_f32_e32 v0, v0, v3
	s_delay_alu instid0(VALU_DEP_1) | instskip(SKIP_1) | instid1(VALU_DEP_1)
	v_add_f32_e32 v6, v8, v0
	v_add_nc_u32_e32 v0, s15, v2
	v_lshlrev_b64 v[2:3], 2, v[0:1]
	v_add_nc_u32_e32 v0, s15, v0
	s_delay_alu instid0(VALU_DEP_2) | instskip(NEXT) | instid1(VALU_DEP_3)
	v_add_co_u32 v4, vcc_lo, s4, v2
	v_add_co_ci_u32_e32 v5, vcc_lo, s5, v3, vcc_lo
	v_add_co_u32 v2, vcc_lo, s6, v2
	v_add_co_ci_u32_e32 v3, vcc_lo, s7, v3, vcc_lo
	global_load_b32 v4, v[4:5], off
	global_load_b32 v2, v[2:3], off
	s_waitcnt vmcnt(0)
	v_sub_f32_e32 v2, v4, v2
	s_delay_alu instid0(VALU_DEP_1) | instskip(NEXT) | instid1(VALU_DEP_1)
	v_sub_f32_e32 v2, v6, v2
	v_sub_f32_e32 v6, v2, v10
	v_lshlrev_b64 v[2:3], 2, v[0:1]
	v_add_nc_u32_e32 v0, s15, v0
	s_delay_alu instid0(VALU_DEP_2) | instskip(NEXT) | instid1(VALU_DEP_3)
	v_add_co_u32 v4, vcc_lo, s4, v2
	v_add_co_ci_u32_e32 v5, vcc_lo, s5, v3, vcc_lo
	v_add_co_u32 v2, vcc_lo, s6, v2
	v_add_co_ci_u32_e32 v3, vcc_lo, s7, v3, vcc_lo
	global_load_b32 v4, v[4:5], off
	global_load_b32 v2, v[2:3], off
	s_waitcnt vmcnt(0)
	v_sub_f32_e32 v2, v4, v2
	s_delay_alu instid0(VALU_DEP_1) | instskip(NEXT) | instid1(VALU_DEP_1)
	v_sub_f32_e32 v2, v6, v2
	v_sub_f32_e32 v6, v2, v11
	;; [unrolled: 14-line block ×3, first 2 shown]
	v_lshlrev_b64 v[2:3], 2, v[0:1]
	v_add_nc_u32_e32 v0, s0, v0
	s_delay_alu instid0(VALU_DEP_2) | instskip(NEXT) | instid1(VALU_DEP_3)
	v_add_co_u32 v4, vcc_lo, s4, v2
	v_add_co_ci_u32_e32 v5, vcc_lo, s5, v3, vcc_lo
	v_add_co_u32 v2, vcc_lo, s6, v2
	v_add_co_ci_u32_e32 v3, vcc_lo, s7, v3, vcc_lo
	global_load_b32 v4, v[4:5], off
	global_load_b32 v2, v[2:3], off
	s_waitcnt vmcnt(0)
	v_sub_f32_e32 v2, v4, v2
	s_delay_alu instid0(VALU_DEP_1) | instskip(SKIP_2) | instid1(VALU_DEP_2)
	v_add_f32_e32 v6, v6, v2
	v_lshlrev_b64 v[2:3], 2, v[0:1]
	v_add_nc_u32_e32 v0, s14, v0
	v_add_co_u32 v4, vcc_lo, s4, v2
	s_delay_alu instid0(VALU_DEP_3)
	v_add_co_ci_u32_e32 v5, vcc_lo, s5, v3, vcc_lo
	v_add_co_u32 v2, vcc_lo, s6, v2
	v_add_co_ci_u32_e32 v3, vcc_lo, s7, v3, vcc_lo
	global_load_b32 v4, v[4:5], off
	global_load_b32 v2, v[2:3], off
	s_waitcnt vmcnt(0)
	v_sub_f32_e32 v2, v4, v2
	s_delay_alu instid0(VALU_DEP_1) | instskip(SKIP_2) | instid1(VALU_DEP_2)
	v_add_f32_e32 v6, v6, v2
	v_lshlrev_b64 v[2:3], 2, v[0:1]
	v_add_nc_u32_e32 v0, s14, v0
	v_add_co_u32 v4, vcc_lo, s4, v2
	s_delay_alu instid0(VALU_DEP_3)
	;; [unrolled: 13-line block ×3, first 2 shown]
	v_add_co_ci_u32_e32 v5, vcc_lo, s5, v3, vcc_lo
	v_add_co_u32 v2, vcc_lo, s6, v2
	v_add_co_ci_u32_e32 v3, vcc_lo, s7, v3, vcc_lo
	global_load_b32 v4, v[4:5], off
	global_load_b32 v2, v[2:3], off
	s_waitcnt vmcnt(0)
	v_sub_f32_e32 v2, v4, v2
	s_delay_alu instid0(VALU_DEP_1) | instskip(SKIP_1) | instid1(VALU_DEP_1)
	v_add_f32_e32 v6, v6, v2
	v_lshlrev_b64 v[2:3], 2, v[0:1]
	v_add_co_u32 v4, vcc_lo, s4, v2
	s_delay_alu instid0(VALU_DEP_2)
	v_add_co_ci_u32_e32 v5, vcc_lo, s5, v3, vcc_lo
	v_add_co_u32 v2, vcc_lo, s6, v2
	v_add_co_ci_u32_e32 v3, vcc_lo, s7, v3, vcc_lo
	global_load_b32 v4, v[4:5], off
	global_load_b32 v2, v[2:3], off
	s_waitcnt vmcnt(0)
	v_sub_f32_e32 v2, v4, v2
	s_delay_alu instid0(VALU_DEP_1) | instskip(SKIP_2) | instid1(VALU_DEP_1)
	v_add_f32_e32 v8, v6, v2
	v_mad_u64_u32 v[2:3], null, s14, 40, v[0:1]
	v_mov_b32_e32 v3, v1
	v_lshlrev_b64 v[3:4], 2, v[2:3]
	s_delay_alu instid0(VALU_DEP_1) | instskip(NEXT) | instid1(VALU_DEP_2)
	v_add_co_u32 v5, vcc_lo, s4, v3
	v_add_co_ci_u32_e32 v6, vcc_lo, s5, v4, vcc_lo
	v_add_co_u32 v3, vcc_lo, s6, v3
	v_add_co_ci_u32_e32 v4, vcc_lo, s7, v4, vcc_lo
	global_load_b32 v0, v[5:6], off
	global_load_b32 v3, v[3:4], off
	s_waitcnt vmcnt(0)
	v_sub_f32_e32 v0, v0, v3
	v_mad_u64_u32 v[3:4], null, 0xffffff51, s14, v[2:3]
	v_mov_b32_e32 v4, v1
	s_delay_alu instid0(VALU_DEP_3) | instskip(NEXT) | instid1(VALU_DEP_2)
	v_add_f32_e32 v0, v8, v0
	v_lshlrev_b64 v[5:6], 2, v[3:4]
	s_delay_alu instid0(VALU_DEP_2) | instskip(NEXT) | instid1(VALU_DEP_2)
	v_mul_f32_e32 v0, s16, v0
	v_add_co_u32 v5, vcc_lo, s8, v5
	s_delay_alu instid0(VALU_DEP_2) | instskip(NEXT) | instid1(VALU_DEP_4)
	v_mul_f32_e32 v0, s11, v0
	v_add_co_ci_u32_e32 v6, vcc_lo, s9, v6, vcc_lo
	global_store_b32 v[5:6], v0, off
	v_mad_u64_u32 v[5:6], null, 0x47, s14, v[3:4]
	v_mov_b32_e32 v6, v1
	s_delay_alu instid0(VALU_DEP_1) | instskip(NEXT) | instid1(VALU_DEP_1)
	v_lshlrev_b64 v[2:3], 2, v[5:6]
	v_add_co_u32 v8, vcc_lo, s4, v2
	s_delay_alu instid0(VALU_DEP_2)
	v_add_co_ci_u32_e32 v9, vcc_lo, s5, v3, vcc_lo
	v_add_co_u32 v2, vcc_lo, s6, v2
	v_add_co_ci_u32_e32 v3, vcc_lo, s7, v3, vcc_lo
	global_load_b32 v0, v[8:9], off
	global_load_b32 v2, v[2:3], off
	s_waitcnt vmcnt(0)
	v_sub_f32_e32 v0, v0, v2
	v_mad_u64_u32 v[2:3], null, s14, 59, v[5:6]
	v_mov_b32_e32 v3, v1
	s_delay_alu instid0(VALU_DEP_1) | instskip(NEXT) | instid1(VALU_DEP_1)
	v_lshlrev_b64 v[3:4], 2, v[2:3]
	v_add_co_u32 v5, vcc_lo, s4, v3
	s_delay_alu instid0(VALU_DEP_2)
	v_add_co_ci_u32_e32 v6, vcc_lo, s5, v4, vcc_lo
	v_add_co_u32 v3, vcc_lo, s6, v3
	v_add_co_ci_u32_e32 v4, vcc_lo, s7, v4, vcc_lo
	global_load_b32 v5, v[5:6], off
	global_load_b32 v3, v[3:4], off
	s_waitcnt vmcnt(0)
	v_sub_f32_e32 v3, v5, v3
	s_delay_alu instid0(VALU_DEP_1) | instskip(SKIP_2) | instid1(VALU_DEP_3)
	v_add_f32_e32 v0, v0, v3
	v_mad_u64_u32 v[3:4], null, s14, 25, v[2:3]
	v_mov_b32_e32 v4, v1
	v_add_f32_e32 v0, v7, v0
	s_delay_alu instid0(VALU_DEP_2) | instskip(NEXT) | instid1(VALU_DEP_1)
	v_lshlrev_b64 v[5:6], 2, v[3:4]
	v_add_co_u32 v7, vcc_lo, s4, v5
	s_delay_alu instid0(VALU_DEP_2)
	v_add_co_ci_u32_e32 v8, vcc_lo, s5, v6, vcc_lo
	v_add_co_u32 v5, vcc_lo, s6, v5
	v_add_co_ci_u32_e32 v6, vcc_lo, s7, v6, vcc_lo
	global_load_b32 v2, v[7:8], off
	global_load_b32 v5, v[5:6], off
	s_waitcnt vmcnt(0)
	v_sub_f32_e32 v2, v2, v5
	v_mad_u64_u32 v[5:6], null, 0xffffff66, s14, v[3:4]
	v_mov_b32_e32 v6, v1
	s_delay_alu instid0(VALU_DEP_3) | instskip(NEXT) | instid1(VALU_DEP_2)
	v_add_f32_e32 v0, v0, v2
	v_lshlrev_b64 v[1:2], 2, v[5:6]
	s_delay_alu instid0(VALU_DEP_2) | instskip(NEXT) | instid1(VALU_DEP_2)
	v_mul_f32_e32 v0, s16, v0
	v_add_co_u32 v1, vcc_lo, s8, v1
	s_delay_alu instid0(VALU_DEP_2) | instskip(NEXT) | instid1(VALU_DEP_4)
	v_mul_f32_e32 v0, s12, v0
	v_add_co_ci_u32_e32 v2, vcc_lo, s9, v2, vcc_lo
	global_store_b32 v[1:2], v0, off
	s_nop 0
	s_sendmsg sendmsg(MSG_DEALLOC_VGPRS)
	s_endpgm
	.section	.rodata,"a",@progbits
	.p2align	6, 0x0
	.amdhsa_kernel _Z14rdwdot3_kernelIfEvPKT_S2_PS0_S0_S2_
		.amdhsa_group_segment_fixed_size 0
		.amdhsa_private_segment_fixed_size 0
		.amdhsa_kernarg_size 296
		.amdhsa_user_sgpr_count 15
		.amdhsa_user_sgpr_dispatch_ptr 0
		.amdhsa_user_sgpr_queue_ptr 0
		.amdhsa_user_sgpr_kernarg_segment_ptr 1
		.amdhsa_user_sgpr_dispatch_id 0
		.amdhsa_user_sgpr_private_segment_size 0
		.amdhsa_wavefront_size32 1
		.amdhsa_uses_dynamic_stack 0
		.amdhsa_enable_private_segment 0
		.amdhsa_system_sgpr_workgroup_id_x 1
		.amdhsa_system_sgpr_workgroup_id_y 0
		.amdhsa_system_sgpr_workgroup_id_z 0
		.amdhsa_system_sgpr_workgroup_info 0
		.amdhsa_system_vgpr_workitem_id 0
		.amdhsa_next_free_vgpr 15
		.amdhsa_next_free_sgpr 23
		.amdhsa_reserve_vcc 1
		.amdhsa_float_round_mode_32 0
		.amdhsa_float_round_mode_16_64 0
		.amdhsa_float_denorm_mode_32 3
		.amdhsa_float_denorm_mode_16_64 3
		.amdhsa_dx10_clamp 1
		.amdhsa_ieee_mode 1
		.amdhsa_fp16_overflow 0
		.amdhsa_workgroup_processor_mode 1
		.amdhsa_memory_ordered 1
		.amdhsa_forward_progress 0
		.amdhsa_shared_vgpr_count 0
		.amdhsa_exception_fp_ieee_invalid_op 0
		.amdhsa_exception_fp_denorm_src 0
		.amdhsa_exception_fp_ieee_div_zero 0
		.amdhsa_exception_fp_ieee_overflow 0
		.amdhsa_exception_fp_ieee_underflow 0
		.amdhsa_exception_fp_ieee_inexact 0
		.amdhsa_exception_int_div_zero 0
	.end_amdhsa_kernel
	.section	.text._Z14rdwdot3_kernelIfEvPKT_S2_PS0_S0_S2_,"axG",@progbits,_Z14rdwdot3_kernelIfEvPKT_S2_PS0_S0_S2_,comdat
.Lfunc_end21:
	.size	_Z14rdwdot3_kernelIfEvPKT_S2_PS0_S0_S2_, .Lfunc_end21-_Z14rdwdot3_kernelIfEvPKT_S2_PS0_S0_S2_
                                        ; -- End function
	.section	.AMDGPU.csdata,"",@progbits
; Kernel info:
; codeLenInByte = 8208
; NumSgprs: 25
; NumVgprs: 15
; ScratchSize: 0
; MemoryBound: 0
; FloatMode: 240
; IeeeMode: 1
; LDSByteSize: 0 bytes/workgroup (compile time only)
; SGPRBlocks: 3
; VGPRBlocks: 1
; NumSGPRsForWavesPerEU: 25
; NumVGPRsForWavesPerEU: 15
; Occupancy: 16
; WaveLimiterHint : 0
; COMPUTE_PGM_RSRC2:SCRATCH_EN: 0
; COMPUTE_PGM_RSRC2:USER_SGPR: 15
; COMPUTE_PGM_RSRC2:TRAP_HANDLER: 0
; COMPUTE_PGM_RSRC2:TGID_X_EN: 1
; COMPUTE_PGM_RSRC2:TGID_Y_EN: 0
; COMPUTE_PGM_RSRC2:TGID_Z_EN: 0
; COMPUTE_PGM_RSRC2:TIDIG_COMP_CNT: 0
	.section	.text._Z14rdwdot6_kernelIfEvPKT_S2_PS0_S0_S2_,"axG",@progbits,_Z14rdwdot6_kernelIfEvPKT_S2_PS0_S0_S2_,comdat
	.protected	_Z14rdwdot6_kernelIfEvPKT_S2_PS0_S0_S2_ ; -- Begin function _Z14rdwdot6_kernelIfEvPKT_S2_PS0_S0_S2_
	.globl	_Z14rdwdot6_kernelIfEvPKT_S2_PS0_S0_S2_
	.p2align	8
	.type	_Z14rdwdot6_kernelIfEvPKT_S2_PS0_S0_S2_,@function
_Z14rdwdot6_kernelIfEvPKT_S2_PS0_S0_S2_: ; @_Z14rdwdot6_kernelIfEvPKT_S2_PS0_S0_S2_
; %bb.0:
	s_clause 0x2
	s_load_b32 s2, s[0:1], 0x34
	s_load_b32 s8, s[0:1], 0x28
	s_load_b128 s[4:7], s[0:1], 0x0
	s_waitcnt lgkmcnt(0)
	s_and_b32 s2, s2, 0xffff
	s_delay_alu instid0(SALU_CYCLE_1)
	s_mul_i32 s8, s8, s2
	s_mul_i32 s15, s15, s2
	;; [unrolled: 1-line block ×4, first 2 shown]
	v_add3_u32 v0, s2, s15, v0
	s_load_b64 s[2:3], s[0:1], 0x10
	v_mov_b32_e32 v1, 0
	s_lshl_b32 s10, s8, 1
	s_lshl_b32 s11, s8, 2
	s_mul_i32 s12, s8, 7
	s_delay_alu instid0(VALU_DEP_1) | instskip(SKIP_1) | instid1(VALU_DEP_1)
	v_lshlrev_b64 v[2:3], 2, v[0:1]
	v_add_nc_u32_e32 v0, s8, v0
	v_lshlrev_b64 v[4:5], 2, v[0:1]
	s_delay_alu instid0(VALU_DEP_3) | instskip(NEXT) | instid1(VALU_DEP_4)
	v_add_co_u32 v6, vcc_lo, s4, v2
	v_add_co_ci_u32_e32 v7, vcc_lo, s5, v3, vcc_lo
	v_add_co_u32 v8, vcc_lo, s6, v2
	v_add_co_ci_u32_e32 v9, vcc_lo, s7, v3, vcc_lo
	global_load_b32 v2, v[6:7], off
	v_add_co_u32 v6, vcc_lo, s4, v4
	v_add_co_ci_u32_e32 v7, vcc_lo, s5, v5, vcc_lo
	v_add_co_u32 v12, vcc_lo, s6, v4
	v_add_co_ci_u32_e32 v13, vcc_lo, s7, v5, vcc_lo
	global_load_b32 v3, v[8:9], off
	global_load_b32 v4, v[6:7], off
	;; [unrolled: 1-line block ×3, first 2 shown]
	v_add_nc_u32_e32 v0, s8, v0
	s_waitcnt vmcnt(0)
	v_dual_sub_f32 v2, v2, v3 :: v_dual_sub_f32 v3, v4, v5
	s_delay_alu instid0(VALU_DEP_2) | instskip(NEXT) | instid1(VALU_DEP_2)
	v_lshlrev_b64 v[10:11], 2, v[0:1]
	v_sub_f32_e64 v4, -v2, v3
	v_add_f32_e32 v2, v2, v3
	s_delay_alu instid0(VALU_DEP_3) | instskip(NEXT) | instid1(VALU_DEP_4)
	v_add_co_u32 v6, vcc_lo, s4, v10
	v_add_co_ci_u32_e32 v7, vcc_lo, s5, v11, vcc_lo
	v_add_co_u32 v10, vcc_lo, s6, v10
	v_add_co_ci_u32_e32 v11, vcc_lo, s7, v11, vcc_lo
	global_load_b32 v6, v[6:7], off
	v_add_nc_u32_e32 v0, s8, v0
	s_delay_alu instid0(VALU_DEP_1) | instskip(SKIP_1) | instid1(VALU_DEP_1)
	v_lshlrev_b64 v[8:9], 2, v[0:1]
	v_add_nc_u32_e32 v0, s8, v0
	v_lshlrev_b64 v[12:13], 2, v[0:1]
	s_delay_alu instid0(VALU_DEP_3) | instskip(NEXT) | instid1(VALU_DEP_4)
	v_add_co_u32 v14, vcc_lo, s4, v8
	v_add_co_ci_u32_e32 v15, vcc_lo, s5, v9, vcc_lo
	v_add_co_u32 v16, vcc_lo, s6, v8
	v_add_co_ci_u32_e32 v17, vcc_lo, s7, v9, vcc_lo
	;; [unrolled: 2-line block ×3, first 2 shown]
	global_load_b32 v9, v[10:11], off
	global_load_b32 v7, v[14:15], off
	;; [unrolled: 1-line block ×4, first 2 shown]
	v_add_co_u32 v11, vcc_lo, s6, v12
	v_add_co_ci_u32_e32 v12, vcc_lo, s7, v13, vcc_lo
	s_waitcnt vmcnt(3)
	v_sub_f32_e32 v5, v6, v9
	s_waitcnt vmcnt(1)
	s_delay_alu instid0(VALU_DEP_1) | instskip(SKIP_1) | instid1(VALU_DEP_2)
	v_dual_sub_f32 v4, v4, v5 :: v_dual_sub_f32 v5, v7, v10
	v_add_nc_u32_e32 v0, s8, v0
	v_sub_f32_e32 v4, v4, v5
	s_delay_alu instid0(VALU_DEP_2) | instskip(SKIP_2) | instid1(VALU_DEP_3)
	v_lshlrev_b64 v[14:15], 2, v[0:1]
	v_add_nc_u32_e32 v0, s9, v0
	v_add_f32_e32 v2, v2, v5
	v_add_co_u32 v16, vcc_lo, s4, v14
	s_delay_alu instid0(VALU_DEP_3)
	v_lshlrev_b64 v[18:19], 2, v[0:1]
	v_add_co_ci_u32_e32 v17, vcc_lo, s5, v15, vcc_lo
	v_add_co_u32 v14, vcc_lo, s6, v14
	v_add_co_ci_u32_e32 v15, vcc_lo, s7, v15, vcc_lo
	v_add_nc_u32_e32 v0, s8, v0
	v_add_co_u32 v20, vcc_lo, s4, v18
	v_add_co_ci_u32_e32 v21, vcc_lo, s5, v19, vcc_lo
	global_load_b32 v13, v[11:12], off
	global_load_b32 v11, v[16:17], off
	global_load_b32 v14, v[14:15], off
	global_load_b32 v12, v[20:21], off
	v_lshlrev_b64 v[15:16], 2, v[0:1]
	v_add_nc_u32_e32 v0, s10, v0
	v_add_co_u32 v17, vcc_lo, s6, v18
	v_add_co_ci_u32_e32 v18, vcc_lo, s7, v19, vcc_lo
	s_delay_alu instid0(VALU_DEP_4) | instskip(NEXT) | instid1(VALU_DEP_4)
	v_add_co_u32 v19, vcc_lo, s4, v15
	v_lshlrev_b64 v[21:22], 2, v[0:1]
	v_add_co_ci_u32_e32 v20, vcc_lo, s5, v16, vcc_lo
	v_add_co_u32 v23, vcc_lo, s6, v15
	v_add_co_ci_u32_e32 v24, vcc_lo, s7, v16, vcc_lo
	v_add_nc_u32_e32 v0, s8, v0
	v_add_co_u32 v25, vcc_lo, s4, v21
	v_add_co_ci_u32_e32 v26, vcc_lo, s5, v22, vcc_lo
	global_load_b32 v17, v[17:18], off
	global_load_b32 v15, v[19:20], off
	global_load_b32 v18, v[23:24], off
	global_load_b32 v16, v[25:26], off
	v_lshlrev_b64 v[19:20], 2, v[0:1]
	v_add_nc_u32_e32 v0, s10, v0
	v_add_co_u32 v21, vcc_lo, s6, v21
	v_add_co_ci_u32_e32 v22, vcc_lo, s7, v22, vcc_lo
	s_delay_alu instid0(VALU_DEP_4) | instskip(NEXT) | instid1(VALU_DEP_4)
	v_add_co_u32 v23, vcc_lo, s4, v19
	;; [unrolled: 17-line block ×3, first 2 shown]
	v_lshlrev_b64 v[29:30], 2, v[0:1]
	v_add_co_ci_u32_e32 v28, vcc_lo, s5, v24, vcc_lo
	v_mad_u64_u32 v[33:34], null, s8, 9, v[0:1]
	v_add_co_u32 v31, vcc_lo, s6, v23
	v_add_co_ci_u32_e32 v32, vcc_lo, s7, v24, vcc_lo
	v_mov_b32_e32 v34, v1
	v_add_co_u32 v35, vcc_lo, s4, v29
	v_add_co_ci_u32_e32 v36, vcc_lo, s5, v30, vcc_lo
	global_load_b32 v25, v[25:26], off
	global_load_b32 v23, v[27:28], off
	;; [unrolled: 1-line block ×4, first 2 shown]
	v_lshlrev_b64 v[27:28], 2, v[33:34]
	v_add_nc_u32_e32 v0, s9, v33
	v_add_co_u32 v29, vcc_lo, s6, v29
	v_add_co_ci_u32_e32 v30, vcc_lo, s7, v30, vcc_lo
	s_delay_alu instid0(VALU_DEP_4) | instskip(NEXT) | instid1(VALU_DEP_4)
	v_add_co_u32 v31, vcc_lo, s4, v27
	v_lshlrev_b64 v[33:34], 2, v[0:1]
	v_add_co_ci_u32_e32 v32, vcc_lo, s5, v28, vcc_lo
	v_add_co_u32 v35, vcc_lo, s6, v27
	v_add_co_ci_u32_e32 v36, vcc_lo, s7, v28, vcc_lo
	v_add_nc_u32_e32 v0, s11, v0
	v_add_co_u32 v37, vcc_lo, s4, v33
	v_add_co_ci_u32_e32 v38, vcc_lo, s5, v34, vcc_lo
	global_load_b32 v29, v[29:30], off
	global_load_b32 v27, v[31:32], off
	;; [unrolled: 1-line block ×4, first 2 shown]
	v_lshlrev_b64 v[31:32], 2, v[0:1]
	v_add_nc_u32_e32 v0, s8, v0
	v_add_co_u32 v33, vcc_lo, s6, v33
	v_add_co_ci_u32_e32 v34, vcc_lo, s7, v34, vcc_lo
	s_delay_alu instid0(VALU_DEP_4) | instskip(NEXT) | instid1(VALU_DEP_4)
	v_add_co_u32 v35, vcc_lo, s4, v31
	v_lshlrev_b64 v[37:38], 2, v[0:1]
	v_add_co_ci_u32_e32 v36, vcc_lo, s5, v32, vcc_lo
	v_add_co_u32 v39, vcc_lo, s6, v31
	v_add_co_ci_u32_e32 v40, vcc_lo, s7, v32, vcc_lo
	v_add_nc_u32_e32 v0, s11, v0
	v_add_co_u32 v41, vcc_lo, s4, v37
	v_add_co_ci_u32_e32 v42, vcc_lo, s5, v38, vcc_lo
	global_load_b32 v33, v[33:34], off
	global_load_b32 v31, v[35:36], off
	;; [unrolled: 1-line block ×4, first 2 shown]
	v_mad_u64_u32 v[39:40], null, s8, 18, v[0:1]
	v_lshlrev_b64 v[35:36], 2, v[0:1]
	v_mov_b32_e32 v40, v1
	v_add_co_u32 v37, vcc_lo, s6, v37
	v_add_co_ci_u32_e32 v38, vcc_lo, s7, v38, vcc_lo
	s_delay_alu instid0(VALU_DEP_4) | instskip(NEXT) | instid1(VALU_DEP_4)
	v_add_co_u32 v41, vcc_lo, s4, v35
	v_lshlrev_b64 v[43:44], 2, v[39:40]
	v_add_co_ci_u32_e32 v42, vcc_lo, s5, v36, vcc_lo
	v_add_co_u32 v45, vcc_lo, s6, v35
	v_add_co_ci_u32_e32 v46, vcc_lo, s7, v36, vcc_lo
	v_add_nc_u32_e32 v0, s12, v39
	v_add_co_u32 v47, vcc_lo, s4, v43
	v_add_co_ci_u32_e32 v48, vcc_lo, s5, v44, vcc_lo
	global_load_b32 v37, v[37:38], off
	global_load_b32 v35, v[41:42], off
	;; [unrolled: 1-line block ×4, first 2 shown]
	v_mad_u64_u32 v[41:42], null, s8, 13, v[0:1]
	v_lshlrev_b64 v[39:40], 2, v[0:1]
	v_mov_b32_e32 v42, v1
	v_add_co_u32 v43, vcc_lo, s6, v43
	v_add_co_ci_u32_e32 v44, vcc_lo, s7, v44, vcc_lo
	s_delay_alu instid0(VALU_DEP_4) | instskip(NEXT) | instid1(VALU_DEP_4)
	v_add_co_u32 v45, vcc_lo, s4, v39
	v_lshlrev_b64 v[47:48], 2, v[41:42]
	v_add_co_ci_u32_e32 v46, vcc_lo, s5, v40, vcc_lo
	v_add_co_u32 v49, vcc_lo, s6, v39
	v_add_co_ci_u32_e32 v50, vcc_lo, s7, v40, vcc_lo
	v_add_nc_u32_e32 v0, s8, v41
	v_add_co_u32 v51, vcc_lo, s4, v47
	v_add_co_ci_u32_e32 v52, vcc_lo, s5, v48, vcc_lo
	global_load_b32 v41, v[43:44], off
	global_load_b32 v39, v[45:46], off
	global_load_b32 v42, v[49:50], off
	global_load_b32 v40, v[51:52], off
	v_lshlrev_b64 v[43:44], 2, v[0:1]
	v_add_nc_u32_e32 v0, s8, v0
	v_add_co_u32 v45, vcc_lo, s6, v47
	v_add_co_ci_u32_e32 v46, vcc_lo, s7, v48, vcc_lo
	s_delay_alu instid0(VALU_DEP_4) | instskip(NEXT) | instid1(VALU_DEP_4)
	v_add_co_u32 v47, vcc_lo, s4, v43
	v_lshlrev_b64 v[49:50], 2, v[0:1]
	v_add_co_ci_u32_e32 v48, vcc_lo, s5, v44, vcc_lo
	v_add_co_u32 v51, vcc_lo, s6, v43
	v_add_co_ci_u32_e32 v52, vcc_lo, s7, v44, vcc_lo
	v_add_nc_u32_e32 v0, s8, v0
	v_add_co_u32 v53, vcc_lo, s4, v49
	v_add_co_ci_u32_e32 v54, vcc_lo, s5, v50, vcc_lo
	global_load_b32 v45, v[45:46], off
	global_load_b32 v44, v[47:48], off
	global_load_b32 v46, v[51:52], off
	global_load_b32 v43, v[53:54], off
	v_lshlrev_b64 v[47:48], 2, v[0:1]
	v_add_nc_u32_e32 v0, s8, v0
	;; [unrolled: 17-line block ×4, first 2 shown]
	v_add_co_u32 v57, vcc_lo, s6, v57
	v_add_co_ci_u32_e32 v58, vcc_lo, s7, v58, vcc_lo
	s_delay_alu instid0(VALU_DEP_4) | instskip(NEXT) | instid1(VALU_DEP_4)
	v_add_co_u32 v59, vcc_lo, s4, v55
	v_lshlrev_b64 v[61:62], 2, v[0:1]
	v_add_co_ci_u32_e32 v60, vcc_lo, s5, v56, vcc_lo
	v_mad_u64_u32 v[63:64], null, s8, 3, v[0:1]
	v_add_co_u32 v55, vcc_lo, s6, v55
	v_add_co_ci_u32_e32 v56, vcc_lo, s7, v56, vcc_lo
	v_mov_b32_e32 v64, v1
	v_add_co_u32 v65, vcc_lo, s4, v61
	v_add_co_ci_u32_e32 v66, vcc_lo, s5, v62, vcc_lo
	global_load_b32 v69, v[57:58], off
	global_load_b32 v70, v[59:60], off
	;; [unrolled: 1-line block ×4, first 2 shown]
	v_lshlrev_b64 v[55:56], 2, v[63:64]
	v_add_nc_u32_e32 v0, s9, v63
	v_add_co_u32 v57, vcc_lo, s6, v61
	v_add_co_ci_u32_e32 v58, vcc_lo, s7, v62, vcc_lo
	s_delay_alu instid0(VALU_DEP_4) | instskip(NEXT) | instid1(VALU_DEP_4)
	v_add_co_u32 v59, vcc_lo, s4, v55
	v_lshlrev_b64 v[61:62], 2, v[0:1]
	v_add_co_ci_u32_e32 v60, vcc_lo, s5, v56, vcc_lo
	v_add_co_u32 v55, vcc_lo, s6, v55
	s_lshl_b32 s10, s8, 3
	v_add_co_ci_u32_e32 v56, vcc_lo, s7, v56, vcc_lo
	v_add_nc_u32_e32 v0, s10, v0
	v_add_co_u32 v63, vcc_lo, s4, v61
	v_add_co_ci_u32_e32 v64, vcc_lo, s5, v62, vcc_lo
	global_load_b32 v73, v[57:58], off
	global_load_b32 v74, v[59:60], off
	;; [unrolled: 1-line block ×4, first 2 shown]
	v_lshlrev_b64 v[55:56], 2, v[0:1]
	v_add_nc_u32_e32 v0, s12, v0
	v_add_co_u32 v57, vcc_lo, s6, v61
	v_add_co_ci_u32_e32 v58, vcc_lo, s7, v62, vcc_lo
	s_delay_alu instid0(VALU_DEP_4) | instskip(NEXT) | instid1(VALU_DEP_4)
	v_add_co_u32 v59, vcc_lo, s4, v55
	v_lshlrev_b64 v[61:62], 2, v[0:1]
	v_add_co_ci_u32_e32 v60, vcc_lo, s5, v56, vcc_lo
	v_add_co_u32 v55, vcc_lo, s6, v55
	v_add_co_ci_u32_e32 v56, vcc_lo, s7, v56, vcc_lo
	v_add_nc_u32_e32 v0, s11, v0
	v_add_co_u32 v63, vcc_lo, s4, v61
	v_add_co_ci_u32_e32 v64, vcc_lo, s5, v62, vcc_lo
	global_load_b32 v77, v[57:58], off
	global_load_b32 v78, v[59:60], off
	;; [unrolled: 1-line block ×4, first 2 shown]
	v_lshlrev_b64 v[55:56], 2, v[0:1]
	v_add_co_u32 v57, vcc_lo, s6, v61
	v_add_co_ci_u32_e32 v58, vcc_lo, s7, v62, vcc_lo
	v_add_nc_u32_e32 v0, s12, v0
	s_delay_alu instid0(VALU_DEP_4)
	v_add_co_u32 v59, vcc_lo, s4, v55
	v_add_co_ci_u32_e32 v60, vcc_lo, s5, v56, vcc_lo
	v_add_co_u32 v55, vcc_lo, s6, v55
	v_add_co_ci_u32_e32 v56, vcc_lo, s7, v56, vcc_lo
	global_load_b32 v81, v[57:58], off
	s_mul_i32 s11, s8, 10
	global_load_b32 v82, v[59:60], off
	global_load_b32 v83, v[55:56], off
	v_lshlrev_b64 v[57:58], 2, v[0:1]
	v_add_nc_u32_e32 v0, s11, v0
	s_delay_alu instid0(VALU_DEP_2) | instskip(NEXT) | instid1(VALU_DEP_3)
	v_add_co_u32 v55, vcc_lo, s4, v57
	v_add_co_ci_u32_e32 v56, vcc_lo, s5, v58, vcc_lo
	v_add_co_u32 v57, vcc_lo, s6, v57
	v_add_co_ci_u32_e32 v58, vcc_lo, s7, v58, vcc_lo
	global_load_b32 v84, v[55:56], off
	v_lshlrev_b64 v[59:60], 2, v[0:1]
	s_waitcnt vmcnt(59)
	v_sub_f32_e32 v6, v8, v13
	v_mad_u64_u32 v[61:62], null, s8, 15, v[0:1]
	s_waitcnt vmcnt(57)
	v_sub_f32_e32 v7, v11, v14
	v_add_co_u32 v63, vcc_lo, s4, v59
	v_add_co_ci_u32_e32 v64, vcc_lo, s5, v60, vcc_lo
	global_load_b32 v85, v[57:58], off
	global_load_b32 v86, v[63:64], off
	v_sub_f32_e32 v4, v4, v6
	v_add_co_u32 v59, vcc_lo, s6, v59
	v_add_co_ci_u32_e32 v60, vcc_lo, s7, v60, vcc_lo
	s_delay_alu instid0(VALU_DEP_3) | instskip(SKIP_4) | instid1(VALU_DEP_1)
	v_add_f32_e32 v4, v4, v7
	v_add_nc_u32_e32 v0, s11, v61
	s_waitcnt vmcnt(57)
	v_dual_add_f32 v2, v2, v6 :: v_dual_sub_f32 v7, v12, v17
	s_waitcnt vmcnt(55)
	v_dual_sub_f32 v4, v4, v7 :: v_dual_sub_f32 v7, v15, v18
	s_delay_alu instid0(VALU_DEP_1) | instskip(NEXT) | instid1(VALU_DEP_3)
	v_add_f32_e32 v4, v4, v7
	v_sub_f32_e32 v2, v2, v7
	s_waitcnt vmcnt(53)
	v_sub_f32_e32 v8, v16, v21
	s_delay_alu instid0(VALU_DEP_1) | instskip(SKIP_2) | instid1(VALU_DEP_1)
	v_add_f32_e32 v4, v4, v8
	s_waitcnt vmcnt(51)
	v_sub_f32_e32 v8, v19, v22
	v_add_f32_e32 v4, v4, v8
	s_waitcnt vmcnt(49)
	v_sub_f32_e32 v8, v20, v25
	s_delay_alu instid0(VALU_DEP_1) | instskip(SKIP_2) | instid1(VALU_DEP_1)
	v_add_f32_e32 v4, v4, v8
	s_waitcnt vmcnt(47)
	v_sub_f32_e32 v8, v23, v26
	v_add_f32_e32 v4, v4, v8
	s_waitcnt vmcnt(45)
	v_sub_f32_e32 v8, v24, v29
	s_delay_alu instid0(VALU_DEP_1) | instskip(SKIP_2) | instid1(VALU_DEP_1)
	v_add_f32_e32 v4, v4, v8
	s_waitcnt vmcnt(43)
	v_sub_f32_e32 v8, v27, v30
	v_sub_f32_e32 v4, v4, v8
	s_waitcnt vmcnt(41)
	v_sub_f32_e32 v8, v28, v33
	s_delay_alu instid0(VALU_DEP_1) | instskip(SKIP_2) | instid1(VALU_DEP_1)
	v_add_f32_e32 v4, v4, v8
	s_waitcnt vmcnt(39)
	v_sub_f32_e32 v8, v31, v34
	v_add_f32_e32 v4, v4, v8
	s_waitcnt vmcnt(37)
	v_sub_f32_e32 v8, v32, v37
	s_delay_alu instid0(VALU_DEP_1) | instskip(SKIP_2) | instid1(VALU_DEP_1)
	v_add_f32_e32 v4, v4, v8
	s_waitcnt vmcnt(35)
	v_sub_f32_e32 v8, v35, v38
	v_add_f32_e32 v4, v4, v8
	s_waitcnt vmcnt(33)
	v_sub_f32_e32 v9, v36, v41
	s_waitcnt vmcnt(31)
	s_delay_alu instid0(VALU_DEP_1) | instskip(NEXT) | instid1(VALU_DEP_1)
	v_dual_add_f32 v4, v4, v9 :: v_dual_sub_f32 v9, v39, v42
	v_add_f32_e32 v4, v4, v9
	s_waitcnt vmcnt(29)
	v_sub_f32_e32 v9, v40, v45
	s_delay_alu instid0(VALU_DEP_1) | instskip(SKIP_2) | instid1(VALU_DEP_1)
	v_add_f32_e32 v4, v4, v9
	s_waitcnt vmcnt(27)
	v_sub_f32_e32 v9, v44, v46
	v_add_f32_e32 v4, v4, v9
	s_waitcnt vmcnt(25)
	s_delay_alu instid0(VALU_DEP_1) | instskip(NEXT) | instid1(VALU_DEP_1)
	v_dual_add_f32 v4, v9, v4 :: v_dual_sub_f32 v9, v43, v50
	v_add_f32_e32 v4, v4, v9
	s_waitcnt vmcnt(23)
	s_delay_alu instid0(VALU_DEP_1) | instskip(NEXT) | instid1(VALU_DEP_1)
	v_dual_add_f32 v4, v9, v4 :: v_dual_sub_f32 v9, v47, v49
	v_add_f32_e32 v4, v4, v9
	s_waitcnt vmcnt(21)
	v_sub_f32_e32 v9, v48, v53
	s_delay_alu instid0(VALU_DEP_1) | instskip(SKIP_2) | instid1(VALU_DEP_1)
	v_add_f32_e32 v4, v4, v9
	s_waitcnt vmcnt(19)
	v_sub_f32_e32 v9, v52, v54
	v_add_f32_e32 v4, v4, v9
	s_waitcnt vmcnt(17)
	s_delay_alu instid0(VALU_DEP_1) | instskip(SKIP_1) | instid1(VALU_DEP_1)
	v_dual_add_f32 v4, v9, v4 :: v_dual_sub_f32 v9, v51, v69
	s_waitcnt vmcnt(15)
	v_dual_add_f32 v4, v4, v9 :: v_dual_sub_f32 v9, v70, v71
	s_delay_alu instid0(VALU_DEP_1) | instskip(SKIP_3) | instid1(VALU_DEP_1)
	v_add_f32_e32 v4, v4, v9
	s_waitcnt vmcnt(13)
	v_sub_f32_e32 v9, v72, v73
	s_waitcnt vmcnt(11)
	v_dual_add_f32 v4, v4, v9 :: v_dual_sub_f32 v9, v74, v75
	s_delay_alu instid0(VALU_DEP_1) | instskip(SKIP_3) | instid1(VALU_DEP_1)
	v_add_f32_e32 v4, v4, v9
	s_waitcnt vmcnt(9)
	v_sub_f32_e32 v9, v76, v77
	s_waitcnt vmcnt(7)
	v_dual_add_f32 v4, v4, v9 :: v_dual_sub_f32 v9, v78, v79
	s_delay_alu instid0(VALU_DEP_1) | instskip(SKIP_2) | instid1(VALU_DEP_1)
	v_add_f32_e32 v4, v4, v9
	s_waitcnt vmcnt(5)
	v_sub_f32_e32 v3, v80, v81
	v_add_f32_e32 v3, v4, v3
	s_waitcnt vmcnt(3)
	v_sub_f32_e32 v4, v82, v83
	s_waitcnt vmcnt(1)
	s_delay_alu instid0(VALU_DEP_1) | instskip(NEXT) | instid1(VALU_DEP_1)
	v_dual_add_f32 v3, v3, v4 :: v_dual_sub_f32 v4, v84, v85
	v_dual_add_f32 v3, v3, v4 :: v_dual_mov_b32 v62, v1
	s_delay_alu instid0(VALU_DEP_1) | instskip(NEXT) | instid1(VALU_DEP_1)
	v_lshlrev_b64 v[55:56], 2, v[61:62]
	v_add_co_u32 v61, vcc_lo, s4, v55
	s_delay_alu instid0(VALU_DEP_2)
	v_add_co_ci_u32_e32 v62, vcc_lo, s5, v56, vcc_lo
	v_add_co_u32 v55, vcc_lo, s6, v55
	v_add_co_ci_u32_e32 v56, vcc_lo, s7, v56, vcc_lo
	global_load_b32 v87, v[59:60], off
	global_load_b32 v88, v[61:62], off
	;; [unrolled: 1-line block ×3, first 2 shown]
	s_waitcnt vmcnt(2)
	v_sub_f32_e32 v4, v86, v87
	s_waitcnt vmcnt(0)
	s_delay_alu instid0(VALU_DEP_1) | instskip(NEXT) | instid1(VALU_DEP_1)
	v_dual_add_f32 v3, v3, v4 :: v_dual_sub_f32 v4, v88, v89
	v_add_f32_e32 v3, v3, v4
	v_mad_u64_u32 v[57:58], null, 0xffffff4e, s8, v[0:1]
	v_mov_b32_e32 v58, v1
	v_lshlrev_b64 v[65:66], 2, v[0:1]
	s_delay_alu instid0(VALU_DEP_2) | instskip(SKIP_1) | instid1(VALU_DEP_3)
	v_mad_u64_u32 v[63:64], null, s8, 33, v[57:58]
	v_mov_b32_e32 v64, v1
	v_add_co_u32 v59, vcc_lo, s4, v65
	s_delay_alu instid0(VALU_DEP_4) | instskip(NEXT) | instid1(VALU_DEP_3)
	v_add_co_ci_u32_e32 v60, vcc_lo, s5, v66, vcc_lo
	v_lshlrev_b64 v[55:56], 2, v[63:64]
	v_add_nc_u32_e32 v0, s10, v63
	s_delay_alu instid0(VALU_DEP_2) | instskip(NEXT) | instid1(VALU_DEP_3)
	v_add_co_u32 v61, vcc_lo, s4, v55
	v_add_co_ci_u32_e32 v62, vcc_lo, s5, v56, vcc_lo
	v_add_co_u32 v55, vcc_lo, s6, v55
	v_add_co_ci_u32_e32 v56, vcc_lo, s7, v56, vcc_lo
	;; [unrolled: 2-line block ×3, first 2 shown]
	v_lshlrev_b64 v[65:66], 2, v[0:1]
	global_load_b32 v90, v[61:62], off
	global_load_b32 v91, v[55:56], off
	v_mad_u64_u32 v[55:56], null, 0x49, s8, v[0:1]
	v_mov_b32_e32 v56, v1
	v_add_co_u32 v61, vcc_lo, s4, v65
	v_add_co_ci_u32_e32 v62, vcc_lo, s5, v66, vcc_lo
	v_add_co_u32 v65, vcc_lo, s6, v65
	s_delay_alu instid0(VALU_DEP_4)
	v_lshlrev_b64 v[67:68], 2, v[55:56]
	v_add_co_ci_u32_e32 v66, vcc_lo, s7, v66, vcc_lo
	v_add_nc_u32_e32 v0, s9, v55
	global_load_b32 v92, v[61:62], off
	global_load_b32 v93, v[65:66], off
	v_add_co_u32 v61, vcc_lo, s4, v67
	v_lshlrev_b64 v[65:66], 2, v[0:1]
	v_add_co_ci_u32_e32 v62, vcc_lo, s5, v68, vcc_lo
	v_add_co_u32 v55, vcc_lo, s6, v67
	v_add_co_ci_u32_e32 v56, vcc_lo, s7, v68, vcc_lo
	global_load_b32 v67, v[59:60], off
	global_load_b32 v63, v[63:64], off
	;; [unrolled: 1-line block ×4, first 2 shown]
	v_add_co_u32 v55, vcc_lo, s4, v65
	v_add_co_ci_u32_e32 v56, vcc_lo, s5, v66, vcc_lo
	v_add_co_u32 v59, vcc_lo, s6, v65
	v_add_co_ci_u32_e32 v60, vcc_lo, s7, v66, vcc_lo
	global_load_b32 v55, v[55:56], off
	global_load_b32 v56, v[59:60], off
	s_clause 0x1
	s_load_b64 s[4:5], s[0:1], 0x20
	s_load_b32 s6, s[0:1], 0x18
	s_waitcnt lgkmcnt(0)
	s_load_b64 s[0:1], s[4:5], 0x28
	s_waitcnt vmcnt(8)
	v_sub_f32_e32 v5, v90, v91
	s_delay_alu instid0(VALU_DEP_1) | instskip(SKIP_2) | instid1(VALU_DEP_1)
	v_add_f32_e32 v2, v2, v5
	s_waitcnt vmcnt(6)
	v_sub_f32_e32 v5, v92, v93
	v_add_f32_e32 v2, v2, v5
	s_waitcnt vmcnt(4)
	v_sub_f32_e32 v4, v67, v63
	s_waitcnt vmcnt(2)
	s_delay_alu instid0(VALU_DEP_2) | instskip(NEXT) | instid1(VALU_DEP_1)
	v_dual_sub_f32 v2, v2, v8 :: v_dual_sub_f32 v5, v61, v62
	v_dual_add_f32 v4, v3, v4 :: v_dual_add_f32 v5, v2, v5
	v_mad_u64_u32 v[2:3], null, 0xffffff8a, s8, v[0:1]
	v_mov_b32_e32 v3, v1
	v_lshlrev_b64 v[0:1], 2, v[57:58]
	s_waitcnt vmcnt(0)
	v_sub_f32_e32 v6, v55, v56
	v_mul_f32_e32 v4, s6, v4
	v_lshlrev_b64 v[2:3], 2, v[2:3]
	s_delay_alu instid0(VALU_DEP_3) | instskip(SKIP_2) | instid1(VALU_DEP_3)
	v_add_f32_e32 v5, v5, v6
	v_add_co_u32 v0, vcc_lo, s2, v0
	v_add_co_ci_u32_e32 v1, vcc_lo, s3, v1, vcc_lo
	v_mul_f32_e32 v5, s6, v5
	v_add_co_u32 v2, vcc_lo, s2, v2
	s_waitcnt lgkmcnt(0)
	v_mul_f32_e32 v4, s0, v4
	v_add_co_ci_u32_e32 v3, vcc_lo, s3, v3, vcc_lo
	v_mul_f32_e32 v5, s1, v5
	s_clause 0x1
	global_store_b32 v[0:1], v4, off
	global_store_b32 v[2:3], v5, off
	s_nop 0
	s_sendmsg sendmsg(MSG_DEALLOC_VGPRS)
	s_endpgm
	.section	.rodata,"a",@progbits
	.p2align	6, 0x0
	.amdhsa_kernel _Z14rdwdot6_kernelIfEvPKT_S2_PS0_S0_S2_
		.amdhsa_group_segment_fixed_size 0
		.amdhsa_private_segment_fixed_size 0
		.amdhsa_kernarg_size 296
		.amdhsa_user_sgpr_count 15
		.amdhsa_user_sgpr_dispatch_ptr 0
		.amdhsa_user_sgpr_queue_ptr 0
		.amdhsa_user_sgpr_kernarg_segment_ptr 1
		.amdhsa_user_sgpr_dispatch_id 0
		.amdhsa_user_sgpr_private_segment_size 0
		.amdhsa_wavefront_size32 1
		.amdhsa_uses_dynamic_stack 0
		.amdhsa_enable_private_segment 0
		.amdhsa_system_sgpr_workgroup_id_x 1
		.amdhsa_system_sgpr_workgroup_id_y 0
		.amdhsa_system_sgpr_workgroup_id_z 0
		.amdhsa_system_sgpr_workgroup_info 0
		.amdhsa_system_vgpr_workitem_id 0
		.amdhsa_next_free_vgpr 94
		.amdhsa_next_free_sgpr 16
		.amdhsa_reserve_vcc 1
		.amdhsa_float_round_mode_32 0
		.amdhsa_float_round_mode_16_64 0
		.amdhsa_float_denorm_mode_32 3
		.amdhsa_float_denorm_mode_16_64 3
		.amdhsa_dx10_clamp 1
		.amdhsa_ieee_mode 1
		.amdhsa_fp16_overflow 0
		.amdhsa_workgroup_processor_mode 1
		.amdhsa_memory_ordered 1
		.amdhsa_forward_progress 0
		.amdhsa_shared_vgpr_count 0
		.amdhsa_exception_fp_ieee_invalid_op 0
		.amdhsa_exception_fp_denorm_src 0
		.amdhsa_exception_fp_ieee_div_zero 0
		.amdhsa_exception_fp_ieee_overflow 0
		.amdhsa_exception_fp_ieee_underflow 0
		.amdhsa_exception_fp_ieee_inexact 0
		.amdhsa_exception_int_div_zero 0
	.end_amdhsa_kernel
	.section	.text._Z14rdwdot6_kernelIfEvPKT_S2_PS0_S0_S2_,"axG",@progbits,_Z14rdwdot6_kernelIfEvPKT_S2_PS0_S0_S2_,comdat
.Lfunc_end22:
	.size	_Z14rdwdot6_kernelIfEvPKT_S2_PS0_S0_S2_, .Lfunc_end22-_Z14rdwdot6_kernelIfEvPKT_S2_PS0_S0_S2_
                                        ; -- End function
	.section	.AMDGPU.csdata,"",@progbits
; Kernel info:
; codeLenInByte = 3232
; NumSgprs: 18
; NumVgprs: 94
; ScratchSize: 0
; MemoryBound: 0
; FloatMode: 240
; IeeeMode: 1
; LDSByteSize: 0 bytes/workgroup (compile time only)
; SGPRBlocks: 2
; VGPRBlocks: 11
; NumSGPRsForWavesPerEU: 18
; NumVGPRsForWavesPerEU: 94
; Occupancy: 16
; WaveLimiterHint : 0
; COMPUTE_PGM_RSRC2:SCRATCH_EN: 0
; COMPUTE_PGM_RSRC2:USER_SGPR: 15
; COMPUTE_PGM_RSRC2:TRAP_HANDLER: 0
; COMPUTE_PGM_RSRC2:TGID_X_EN: 1
; COMPUTE_PGM_RSRC2:TGID_Y_EN: 0
; COMPUTE_PGM_RSRC2:TGID_Z_EN: 0
; COMPUTE_PGM_RSRC2:TIDIG_COMP_CNT: 0
	.section	.text._Z14rdwdot7_kernelIfEvPKT_S2_PS0_S0_S2_,"axG",@progbits,_Z14rdwdot7_kernelIfEvPKT_S2_PS0_S0_S2_,comdat
	.protected	_Z14rdwdot7_kernelIfEvPKT_S2_PS0_S0_S2_ ; -- Begin function _Z14rdwdot7_kernelIfEvPKT_S2_PS0_S0_S2_
	.globl	_Z14rdwdot7_kernelIfEvPKT_S2_PS0_S0_S2_
	.p2align	8
	.type	_Z14rdwdot7_kernelIfEvPKT_S2_PS0_S0_S2_,@function
_Z14rdwdot7_kernelIfEvPKT_S2_PS0_S0_S2_: ; @_Z14rdwdot7_kernelIfEvPKT_S2_PS0_S0_S2_
; %bb.0:
	s_clause 0x5
	s_load_b128 s[4:7], s[0:1], 0x0
	s_load_b64 s[2:3], s[0:1], 0x10
	s_load_b32 s10, s[0:1], 0x18
	s_load_b64 s[8:9], s[0:1], 0x20
	s_load_b32 s11, s[0:1], 0x28
	s_load_b32 s0, s[0:1], 0x34
	v_mov_b32_e32 v1, 0
	s_waitcnt lgkmcnt(0)
	s_and_b32 s0, s0, 0xffff
	s_delay_alu instid0(SALU_CYCLE_1)
	s_mul_i32 s11, s11, s0
	s_mul_i32 s15, s15, s0
	;; [unrolled: 1-line block ×3, first 2 shown]
	s_lshl_b32 s0, s11, 1
	v_add3_u32 v0, s1, s15, v0
	s_mul_i32 s1, s11, 5
	s_mul_i32 s12, s11, 7
	s_lshl_b32 s13, s11, 3
	s_delay_alu instid0(VALU_DEP_1) | instskip(NEXT) | instid1(VALU_DEP_1)
	v_lshlrev_b64 v[2:3], 2, v[0:1]
	v_add_co_u32 v4, vcc_lo, s4, v2
	s_delay_alu instid0(VALU_DEP_2)
	v_add_co_ci_u32_e32 v5, vcc_lo, s5, v3, vcc_lo
	v_add_co_u32 v2, vcc_lo, s6, v2
	v_add_co_ci_u32_e32 v3, vcc_lo, s7, v3, vcc_lo
	global_load_b32 v4, v[4:5], off
	global_load_b32 v2, v[2:3], off
	s_waitcnt vmcnt(0)
	v_sub_f32_e32 v6, v4, v2
	v_add_nc_u32_e32 v0, s11, v0
	s_delay_alu instid0(VALU_DEP_1) | instskip(NEXT) | instid1(VALU_DEP_1)
	v_lshlrev_b64 v[2:3], 2, v[0:1]
	v_add_co_u32 v4, vcc_lo, s4, v2
	s_delay_alu instid0(VALU_DEP_2)
	v_add_co_ci_u32_e32 v5, vcc_lo, s5, v3, vcc_lo
	v_add_co_u32 v2, vcc_lo, s6, v2
	v_add_co_ci_u32_e32 v3, vcc_lo, s7, v3, vcc_lo
	global_load_b32 v4, v[4:5], off
	global_load_b32 v2, v[2:3], off
	s_waitcnt vmcnt(0)
	v_sub_f32_e32 v2, v4, v2
	s_delay_alu instid0(VALU_DEP_1) | instskip(SKIP_2) | instid1(VALU_DEP_1)
	v_add_f32_e32 v7, v6, v2
	v_mad_u64_u32 v[2:3], null, s11, 15, v[0:1]
	v_mov_b32_e32 v3, v1
	v_lshlrev_b64 v[3:4], 2, v[2:3]
	s_delay_alu instid0(VALU_DEP_1) | instskip(NEXT) | instid1(VALU_DEP_2)
	v_add_co_u32 v5, vcc_lo, s4, v3
	v_add_co_ci_u32_e32 v6, vcc_lo, s5, v4, vcc_lo
	v_add_co_u32 v3, vcc_lo, s6, v3
	v_add_co_ci_u32_e32 v4, vcc_lo, s7, v4, vcc_lo
	global_load_b32 v0, v[5:6], off
	global_load_b32 v3, v[3:4], off
	s_waitcnt vmcnt(0)
	v_sub_f32_e32 v0, v0, v3
	v_mad_u64_u32 v[3:4], null, s11, 14, v[2:3]
	s_delay_alu instid0(VALU_DEP_2) | instskip(SKIP_1) | instid1(VALU_DEP_1)
	v_add_f32_e32 v0, v7, v0
	v_mov_b32_e32 v4, v1
	v_lshlrev_b64 v[4:5], 2, v[3:4]
	s_delay_alu instid0(VALU_DEP_1) | instskip(NEXT) | instid1(VALU_DEP_2)
	v_add_co_u32 v6, vcc_lo, s4, v4
	v_add_co_ci_u32_e32 v7, vcc_lo, s5, v5, vcc_lo
	v_add_co_u32 v4, vcc_lo, s6, v4
	v_add_co_ci_u32_e32 v5, vcc_lo, s7, v5, vcc_lo
	global_load_b32 v2, v[6:7], off
	global_load_b32 v4, v[4:5], off
	s_waitcnt vmcnt(0)
	v_sub_f32_e32 v2, v2, v4
	s_delay_alu instid0(VALU_DEP_1) | instskip(NEXT) | instid1(VALU_DEP_1)
	v_dual_sub_f32 v7, v0, v2 :: v_dual_add_nc_u32 v0, s11, v3
	v_lshlrev_b64 v[3:4], 2, v[0:1]
	v_add_nc_u32_e32 v0, s11, v0
	s_delay_alu instid0(VALU_DEP_2) | instskip(NEXT) | instid1(VALU_DEP_3)
	v_add_co_u32 v5, vcc_lo, s4, v3
	v_add_co_ci_u32_e32 v6, vcc_lo, s5, v4, vcc_lo
	v_add_co_u32 v3, vcc_lo, s6, v3
	v_add_co_ci_u32_e32 v4, vcc_lo, s7, v4, vcc_lo
	global_load_b32 v5, v[5:6], off
	global_load_b32 v3, v[3:4], off
	s_waitcnt vmcnt(0)
	v_sub_f32_e32 v3, v5, v3
	s_delay_alu instid0(VALU_DEP_1) | instskip(SKIP_1) | instid1(VALU_DEP_1)
	v_sub_f32_e32 v7, v7, v3
	v_lshlrev_b64 v[3:4], 2, v[0:1]
	v_add_co_u32 v5, vcc_lo, s4, v3
	s_delay_alu instid0(VALU_DEP_2)
	v_add_co_ci_u32_e32 v6, vcc_lo, s5, v4, vcc_lo
	v_add_co_u32 v3, vcc_lo, s6, v3
	v_add_co_ci_u32_e32 v4, vcc_lo, s7, v4, vcc_lo
	global_load_b32 v5, v[5:6], off
	global_load_b32 v3, v[3:4], off
	s_waitcnt vmcnt(0)
	v_dual_sub_f32 v3, v5, v3 :: v_dual_add_nc_u32 v0, s11, v0
	s_delay_alu instid0(VALU_DEP_1) | instskip(NEXT) | instid1(VALU_DEP_2)
	v_sub_f32_e32 v7, v7, v3
	v_lshlrev_b64 v[3:4], 2, v[0:1]
	v_add_nc_u32_e32 v0, s11, v0
	s_delay_alu instid0(VALU_DEP_2) | instskip(NEXT) | instid1(VALU_DEP_3)
	v_add_co_u32 v5, vcc_lo, s4, v3
	v_add_co_ci_u32_e32 v6, vcc_lo, s5, v4, vcc_lo
	v_add_co_u32 v3, vcc_lo, s6, v3
	v_add_co_ci_u32_e32 v4, vcc_lo, s7, v4, vcc_lo
	global_load_b32 v5, v[5:6], off
	global_load_b32 v3, v[3:4], off
	s_waitcnt vmcnt(0)
	v_sub_f32_e32 v3, v5, v3
	s_delay_alu instid0(VALU_DEP_1) | instskip(SKIP_2) | instid1(VALU_DEP_2)
	v_sub_f32_e32 v7, v7, v3
	v_lshlrev_b64 v[3:4], 2, v[0:1]
	v_add_nc_u32_e32 v0, s11, v0
	v_add_co_u32 v5, vcc_lo, s4, v3
	s_delay_alu instid0(VALU_DEP_3)
	v_add_co_ci_u32_e32 v6, vcc_lo, s5, v4, vcc_lo
	v_add_co_u32 v3, vcc_lo, s6, v3
	v_add_co_ci_u32_e32 v4, vcc_lo, s7, v4, vcc_lo
	global_load_b32 v5, v[5:6], off
	global_load_b32 v3, v[3:4], off
	s_waitcnt vmcnt(0)
	v_sub_f32_e32 v3, v5, v3
	s_delay_alu instid0(VALU_DEP_1) | instskip(SKIP_2) | instid1(VALU_DEP_2)
	v_sub_f32_e32 v7, v7, v3
	v_lshlrev_b64 v[3:4], 2, v[0:1]
	v_add_nc_u32_e32 v0, s11, v0
	v_add_co_u32 v5, vcc_lo, s4, v3
	s_delay_alu instid0(VALU_DEP_3)
	;; [unrolled: 13-line block ×3, first 2 shown]
	v_add_co_ci_u32_e32 v6, vcc_lo, s5, v4, vcc_lo
	v_add_co_u32 v3, vcc_lo, s6, v3
	v_add_co_ci_u32_e32 v4, vcc_lo, s7, v4, vcc_lo
	global_load_b32 v5, v[5:6], off
	global_load_b32 v3, v[3:4], off
	s_waitcnt vmcnt(0)
	v_sub_f32_e32 v3, v5, v3
	v_lshlrev_b64 v[4:5], 2, v[0:1]
	v_add_nc_u32_e32 v0, s11, v0
	s_delay_alu instid0(VALU_DEP_3) | instskip(NEXT) | instid1(VALU_DEP_3)
	v_sub_f32_e32 v8, v7, v3
	v_add_co_u32 v6, vcc_lo, s4, v4
	s_delay_alu instid0(VALU_DEP_4)
	v_add_co_ci_u32_e32 v7, vcc_lo, s5, v5, vcc_lo
	v_add_co_u32 v4, vcc_lo, s6, v4
	v_add_co_ci_u32_e32 v5, vcc_lo, s7, v5, vcc_lo
	global_load_b32 v6, v[6:7], off
	global_load_b32 v4, v[4:5], off
	s_waitcnt vmcnt(0)
	v_sub_f32_e32 v4, v6, v4
	s_delay_alu instid0(VALU_DEP_1) | instskip(SKIP_2) | instid1(VALU_DEP_2)
	v_sub_f32_e32 v8, v8, v4
	v_lshlrev_b64 v[4:5], 2, v[0:1]
	v_add_nc_u32_e32 v0, s11, v0
	v_add_co_u32 v6, vcc_lo, s4, v4
	s_delay_alu instid0(VALU_DEP_3)
	v_add_co_ci_u32_e32 v7, vcc_lo, s5, v5, vcc_lo
	v_add_co_u32 v4, vcc_lo, s6, v4
	v_add_co_ci_u32_e32 v5, vcc_lo, s7, v5, vcc_lo
	global_load_b32 v6, v[6:7], off
	global_load_b32 v4, v[4:5], off
	s_waitcnt vmcnt(0)
	v_sub_f32_e32 v4, v6, v4
	v_lshlrev_b64 v[5:6], 2, v[0:1]
	v_add_nc_u32_e32 v0, s11, v0
	s_delay_alu instid0(VALU_DEP_3) | instskip(NEXT) | instid1(VALU_DEP_3)
	v_sub_f32_e32 v9, v8, v4
	v_add_co_u32 v7, vcc_lo, s4, v5
	s_delay_alu instid0(VALU_DEP_4)
	v_add_co_ci_u32_e32 v8, vcc_lo, s5, v6, vcc_lo
	v_add_co_u32 v5, vcc_lo, s6, v5
	v_add_co_ci_u32_e32 v6, vcc_lo, s7, v6, vcc_lo
	global_load_b32 v7, v[7:8], off
	global_load_b32 v5, v[5:6], off
	s_waitcnt vmcnt(0)
	v_sub_f32_e32 v5, v7, v5
	s_delay_alu instid0(VALU_DEP_1) | instskip(SKIP_2) | instid1(VALU_DEP_2)
	v_sub_f32_e32 v9, v9, v5
	v_lshlrev_b64 v[5:6], 2, v[0:1]
	v_add_nc_u32_e32 v0, s11, v0
	v_add_co_u32 v7, vcc_lo, s4, v5
	s_delay_alu instid0(VALU_DEP_3)
	;; [unrolled: 26-line block ×3, first 2 shown]
	v_add_co_ci_u32_e32 v9, vcc_lo, s5, v7, vcc_lo
	v_add_co_u32 v6, vcc_lo, s6, v6
	v_add_co_ci_u32_e32 v7, vcc_lo, s7, v7, vcc_lo
	global_load_b32 v8, v[8:9], off
	global_load_b32 v6, v[6:7], off
	s_waitcnt vmcnt(0)
	v_sub_f32_e32 v6, v8, v6
	v_lshlrev_b64 v[7:8], 2, v[0:1]
	s_delay_alu instid0(VALU_DEP_2) | instskip(NEXT) | instid1(VALU_DEP_2)
	v_dual_sub_f32 v11, v10, v6 :: v_dual_add_nc_u32 v0, s11, v0
	v_add_co_u32 v9, vcc_lo, s4, v7
	s_delay_alu instid0(VALU_DEP_3)
	v_add_co_ci_u32_e32 v10, vcc_lo, s5, v8, vcc_lo
	v_add_co_u32 v7, vcc_lo, s6, v7
	v_add_co_ci_u32_e32 v8, vcc_lo, s7, v8, vcc_lo
	global_load_b32 v9, v[9:10], off
	global_load_b32 v7, v[7:8], off
	s_waitcnt vmcnt(0)
	v_sub_f32_e32 v7, v9, v7
	s_delay_alu instid0(VALU_DEP_1) | instskip(SKIP_2) | instid1(VALU_DEP_2)
	v_sub_f32_e32 v11, v11, v7
	v_lshlrev_b64 v[7:8], 2, v[0:1]
	v_add_nc_u32_e32 v0, s11, v0
	v_add_co_u32 v9, vcc_lo, s4, v7
	s_delay_alu instid0(VALU_DEP_3)
	v_add_co_ci_u32_e32 v10, vcc_lo, s5, v8, vcc_lo
	v_add_co_u32 v7, vcc_lo, s6, v7
	v_add_co_ci_u32_e32 v8, vcc_lo, s7, v8, vcc_lo
	global_load_b32 v9, v[9:10], off
	global_load_b32 v7, v[7:8], off
	s_waitcnt vmcnt(0)
	v_sub_f32_e32 v7, v9, v7
	s_delay_alu instid0(VALU_DEP_1) | instskip(SKIP_2) | instid1(VALU_DEP_2)
	v_sub_f32_e32 v11, v11, v7
	v_lshlrev_b64 v[7:8], 2, v[0:1]
	v_add_nc_u32_e32 v0, s11, v0
	v_add_co_u32 v9, vcc_lo, s4, v7
	s_delay_alu instid0(VALU_DEP_3)
	v_add_co_ci_u32_e32 v10, vcc_lo, s5, v8, vcc_lo
	v_add_co_u32 v7, vcc_lo, s6, v7
	v_add_co_ci_u32_e32 v8, vcc_lo, s7, v8, vcc_lo
	global_load_b32 v9, v[9:10], off
	global_load_b32 v7, v[7:8], off
	s_waitcnt vmcnt(0)
	v_sub_f32_e32 v7, v9, v7
	s_delay_alu instid0(VALU_DEP_1) | instskip(NEXT) | instid1(VALU_DEP_1)
	v_sub_f32_e32 v8, v11, v7
	v_sub_f32_e32 v11, v8, v7
	v_lshlrev_b64 v[7:8], 2, v[0:1]
	v_add_nc_u32_e32 v0, s11, v0
	s_delay_alu instid0(VALU_DEP_2) | instskip(NEXT) | instid1(VALU_DEP_3)
	v_add_co_u32 v9, vcc_lo, s4, v7
	v_add_co_ci_u32_e32 v10, vcc_lo, s5, v8, vcc_lo
	v_add_co_u32 v7, vcc_lo, s6, v7
	v_add_co_ci_u32_e32 v8, vcc_lo, s7, v8, vcc_lo
	global_load_b32 v9, v[9:10], off
	global_load_b32 v7, v[7:8], off
	s_waitcnt vmcnt(0)
	v_sub_f32_e32 v7, v9, v7
	s_delay_alu instid0(VALU_DEP_1) | instskip(NEXT) | instid1(VALU_DEP_1)
	v_sub_f32_e32 v8, v11, v7
	v_sub_f32_e32 v11, v8, v7
	v_lshlrev_b64 v[7:8], 2, v[0:1]
	v_add_nc_u32_e32 v0, s0, v0
	s_delay_alu instid0(VALU_DEP_2) | instskip(NEXT) | instid1(VALU_DEP_3)
	v_add_co_u32 v9, vcc_lo, s4, v7
	v_add_co_ci_u32_e32 v10, vcc_lo, s5, v8, vcc_lo
	v_add_co_u32 v7, vcc_lo, s6, v7
	v_add_co_ci_u32_e32 v8, vcc_lo, s7, v8, vcc_lo
	global_load_b32 v9, v[9:10], off
	global_load_b32 v7, v[7:8], off
	s_waitcnt vmcnt(0)
	v_sub_f32_e32 v7, v9, v7
	s_delay_alu instid0(VALU_DEP_1) | instskip(SKIP_2) | instid1(VALU_DEP_2)
	v_sub_f32_e32 v11, v11, v7
	v_lshlrev_b64 v[7:8], 2, v[0:1]
	v_add_nc_u32_e32 v0, s1, v0
	v_add_co_u32 v9, vcc_lo, s4, v7
	s_delay_alu instid0(VALU_DEP_3)
	v_add_co_ci_u32_e32 v10, vcc_lo, s5, v8, vcc_lo
	v_add_co_u32 v7, vcc_lo, s6, v7
	v_add_co_ci_u32_e32 v8, vcc_lo, s7, v8, vcc_lo
	global_load_b32 v9, v[9:10], off
	global_load_b32 v7, v[7:8], off
	s_waitcnt vmcnt(0)
	v_sub_f32_e32 v7, v9, v7
	s_delay_alu instid0(VALU_DEP_1) | instskip(SKIP_2) | instid1(VALU_DEP_2)
	v_add_f32_e32 v11, v11, v7
	v_lshlrev_b64 v[7:8], 2, v[0:1]
	v_add_nc_u32_e32 v0, s11, v0
	v_add_co_u32 v9, vcc_lo, s4, v7
	s_delay_alu instid0(VALU_DEP_3)
	v_add_co_ci_u32_e32 v10, vcc_lo, s5, v8, vcc_lo
	v_add_co_u32 v7, vcc_lo, s6, v7
	v_add_co_ci_u32_e32 v8, vcc_lo, s7, v8, vcc_lo
	global_load_b32 v9, v[9:10], off
	global_load_b32 v7, v[7:8], off
	s_waitcnt vmcnt(0)
	v_sub_f32_e32 v7, v9, v7
	v_lshlrev_b64 v[8:9], 2, v[0:1]
	v_add_nc_u32_e32 v0, s11, v0
	s_delay_alu instid0(VALU_DEP_3) | instskip(NEXT) | instid1(VALU_DEP_3)
	v_add_f32_e32 v12, v11, v7
	v_add_co_u32 v10, vcc_lo, s4, v8
	s_delay_alu instid0(VALU_DEP_4)
	v_add_co_ci_u32_e32 v11, vcc_lo, s5, v9, vcc_lo
	v_add_co_u32 v8, vcc_lo, s6, v8
	v_add_co_ci_u32_e32 v9, vcc_lo, s7, v9, vcc_lo
	global_load_b32 v10, v[10:11], off
	global_load_b32 v8, v[8:9], off
	s_waitcnt vmcnt(0)
	v_sub_f32_e32 v8, v10, v8
	v_lshlrev_b64 v[9:10], 2, v[0:1]
	v_add_nc_u32_e32 v0, s0, v0
	s_delay_alu instid0(VALU_DEP_3) | instskip(NEXT) | instid1(VALU_DEP_3)
	v_add_f32_e32 v13, v12, v8
	v_add_co_u32 v11, vcc_lo, s4, v9
	s_delay_alu instid0(VALU_DEP_4)
	v_add_co_ci_u32_e32 v12, vcc_lo, s5, v10, vcc_lo
	v_add_co_u32 v9, vcc_lo, s6, v9
	v_add_co_ci_u32_e32 v10, vcc_lo, s7, v10, vcc_lo
	global_load_b32 v11, v[11:12], off
	global_load_b32 v9, v[9:10], off
	s_waitcnt vmcnt(0)
	v_sub_f32_e32 v10, v11, v9
	v_lshlrev_b64 v[11:12], 2, v[0:1]
	s_delay_alu instid0(VALU_DEP_2) | instskip(NEXT) | instid1(VALU_DEP_2)
	v_dual_add_f32 v15, v13, v10 :: v_dual_add_nc_u32 v0, s11, v0
	v_add_co_u32 v13, vcc_lo, s4, v11
	s_delay_alu instid0(VALU_DEP_3)
	v_add_co_ci_u32_e32 v14, vcc_lo, s5, v12, vcc_lo
	v_add_co_u32 v11, vcc_lo, s6, v11
	v_add_co_ci_u32_e32 v12, vcc_lo, s7, v12, vcc_lo
	global_load_b32 v9, v[13:14], off
	global_load_b32 v11, v[11:12], off
	s_waitcnt vmcnt(0)
	v_sub_f32_e32 v9, v9, v11
	s_delay_alu instid0(VALU_DEP_1) | instskip(NEXT) | instid1(VALU_DEP_1)
	v_add_f32_e32 v11, v15, v9
	v_add_f32_e32 v15, v9, v11
	v_lshlrev_b64 v[11:12], 2, v[0:1]
	s_delay_alu instid0(VALU_DEP_1) | instskip(NEXT) | instid1(VALU_DEP_2)
	v_add_co_u32 v13, vcc_lo, s4, v11
	v_add_co_ci_u32_e32 v14, vcc_lo, s5, v12, vcc_lo
	v_add_co_u32 v11, vcc_lo, s6, v11
	v_add_co_ci_u32_e32 v12, vcc_lo, s7, v12, vcc_lo
	global_load_b32 v13, v[13:14], off
	global_load_b32 v11, v[11:12], off
	s_waitcnt vmcnt(0)
	v_sub_f32_e32 v11, v13, v11
	s_delay_alu instid0(VALU_DEP_1) | instskip(NEXT) | instid1(VALU_DEP_1)
	v_add_f32_e32 v12, v15, v11
	v_add_f32_e32 v17, v11, v12
	v_mad_u64_u32 v[12:13], null, s11, 12, v[0:1]
	v_mov_b32_e32 v13, v1
	s_delay_alu instid0(VALU_DEP_1) | instskip(NEXT) | instid1(VALU_DEP_1)
	v_lshlrev_b64 v[13:14], 2, v[12:13]
	v_add_co_u32 v15, vcc_lo, s4, v13
	s_delay_alu instid0(VALU_DEP_2)
	v_add_co_ci_u32_e32 v16, vcc_lo, s5, v14, vcc_lo
	v_add_co_u32 v13, vcc_lo, s6, v13
	v_add_co_ci_u32_e32 v14, vcc_lo, s7, v14, vcc_lo
	global_load_b32 v0, v[15:16], off
	global_load_b32 v13, v[13:14], off
	s_waitcnt vmcnt(0)
	v_sub_f32_e32 v0, v0, v13
	s_delay_alu instid0(VALU_DEP_1) | instskip(SKIP_1) | instid1(VALU_DEP_1)
	v_add_f32_e32 v16, v17, v0
	v_add_nc_u32_e32 v0, s0, v12
	v_lshlrev_b64 v[12:13], 2, v[0:1]
	v_add_nc_u32_e32 v0, s12, v0
	s_delay_alu instid0(VALU_DEP_2) | instskip(NEXT) | instid1(VALU_DEP_3)
	v_add_co_u32 v14, vcc_lo, s4, v12
	v_add_co_ci_u32_e32 v15, vcc_lo, s5, v13, vcc_lo
	v_add_co_u32 v12, vcc_lo, s6, v12
	v_add_co_ci_u32_e32 v13, vcc_lo, s7, v13, vcc_lo
	global_load_b32 v14, v[14:15], off
	global_load_b32 v12, v[12:13], off
	s_waitcnt vmcnt(0)
	v_sub_f32_e32 v12, v14, v12
	s_delay_alu instid0(VALU_DEP_1) | instskip(SKIP_2) | instid1(VALU_DEP_2)
	v_sub_f32_e32 v16, v16, v12
	v_lshlrev_b64 v[12:13], 2, v[0:1]
	v_add_nc_u32_e32 v0, s13, v0
	v_add_co_u32 v14, vcc_lo, s4, v12
	s_delay_alu instid0(VALU_DEP_3)
	v_add_co_ci_u32_e32 v15, vcc_lo, s5, v13, vcc_lo
	v_add_co_u32 v12, vcc_lo, s6, v12
	v_add_co_ci_u32_e32 v13, vcc_lo, s7, v13, vcc_lo
	global_load_b32 v14, v[14:15], off
	global_load_b32 v12, v[12:13], off
	s_waitcnt vmcnt(0)
	v_sub_f32_e32 v12, v14, v12
	s_delay_alu instid0(VALU_DEP_1) | instskip(SKIP_3) | instid1(VALU_DEP_2)
	v_add_f32_e32 v16, v16, v12
	v_lshlrev_b64 v[12:13], 2, v[0:1]
	v_add_nc_u32_e32 v0, s13, v0
	s_mul_i32 s13, s11, 6
	v_add_co_u32 v14, vcc_lo, s4, v12
	s_delay_alu instid0(VALU_DEP_3)
	v_add_co_ci_u32_e32 v15, vcc_lo, s5, v13, vcc_lo
	v_add_co_u32 v12, vcc_lo, s6, v12
	v_add_co_ci_u32_e32 v13, vcc_lo, s7, v13, vcc_lo
	global_load_b32 v14, v[14:15], off
	global_load_b32 v12, v[12:13], off
	s_waitcnt vmcnt(0)
	v_sub_f32_e32 v12, v14, v12
	s_delay_alu instid0(VALU_DEP_1) | instskip(SKIP_2) | instid1(VALU_DEP_2)
	v_add_f32_e32 v16, v16, v12
	v_lshlrev_b64 v[12:13], 2, v[0:1]
	v_add_nc_u32_e32 v0, s11, v0
	v_add_co_u32 v14, vcc_lo, s4, v12
	s_delay_alu instid0(VALU_DEP_3)
	v_add_co_ci_u32_e32 v15, vcc_lo, s5, v13, vcc_lo
	v_add_co_u32 v12, vcc_lo, s6, v12
	v_add_co_ci_u32_e32 v13, vcc_lo, s7, v13, vcc_lo
	global_load_b32 v14, v[14:15], off
	global_load_b32 v12, v[12:13], off
	s_waitcnt vmcnt(0)
	v_sub_f32_e32 v14, v14, v12
	v_lshlrev_b64 v[12:13], 2, v[0:1]
	s_delay_alu instid0(VALU_DEP_2) | instskip(NEXT) | instid1(VALU_DEP_2)
	v_dual_sub_f32 v17, v16, v14 :: v_dual_add_nc_u32 v0, s11, v0
	v_add_co_u32 v15, vcc_lo, s4, v12
	s_delay_alu instid0(VALU_DEP_3)
	v_add_co_ci_u32_e32 v16, vcc_lo, s5, v13, vcc_lo
	v_add_co_u32 v12, vcc_lo, s6, v12
	v_add_co_ci_u32_e32 v13, vcc_lo, s7, v13, vcc_lo
	global_load_b32 v15, v[15:16], off
	global_load_b32 v12, v[12:13], off
	s_waitcnt vmcnt(0)
	v_sub_f32_e32 v12, v15, v12
	s_delay_alu instid0(VALU_DEP_1) | instskip(SKIP_2) | instid1(VALU_DEP_2)
	v_sub_f32_e32 v17, v17, v12
	v_lshlrev_b64 v[12:13], 2, v[0:1]
	v_add_nc_u32_e32 v0, s11, v0
	v_add_co_u32 v15, vcc_lo, s4, v12
	s_delay_alu instid0(VALU_DEP_3)
	v_add_co_ci_u32_e32 v16, vcc_lo, s5, v13, vcc_lo
	v_add_co_u32 v12, vcc_lo, s6, v12
	v_add_co_ci_u32_e32 v13, vcc_lo, s7, v13, vcc_lo
	global_load_b32 v15, v[15:16], off
	global_load_b32 v12, v[12:13], off
	s_waitcnt vmcnt(0)
	v_sub_f32_e32 v12, v15, v12
	s_delay_alu instid0(VALU_DEP_1) | instskip(SKIP_2) | instid1(VALU_DEP_2)
	v_sub_f32_e32 v17, v17, v12
	v_lshlrev_b64 v[12:13], 2, v[0:1]
	v_add_nc_u32_e32 v0, s0, v0
	v_add_co_u32 v15, vcc_lo, s4, v12
	s_delay_alu instid0(VALU_DEP_3)
	v_add_co_ci_u32_e32 v16, vcc_lo, s5, v13, vcc_lo
	v_add_co_u32 v12, vcc_lo, s6, v12
	v_add_co_ci_u32_e32 v13, vcc_lo, s7, v13, vcc_lo
	global_load_b32 v15, v[15:16], off
	global_load_b32 v12, v[12:13], off
	s_waitcnt vmcnt(0)
	v_sub_f32_e32 v12, v15, v12
	s_delay_alu instid0(VALU_DEP_1) | instskip(SKIP_1) | instid1(VALU_DEP_1)
	v_add_f32_e32 v17, v17, v12
	v_lshlrev_b64 v[12:13], 2, v[0:1]
	v_add_co_u32 v15, vcc_lo, s4, v12
	s_delay_alu instid0(VALU_DEP_2)
	v_add_co_ci_u32_e32 v16, vcc_lo, s5, v13, vcc_lo
	v_add_co_u32 v12, vcc_lo, s6, v12
	v_add_co_ci_u32_e32 v13, vcc_lo, s7, v13, vcc_lo
	global_load_b32 v15, v[15:16], off
	global_load_b32 v12, v[12:13], off
	s_waitcnt vmcnt(0)
	v_sub_f32_e32 v12, v15, v12
	s_delay_alu instid0(VALU_DEP_1) | instskip(SKIP_2) | instid1(VALU_DEP_1)
	v_add_f32_e32 v19, v17, v12
	v_mad_u64_u32 v[12:13], null, s11, 10, v[0:1]
	v_mov_b32_e32 v13, v1
	v_lshlrev_b64 v[15:16], 2, v[12:13]
	s_delay_alu instid0(VALU_DEP_1) | instskip(NEXT) | instid1(VALU_DEP_2)
	v_add_co_u32 v17, vcc_lo, s4, v15
	v_add_co_ci_u32_e32 v18, vcc_lo, s5, v16, vcc_lo
	v_add_co_u32 v15, vcc_lo, s6, v15
	v_add_co_ci_u32_e32 v16, vcc_lo, s7, v16, vcc_lo
	global_load_b32 v0, v[17:18], off
	global_load_b32 v13, v[15:16], off
	s_waitcnt vmcnt(0)
	v_mad_u64_u32 v[16:17], null, s11, 9, v[12:13]
	v_dual_mov_b32 v17, v1 :: v_dual_sub_f32 v0, v0, v13
	s_delay_alu instid0(VALU_DEP_1) | instskip(NEXT) | instid1(VALU_DEP_2)
	v_lshlrev_b64 v[12:13], 2, v[16:17]
	v_add_f32_e32 v0, v19, v0
	s_delay_alu instid0(VALU_DEP_2) | instskip(NEXT) | instid1(VALU_DEP_3)
	v_add_co_u32 v17, vcc_lo, s4, v12
	v_add_co_ci_u32_e32 v18, vcc_lo, s5, v13, vcc_lo
	v_add_co_u32 v12, vcc_lo, s6, v12
	v_add_co_ci_u32_e32 v13, vcc_lo, s7, v13, vcc_lo
	global_load_b32 v15, v[17:18], off
	global_load_b32 v12, v[12:13], off
	s_waitcnt vmcnt(0)
	v_sub_f32_e32 v15, v15, v12
	s_delay_alu instid0(VALU_DEP_1) | instskip(SKIP_1) | instid1(VALU_DEP_1)
	v_sub_f32_e32 v18, v0, v15
	v_add_nc_u32_e32 v0, s11, v16
	v_lshlrev_b64 v[12:13], 2, v[0:1]
	s_delay_alu instid0(VALU_DEP_1) | instskip(NEXT) | instid1(VALU_DEP_2)
	v_add_co_u32 v16, vcc_lo, s4, v12
	v_add_co_ci_u32_e32 v17, vcc_lo, s5, v13, vcc_lo
	v_add_co_u32 v12, vcc_lo, s6, v12
	v_add_co_ci_u32_e32 v13, vcc_lo, s7, v13, vcc_lo
	global_load_b32 v16, v[16:17], off
	global_load_b32 v12, v[12:13], off
	s_waitcnt vmcnt(0)
	v_sub_f32_e32 v12, v16, v12
	s_delay_alu instid0(VALU_DEP_1) | instskip(SKIP_2) | instid1(VALU_DEP_1)
	v_sub_f32_e32 v20, v18, v12
	v_mad_u64_u32 v[12:13], null, s11, 3, v[0:1]
	v_mov_b32_e32 v13, v1
	v_lshlrev_b64 v[16:17], 2, v[12:13]
	s_delay_alu instid0(VALU_DEP_1) | instskip(NEXT) | instid1(VALU_DEP_2)
	v_add_co_u32 v18, vcc_lo, s4, v16
	v_add_co_ci_u32_e32 v19, vcc_lo, s5, v17, vcc_lo
	v_add_co_u32 v16, vcc_lo, s6, v16
	v_add_co_ci_u32_e32 v17, vcc_lo, s7, v17, vcc_lo
	global_load_b32 v0, v[18:19], off
	global_load_b32 v13, v[16:17], off
	s_waitcnt vmcnt(0)
	v_sub_f32_e32 v0, v0, v13
	s_delay_alu instid0(VALU_DEP_1) | instskip(SKIP_1) | instid1(VALU_DEP_1)
	v_add_f32_e32 v18, v20, v0
	v_add_nc_u32_e32 v0, s1, v12
	v_lshlrev_b64 v[12:13], 2, v[0:1]
	v_add_nc_u32_e32 v0, s13, v0
	s_delay_alu instid0(VALU_DEP_2) | instskip(NEXT) | instid1(VALU_DEP_3)
	v_add_co_u32 v16, vcc_lo, s4, v12
	v_add_co_ci_u32_e32 v17, vcc_lo, s5, v13, vcc_lo
	v_add_co_u32 v12, vcc_lo, s6, v12
	v_add_co_ci_u32_e32 v13, vcc_lo, s7, v13, vcc_lo
	global_load_b32 v16, v[16:17], off
	global_load_b32 v12, v[12:13], off
	s_waitcnt vmcnt(0)
	v_sub_f32_e32 v12, v16, v12
	s_delay_alu instid0(VALU_DEP_1) | instskip(SKIP_2) | instid1(VALU_DEP_2)
	v_add_f32_e32 v18, v18, v12
	v_lshlrev_b64 v[12:13], 2, v[0:1]
	v_add_nc_u32_e32 v0, s11, v0
	v_add_co_u32 v16, vcc_lo, s4, v12
	s_delay_alu instid0(VALU_DEP_3)
	v_add_co_ci_u32_e32 v17, vcc_lo, s5, v13, vcc_lo
	v_add_co_u32 v12, vcc_lo, s6, v12
	v_add_co_ci_u32_e32 v13, vcc_lo, s7, v13, vcc_lo
	global_load_b32 v16, v[16:17], off
	global_load_b32 v12, v[12:13], off
	s_waitcnt vmcnt(0)
	v_sub_f32_e32 v12, v16, v12
	s_delay_alu instid0(VALU_DEP_1) | instskip(SKIP_2) | instid1(VALU_DEP_2)
	v_add_f32_e32 v18, v18, v12
	v_lshlrev_b64 v[12:13], 2, v[0:1]
	v_add_nc_u32_e32 v0, s12, v0
	v_add_co_u32 v16, vcc_lo, s4, v12
	s_delay_alu instid0(VALU_DEP_3)
	v_add_co_ci_u32_e32 v17, vcc_lo, s5, v13, vcc_lo
	v_add_co_u32 v12, vcc_lo, s6, v12
	v_add_co_ci_u32_e32 v13, vcc_lo, s7, v13, vcc_lo
	global_load_b32 v16, v[16:17], off
	global_load_b32 v12, v[12:13], off
	s_waitcnt vmcnt(0)
	v_sub_f32_e32 v20, v16, v12
	v_lshlrev_b64 v[12:13], 2, v[0:1]
	v_add_nc_u32_e32 v0, s0, v0
	s_delay_alu instid0(VALU_DEP_3) | instskip(NEXT) | instid1(VALU_DEP_3)
	v_sub_f32_e32 v18, v18, v20
	v_add_co_u32 v16, vcc_lo, s4, v12
	s_delay_alu instid0(VALU_DEP_4)
	v_add_co_ci_u32_e32 v17, vcc_lo, s5, v13, vcc_lo
	v_add_co_u32 v12, vcc_lo, s6, v12
	v_add_co_ci_u32_e32 v13, vcc_lo, s7, v13, vcc_lo
	global_load_b32 v16, v[16:17], off
	global_load_b32 v12, v[12:13], off
	s_waitcnt vmcnt(0)
	v_sub_f32_e32 v12, v16, v12
	s_delay_alu instid0(VALU_DEP_1) | instskip(SKIP_3) | instid1(VALU_DEP_2)
	v_add_f32_e32 v18, v18, v12
	v_lshlrev_b64 v[12:13], 2, v[0:1]
	v_add_nc_u32_e32 v0, s1, v0
	s_load_b64 s[0:1], s[8:9], 0x20
	v_add_co_u32 v16, vcc_lo, s4, v12
	s_delay_alu instid0(VALU_DEP_3)
	v_add_co_ci_u32_e32 v17, vcc_lo, s5, v13, vcc_lo
	v_add_co_u32 v12, vcc_lo, s6, v12
	v_add_co_ci_u32_e32 v13, vcc_lo, s7, v13, vcc_lo
	global_load_b32 v16, v[16:17], off
	global_load_b32 v12, v[12:13], off
	s_waitcnt vmcnt(0)
	v_sub_f32_e32 v12, v16, v12
	s_delay_alu instid0(VALU_DEP_1) | instskip(SKIP_2) | instid1(VALU_DEP_2)
	v_add_f32_e32 v18, v18, v12
	v_lshlrev_b64 v[12:13], 2, v[0:1]
	v_add_nc_u32_e32 v0, s11, v0
	v_add_co_u32 v16, vcc_lo, s4, v12
	s_delay_alu instid0(VALU_DEP_3)
	v_add_co_ci_u32_e32 v17, vcc_lo, s5, v13, vcc_lo
	v_add_co_u32 v12, vcc_lo, s6, v12
	v_add_co_ci_u32_e32 v13, vcc_lo, s7, v13, vcc_lo
	global_load_b32 v16, v[16:17], off
	global_load_b32 v12, v[12:13], off
	s_waitcnt vmcnt(0)
	v_sub_f32_e32 v12, v16, v12
	v_lshlrev_b64 v[16:17], 2, v[0:1]
	v_add_nc_u32_e32 v0, s13, v0
	s_delay_alu instid0(VALU_DEP_3) | instskip(NEXT) | instid1(VALU_DEP_3)
	v_sub_f32_e32 v13, v18, v12
	v_add_co_u32 v18, vcc_lo, s4, v16
	s_delay_alu instid0(VALU_DEP_4)
	v_add_co_ci_u32_e32 v19, vcc_lo, s5, v17, vcc_lo
	v_add_co_u32 v16, vcc_lo, s6, v16
	v_add_co_ci_u32_e32 v17, vcc_lo, s7, v17, vcc_lo
	global_load_b32 v18, v[18:19], off
	global_load_b32 v16, v[16:17], off
	s_waitcnt vmcnt(0)
	v_sub_f32_e32 v16, v18, v16
	s_delay_alu instid0(VALU_DEP_1) | instskip(SKIP_2) | instid1(VALU_DEP_2)
	v_add_f32_e32 v21, v13, v16
	v_lshlrev_b64 v[16:17], 2, v[0:1]
	v_add_nc_u32_e32 v0, s11, v0
	v_add_co_u32 v18, vcc_lo, s4, v16
	s_delay_alu instid0(VALU_DEP_3)
	v_add_co_ci_u32_e32 v19, vcc_lo, s5, v17, vcc_lo
	v_add_co_u32 v16, vcc_lo, s6, v16
	v_add_co_ci_u32_e32 v17, vcc_lo, s7, v17, vcc_lo
	global_load_b32 v13, v[18:19], off
	global_load_b32 v16, v[16:17], off
	s_waitcnt vmcnt(0)
	v_sub_f32_e32 v13, v13, v16
	v_lshlrev_b64 v[16:17], 2, v[0:1]
	s_delay_alu instid0(VALU_DEP_2) | instskip(NEXT) | instid1(VALU_DEP_2)
	v_sub_f32_e32 v21, v21, v13
	v_add_co_u32 v18, vcc_lo, s4, v16
	s_delay_alu instid0(VALU_DEP_3)
	v_add_co_ci_u32_e32 v19, vcc_lo, s5, v17, vcc_lo
	v_add_co_u32 v16, vcc_lo, s6, v16
	v_add_co_ci_u32_e32 v17, vcc_lo, s7, v17, vcc_lo
	global_load_b32 v18, v[18:19], off
	global_load_b32 v16, v[16:17], off
	s_waitcnt vmcnt(0)
	v_sub_f32_e32 v16, v18, v16
	s_delay_alu instid0(VALU_DEP_1) | instskip(NEXT) | instid1(VALU_DEP_1)
	v_add_f32_e32 v16, v21, v16
	v_mul_f32_e32 v16, s10, v16
	s_waitcnt lgkmcnt(0)
	s_delay_alu instid0(VALU_DEP_1) | instskip(SKIP_2) | instid1(VALU_DEP_1)
	v_mul_f32_e32 v21, s0, v16
	v_mad_u64_u32 v[16:17], null, 0xffffff3b, s11, v[0:1]
	v_dual_mov_b32 v17, v1 :: v_dual_add_f32 v0, v2, v3
	v_mad_u64_u32 v[2:3], null, 0x60, s11, v[16:17]
	v_mov_b32_e32 v3, v1
	v_lshlrev_b64 v[18:19], 2, v[16:17]
	s_delay_alu instid0(VALU_DEP_4) | instskip(NEXT) | instid1(VALU_DEP_3)
	v_add_f32_e32 v0, v0, v4
	v_lshlrev_b64 v[3:4], 2, v[2:3]
	s_delay_alu instid0(VALU_DEP_3) | instskip(NEXT) | instid1(VALU_DEP_3)
	v_add_co_u32 v18, vcc_lo, s2, v18
	v_add_f32_e32 v0, v0, v5
	v_add_co_ci_u32_e32 v19, vcc_lo, s3, v19, vcc_lo
	s_delay_alu instid0(VALU_DEP_4) | instskip(NEXT) | instid1(VALU_DEP_3)
	v_add_co_u32 v5, vcc_lo, s4, v3
	v_add_f32_e32 v0, v0, v6
	v_add_co_ci_u32_e32 v6, vcc_lo, s5, v4, vcc_lo
	v_add_co_u32 v3, vcc_lo, s6, v3
	v_add_co_ci_u32_e32 v4, vcc_lo, s7, v4, vcc_lo
	global_load_b32 v5, v[5:6], off
	v_sub_f32_e32 v0, v0, v7
	global_load_b32 v3, v[3:4], off
	v_sub_f32_e32 v0, v0, v8
	s_waitcnt vmcnt(0)
	s_delay_alu instid0(VALU_DEP_1) | instskip(NEXT) | instid1(VALU_DEP_1)
	v_dual_sub_f32 v0, v0, v10 :: v_dual_sub_f32 v3, v5, v3
	v_sub_f32_e32 v0, v0, v3
	v_mad_u64_u32 v[4:5], null, s11, 61, v[2:3]
	v_mov_b32_e32 v5, v1
	global_store_b32 v[18:19], v21, off
	v_sub_f32_e32 v0, v0, v9
	v_lshlrev_b64 v[2:3], 2, v[4:5]
	s_delay_alu instid0(VALU_DEP_2) | instskip(NEXT) | instid1(VALU_DEP_2)
	v_sub_f32_e32 v0, v0, v11
	v_add_co_u32 v5, vcc_lo, s4, v2
	s_delay_alu instid0(VALU_DEP_3)
	v_add_co_ci_u32_e32 v6, vcc_lo, s5, v3, vcc_lo
	v_add_co_u32 v2, vcc_lo, s6, v2
	v_add_co_ci_u32_e32 v3, vcc_lo, s7, v3, vcc_lo
	global_load_b32 v5, v[5:6], off
	v_add_f32_e32 v0, v14, v0
	global_load_b32 v2, v[2:3], off
	s_waitcnt vmcnt(0)
	v_sub_f32_e32 v2, v5, v2
	s_delay_alu instid0(VALU_DEP_1) | instskip(SKIP_1) | instid1(VALU_DEP_2)
	v_add_f32_e32 v0, v2, v0
	v_mad_u64_u32 v[2:3], null, s11, 20, v[4:5]
	v_dual_mov_b32 v3, v1 :: v_dual_add_f32 v0, v15, v0
	s_delay_alu instid0(VALU_DEP_1) | instskip(NEXT) | instid1(VALU_DEP_2)
	v_lshlrev_b64 v[4:5], 2, v[2:3]
	v_add_f32_e32 v0, v20, v0
	s_delay_alu instid0(VALU_DEP_2) | instskip(NEXT) | instid1(VALU_DEP_3)
	v_add_co_u32 v6, vcc_lo, s4, v4
	v_add_co_ci_u32_e32 v7, vcc_lo, s5, v5, vcc_lo
	v_add_co_u32 v4, vcc_lo, s6, v4
	v_add_co_ci_u32_e32 v5, vcc_lo, s7, v5, vcc_lo
	global_load_b32 v3, v[6:7], off
	global_load_b32 v4, v[4:5], off
	s_waitcnt vmcnt(0)
	v_sub_f32_e32 v3, v3, v4
	s_delay_alu instid0(VALU_DEP_1) | instskip(SKIP_2) | instid1(VALU_DEP_3)
	v_add_f32_e32 v0, v3, v0
	v_mad_u64_u32 v[3:4], null, 0xffffff50, s11, v[2:3]
	v_mov_b32_e32 v4, v1
	v_add_f32_e32 v0, v12, v0
	s_delay_alu instid0(VALU_DEP_1) | instskip(NEXT) | instid1(VALU_DEP_1)
	v_add_f32_e32 v0, v13, v0
	v_mul_f32_e32 v0, s10, v0
	s_delay_alu instid0(VALU_DEP_1) | instskip(SKIP_1) | instid1(VALU_DEP_1)
	v_mul_f32_e32 v5, s1, v0
	v_lshlrev_b64 v[0:1], 2, v[3:4]
	v_add_co_u32 v0, vcc_lo, s2, v0
	s_delay_alu instid0(VALU_DEP_2)
	v_add_co_ci_u32_e32 v1, vcc_lo, s3, v1, vcc_lo
	global_store_b32 v[0:1], v5, off
	s_nop 0
	s_sendmsg sendmsg(MSG_DEALLOC_VGPRS)
	s_endpgm
	.section	.rodata,"a",@progbits
	.p2align	6, 0x0
	.amdhsa_kernel _Z14rdwdot7_kernelIfEvPKT_S2_PS0_S0_S2_
		.amdhsa_group_segment_fixed_size 0
		.amdhsa_private_segment_fixed_size 0
		.amdhsa_kernarg_size 296
		.amdhsa_user_sgpr_count 15
		.amdhsa_user_sgpr_dispatch_ptr 0
		.amdhsa_user_sgpr_queue_ptr 0
		.amdhsa_user_sgpr_kernarg_segment_ptr 1
		.amdhsa_user_sgpr_dispatch_id 0
		.amdhsa_user_sgpr_private_segment_size 0
		.amdhsa_wavefront_size32 1
		.amdhsa_uses_dynamic_stack 0
		.amdhsa_enable_private_segment 0
		.amdhsa_system_sgpr_workgroup_id_x 1
		.amdhsa_system_sgpr_workgroup_id_y 0
		.amdhsa_system_sgpr_workgroup_id_z 0
		.amdhsa_system_sgpr_workgroup_info 0
		.amdhsa_system_vgpr_workitem_id 0
		.amdhsa_next_free_vgpr 22
		.amdhsa_next_free_sgpr 16
		.amdhsa_reserve_vcc 1
		.amdhsa_float_round_mode_32 0
		.amdhsa_float_round_mode_16_64 0
		.amdhsa_float_denorm_mode_32 3
		.amdhsa_float_denorm_mode_16_64 3
		.amdhsa_dx10_clamp 1
		.amdhsa_ieee_mode 1
		.amdhsa_fp16_overflow 0
		.amdhsa_workgroup_processor_mode 1
		.amdhsa_memory_ordered 1
		.amdhsa_forward_progress 0
		.amdhsa_shared_vgpr_count 0
		.amdhsa_exception_fp_ieee_invalid_op 0
		.amdhsa_exception_fp_denorm_src 0
		.amdhsa_exception_fp_ieee_div_zero 0
		.amdhsa_exception_fp_ieee_overflow 0
		.amdhsa_exception_fp_ieee_underflow 0
		.amdhsa_exception_fp_ieee_inexact 0
		.amdhsa_exception_int_div_zero 0
	.end_amdhsa_kernel
	.section	.text._Z14rdwdot7_kernelIfEvPKT_S2_PS0_S0_S2_,"axG",@progbits,_Z14rdwdot7_kernelIfEvPKT_S2_PS0_S0_S2_,comdat
.Lfunc_end23:
	.size	_Z14rdwdot7_kernelIfEvPKT_S2_PS0_S0_S2_, .Lfunc_end23-_Z14rdwdot7_kernelIfEvPKT_S2_PS0_S0_S2_
                                        ; -- End function
	.section	.AMDGPU.csdata,"",@progbits
; Kernel info:
; codeLenInByte = 4164
; NumSgprs: 18
; NumVgprs: 22
; ScratchSize: 0
; MemoryBound: 0
; FloatMode: 240
; IeeeMode: 1
; LDSByteSize: 0 bytes/workgroup (compile time only)
; SGPRBlocks: 2
; VGPRBlocks: 2
; NumSGPRsForWavesPerEU: 18
; NumVGPRsForWavesPerEU: 22
; Occupancy: 16
; WaveLimiterHint : 0
; COMPUTE_PGM_RSRC2:SCRATCH_EN: 0
; COMPUTE_PGM_RSRC2:USER_SGPR: 15
; COMPUTE_PGM_RSRC2:TRAP_HANDLER: 0
; COMPUTE_PGM_RSRC2:TGID_X_EN: 1
; COMPUTE_PGM_RSRC2:TGID_Y_EN: 0
; COMPUTE_PGM_RSRC2:TGID_Z_EN: 0
; COMPUTE_PGM_RSRC2:TIDIG_COMP_CNT: 0
	.section	.text._Z14rdwdot8_kernelIfEvPKT_S2_PS0_S0_S2_,"axG",@progbits,_Z14rdwdot8_kernelIfEvPKT_S2_PS0_S0_S2_,comdat
	.protected	_Z14rdwdot8_kernelIfEvPKT_S2_PS0_S0_S2_ ; -- Begin function _Z14rdwdot8_kernelIfEvPKT_S2_PS0_S0_S2_
	.globl	_Z14rdwdot8_kernelIfEvPKT_S2_PS0_S0_S2_
	.p2align	8
	.type	_Z14rdwdot8_kernelIfEvPKT_S2_PS0_S0_S2_,@function
_Z14rdwdot8_kernelIfEvPKT_S2_PS0_S0_S2_: ; @_Z14rdwdot8_kernelIfEvPKT_S2_PS0_S0_S2_
; %bb.0:
	s_clause 0x5
	s_load_b128 s[4:7], s[0:1], 0x0
	s_load_b64 s[2:3], s[0:1], 0x10
	s_load_b32 s10, s[0:1], 0x18
	s_load_b64 s[8:9], s[0:1], 0x20
	s_load_b32 s11, s[0:1], 0x28
	s_load_b32 s0, s[0:1], 0x34
	v_mov_b32_e32 v1, 0
	s_waitcnt lgkmcnt(0)
	s_and_b32 s1, s0, 0xffff
	s_delay_alu instid0(SALU_CYCLE_1)
	s_mul_i32 s11, s11, s1
	s_mul_i32 s15, s15, s1
	;; [unrolled: 1-line block ×4, first 2 shown]
	v_add3_u32 v0, s0, s15, v0
	s_mul_i32 s12, s11, 3
	s_delay_alu instid0(VALU_DEP_1) | instskip(SKIP_1) | instid1(VALU_DEP_2)
	v_lshlrev_b64 v[2:3], 2, v[0:1]
	v_add_nc_u32_e32 v0, s11, v0
	v_add_co_u32 v4, vcc_lo, s4, v2
	s_delay_alu instid0(VALU_DEP_3)
	v_add_co_ci_u32_e32 v5, vcc_lo, s5, v3, vcc_lo
	v_add_co_u32 v2, vcc_lo, s6, v2
	v_add_co_ci_u32_e32 v3, vcc_lo, s7, v3, vcc_lo
	global_load_b32 v4, v[4:5], off
	global_load_b32 v2, v[2:3], off
	s_waitcnt vmcnt(0)
	v_sub_f32_e32 v6, v4, v2
	v_lshlrev_b64 v[2:3], 2, v[0:1]
	v_add_nc_u32_e32 v0, s11, v0
	s_delay_alu instid0(VALU_DEP_2) | instskip(NEXT) | instid1(VALU_DEP_3)
	v_add_co_u32 v4, vcc_lo, s4, v2
	v_add_co_ci_u32_e32 v5, vcc_lo, s5, v3, vcc_lo
	v_add_co_u32 v2, vcc_lo, s6, v2
	v_add_co_ci_u32_e32 v3, vcc_lo, s7, v3, vcc_lo
	global_load_b32 v4, v[4:5], off
	global_load_b32 v2, v[2:3], off
	s_waitcnt vmcnt(0)
	v_sub_f32_e32 v2, v4, v2
	s_delay_alu instid0(VALU_DEP_1) | instskip(SKIP_2) | instid1(VALU_DEP_2)
	v_add_f32_e32 v6, v6, v2
	v_lshlrev_b64 v[2:3], 2, v[0:1]
	v_add_nc_u32_e32 v0, s11, v0
	v_add_co_u32 v4, vcc_lo, s4, v2
	s_delay_alu instid0(VALU_DEP_3)
	v_add_co_ci_u32_e32 v5, vcc_lo, s5, v3, vcc_lo
	v_add_co_u32 v2, vcc_lo, s6, v2
	v_add_co_ci_u32_e32 v3, vcc_lo, s7, v3, vcc_lo
	global_load_b32 v4, v[4:5], off
	global_load_b32 v2, v[2:3], off
	s_waitcnt vmcnt(0)
	v_sub_f32_e32 v2, v4, v2
	s_delay_alu instid0(VALU_DEP_1) | instskip(SKIP_2) | instid1(VALU_DEP_2)
	v_add_f32_e32 v6, v6, v2
	v_lshlrev_b64 v[2:3], 2, v[0:1]
	v_add_nc_u32_e32 v0, s1, v0
	v_add_co_u32 v4, vcc_lo, s4, v2
	s_delay_alu instid0(VALU_DEP_3)
	;; [unrolled: 13-line block ×3, first 2 shown]
	v_add_co_ci_u32_e32 v5, vcc_lo, s5, v3, vcc_lo
	v_add_co_u32 v2, vcc_lo, s6, v2
	v_add_co_ci_u32_e32 v3, vcc_lo, s7, v3, vcc_lo
	global_load_b32 v4, v[4:5], off
	global_load_b32 v2, v[2:3], off
	s_waitcnt vmcnt(0)
	v_sub_f32_e32 v6, v4, v2
	v_lshlrev_b64 v[2:3], 2, v[0:1]
	v_lshl_add_u32 v0, s11, 2, v0
	s_delay_alu instid0(VALU_DEP_2) | instskip(NEXT) | instid1(VALU_DEP_3)
	v_add_co_u32 v4, vcc_lo, s4, v2
	v_add_co_ci_u32_e32 v5, vcc_lo, s5, v3, vcc_lo
	v_add_co_u32 v2, vcc_lo, s6, v2
	v_add_co_ci_u32_e32 v3, vcc_lo, s7, v3, vcc_lo
	global_load_b32 v4, v[4:5], off
	global_load_b32 v2, v[2:3], off
	s_waitcnt vmcnt(0)
	v_sub_f32_e32 v2, v4, v2
	v_lshlrev_b64 v[4:5], 2, v[0:1]
	s_delay_alu instid0(VALU_DEP_2) | instskip(NEXT) | instid1(VALU_DEP_2)
	v_dual_add_f32 v3, v6, v2 :: v_dual_add_nc_u32 v0, s11, v0
	v_add_co_u32 v6, vcc_lo, s4, v4
	s_delay_alu instid0(VALU_DEP_3)
	v_add_co_ci_u32_e32 v7, vcc_lo, s5, v5, vcc_lo
	v_add_co_u32 v4, vcc_lo, s6, v4
	v_add_co_ci_u32_e32 v5, vcc_lo, s7, v5, vcc_lo
	global_load_b32 v2, v[6:7], off
	global_load_b32 v4, v[4:5], off
	s_waitcnt vmcnt(0)
	v_sub_f32_e32 v2, v2, v4
	v_lshlrev_b64 v[4:5], 2, v[0:1]
	s_delay_alu instid0(VALU_DEP_1) | instskip(NEXT) | instid1(VALU_DEP_2)
	v_add_co_u32 v6, vcc_lo, s4, v4
	v_add_co_ci_u32_e32 v7, vcc_lo, s5, v5, vcc_lo
	v_add_co_u32 v4, vcc_lo, s6, v4
	v_add_co_ci_u32_e32 v5, vcc_lo, s7, v5, vcc_lo
	global_load_b32 v6, v[6:7], off
	global_load_b32 v4, v[4:5], off
	s_waitcnt vmcnt(0)
	v_sub_f32_e32 v4, v6, v4
	s_delay_alu instid0(VALU_DEP_1) | instskip(SKIP_2) | instid1(VALU_DEP_1)
	v_add_f32_e32 v2, v2, v4
	v_mad_u64_u32 v[4:5], null, s11, -11, v[0:1]
	v_mov_b32_e32 v5, v1
	v_lshlrev_b64 v[5:6], 2, v[4:5]
	s_delay_alu instid0(VALU_DEP_1) | instskip(NEXT) | instid1(VALU_DEP_2)
	v_add_co_u32 v7, vcc_lo, s4, v5
	v_add_co_ci_u32_e32 v8, vcc_lo, s5, v6, vcc_lo
	v_add_co_u32 v5, vcc_lo, s6, v5
	v_add_co_ci_u32_e32 v6, vcc_lo, s7, v6, vcc_lo
	global_load_b32 v0, v[7:8], off
	global_load_b32 v5, v[5:6], off
	s_waitcnt vmcnt(0)
	v_sub_f32_e32 v0, v0, v5
	s_delay_alu instid0(VALU_DEP_1) | instskip(SKIP_1) | instid1(VALU_DEP_1)
	v_sub_f32_e32 v8, v9, v0
	v_add_nc_u32_e32 v0, s11, v4
	v_lshlrev_b64 v[4:5], 2, v[0:1]
	v_add_nc_u32_e32 v0, s11, v0
	s_delay_alu instid0(VALU_DEP_2) | instskip(NEXT) | instid1(VALU_DEP_3)
	v_add_co_u32 v6, vcc_lo, s4, v4
	v_add_co_ci_u32_e32 v7, vcc_lo, s5, v5, vcc_lo
	v_add_co_u32 v4, vcc_lo, s6, v4
	v_add_co_ci_u32_e32 v5, vcc_lo, s7, v5, vcc_lo
	global_load_b32 v6, v[6:7], off
	global_load_b32 v4, v[4:5], off
	s_waitcnt vmcnt(0)
	v_sub_f32_e32 v4, v6, v4
	s_delay_alu instid0(VALU_DEP_1) | instskip(SKIP_2) | instid1(VALU_DEP_2)
	v_sub_f32_e32 v8, v8, v4
	v_lshlrev_b64 v[4:5], 2, v[0:1]
	v_add_nc_u32_e32 v0, s11, v0
	v_add_co_u32 v6, vcc_lo, s4, v4
	s_delay_alu instid0(VALU_DEP_3)
	v_add_co_ci_u32_e32 v7, vcc_lo, s5, v5, vcc_lo
	v_add_co_u32 v4, vcc_lo, s6, v4
	v_add_co_ci_u32_e32 v5, vcc_lo, s7, v5, vcc_lo
	global_load_b32 v6, v[6:7], off
	global_load_b32 v4, v[4:5], off
	s_waitcnt vmcnt(0)
	v_sub_f32_e32 v4, v6, v4
	s_delay_alu instid0(VALU_DEP_1) | instskip(SKIP_2) | instid1(VALU_DEP_2)
	v_sub_f32_e32 v8, v8, v4
	v_lshlrev_b64 v[4:5], 2, v[0:1]
	v_add_nc_u32_e32 v0, s11, v0
	v_add_co_u32 v6, vcc_lo, s4, v4
	s_delay_alu instid0(VALU_DEP_3)
	;; [unrolled: 13-line block ×3, first 2 shown]
	v_add_co_ci_u32_e32 v7, vcc_lo, s5, v5, vcc_lo
	v_add_co_u32 v4, vcc_lo, s6, v4
	v_add_co_ci_u32_e32 v5, vcc_lo, s7, v5, vcc_lo
	global_load_b32 v6, v[6:7], off
	global_load_b32 v4, v[4:5], off
	s_waitcnt vmcnt(0)
	v_sub_f32_e32 v4, v6, v4
	s_delay_alu instid0(VALU_DEP_1) | instskip(NEXT) | instid1(VALU_DEP_1)
	v_sub_f32_e32 v4, v8, v4
	v_sub_f32_e32 v4, v4, v3
	s_delay_alu instid0(VALU_DEP_1) | instskip(SKIP_2) | instid1(VALU_DEP_2)
	v_sub_f32_e32 v8, v4, v3
	v_lshlrev_b64 v[4:5], 2, v[0:1]
	v_lshl_add_u32 v0, s11, 1, v0
	v_add_co_u32 v6, vcc_lo, s4, v4
	s_delay_alu instid0(VALU_DEP_3)
	v_add_co_ci_u32_e32 v7, vcc_lo, s5, v5, vcc_lo
	v_add_co_u32 v4, vcc_lo, s6, v4
	v_add_co_ci_u32_e32 v5, vcc_lo, s7, v5, vcc_lo
	global_load_b32 v6, v[6:7], off
	global_load_b32 v4, v[4:5], off
	s_waitcnt vmcnt(0)
	v_sub_f32_e32 v6, v6, v4
	v_lshlrev_b64 v[4:5], 2, v[0:1]
	v_add_nc_u32_e32 v0, s1, v0
	s_lshl_b32 s1, s11, 3
	s_delay_alu instid0(VALU_DEP_3) | instskip(NEXT) | instid1(VALU_DEP_3)
	v_add_f32_e32 v9, v6, v8
	v_add_co_u32 v7, vcc_lo, s4, v4
	s_delay_alu instid0(VALU_DEP_4)
	v_add_co_ci_u32_e32 v8, vcc_lo, s5, v5, vcc_lo
	v_add_co_u32 v4, vcc_lo, s6, v4
	v_add_co_ci_u32_e32 v5, vcc_lo, s7, v5, vcc_lo
	global_load_b32 v7, v[7:8], off
	global_load_b32 v4, v[4:5], off
	s_waitcnt vmcnt(0)
	v_sub_f32_e32 v4, v7, v4
	v_lshlrev_b64 v[7:8], 2, v[0:1]
	s_delay_alu instid0(VALU_DEP_2) | instskip(NEXT) | instid1(VALU_DEP_2)
	v_add_f32_e32 v5, v9, v4
	v_add_co_u32 v9, vcc_lo, s4, v7
	s_delay_alu instid0(VALU_DEP_3)
	v_add_co_ci_u32_e32 v10, vcc_lo, s5, v8, vcc_lo
	v_add_co_u32 v7, vcc_lo, s6, v7
	v_add_co_ci_u32_e32 v8, vcc_lo, s7, v8, vcc_lo
	global_load_b32 v9, v[9:10], off
	v_add_f32_e32 v5, v2, v5
	global_load_b32 v7, v[7:8], off
	s_waitcnt vmcnt(0)
	v_sub_f32_e32 v7, v9, v7
	s_delay_alu instid0(VALU_DEP_1) | instskip(SKIP_2) | instid1(VALU_DEP_1)
	v_sub_f32_e32 v5, v5, v7
	v_mad_u64_u32 v[7:8], null, s11, 14, v[0:1]
	v_mov_b32_e32 v8, v1
	v_lshlrev_b64 v[8:9], 2, v[7:8]
	s_delay_alu instid0(VALU_DEP_1) | instskip(NEXT) | instid1(VALU_DEP_2)
	v_add_co_u32 v10, vcc_lo, s4, v8
	v_add_co_ci_u32_e32 v11, vcc_lo, s5, v9, vcc_lo
	v_add_co_u32 v8, vcc_lo, s6, v8
	v_add_co_ci_u32_e32 v9, vcc_lo, s7, v9, vcc_lo
	global_load_b32 v0, v[10:11], off
	global_load_b32 v8, v[8:9], off
	s_waitcnt vmcnt(0)
	v_sub_f32_e32 v0, v0, v8
	s_delay_alu instid0(VALU_DEP_1) | instskip(NEXT) | instid1(VALU_DEP_1)
	v_dual_add_f32 v5, v5, v0 :: v_dual_add_nc_u32 v0, s1, v7
	v_lshlrev_b64 v[7:8], 2, v[0:1]
	s_delay_alu instid0(VALU_DEP_1) | instskip(NEXT) | instid1(VALU_DEP_2)
	v_add_co_u32 v9, vcc_lo, s4, v7
	v_add_co_ci_u32_e32 v10, vcc_lo, s5, v8, vcc_lo
	v_add_co_u32 v7, vcc_lo, s6, v7
	v_add_co_ci_u32_e32 v8, vcc_lo, s7, v8, vcc_lo
	global_load_b32 v9, v[9:10], off
	global_load_b32 v7, v[7:8], off
	s_waitcnt vmcnt(0)
	v_sub_f32_e32 v7, v9, v7
	s_delay_alu instid0(VALU_DEP_1) | instskip(SKIP_2) | instid1(VALU_DEP_1)
	v_sub_f32_e32 v5, v5, v7
	v_mad_u64_u32 v[7:8], null, s11, 20, v[0:1]
	v_mov_b32_e32 v8, v1
	v_lshlrev_b64 v[8:9], 2, v[7:8]
	s_delay_alu instid0(VALU_DEP_1) | instskip(NEXT) | instid1(VALU_DEP_2)
	v_add_co_u32 v10, vcc_lo, s4, v8
	v_add_co_ci_u32_e32 v11, vcc_lo, s5, v9, vcc_lo
	v_add_co_u32 v8, vcc_lo, s6, v8
	v_add_co_ci_u32_e32 v9, vcc_lo, s7, v9, vcc_lo
	global_load_b32 v0, v[10:11], off
	global_load_b32 v8, v[8:9], off
	s_waitcnt vmcnt(0)
	v_sub_f32_e32 v0, v0, v8
	s_delay_alu instid0(VALU_DEP_1) | instskip(NEXT) | instid1(VALU_DEP_1)
	v_dual_add_f32 v11, v5, v0 :: v_dual_add_nc_u32 v0, s11, v7
	v_lshlrev_b64 v[7:8], 2, v[0:1]
	v_add_nc_u32_e32 v0, s1, v0
	s_delay_alu instid0(VALU_DEP_2) | instskip(NEXT) | instid1(VALU_DEP_3)
	v_add_co_u32 v9, vcc_lo, s4, v7
	v_add_co_ci_u32_e32 v10, vcc_lo, s5, v8, vcc_lo
	v_add_co_u32 v7, vcc_lo, s6, v7
	v_add_co_ci_u32_e32 v8, vcc_lo, s7, v8, vcc_lo
	global_load_b32 v5, v[9:10], off
	global_load_b32 v7, v[7:8], off
	s_waitcnt vmcnt(0)
	v_sub_f32_e32 v5, v5, v7
	v_lshlrev_b64 v[7:8], 2, v[0:1]
	s_delay_alu instid0(VALU_DEP_2) | instskip(NEXT) | instid1(VALU_DEP_2)
	v_dual_sub_f32 v11, v11, v5 :: v_dual_add_nc_u32 v0, s11, v0
	v_add_co_u32 v9, vcc_lo, s4, v7
	s_delay_alu instid0(VALU_DEP_3)
	v_add_co_ci_u32_e32 v10, vcc_lo, s5, v8, vcc_lo
	v_add_co_u32 v7, vcc_lo, s6, v7
	v_add_co_ci_u32_e32 v8, vcc_lo, s7, v8, vcc_lo
	global_load_b32 v9, v[9:10], off
	global_load_b32 v7, v[7:8], off
	s_waitcnt vmcnt(0)
	v_sub_f32_e32 v7, v9, v7
	s_delay_alu instid0(VALU_DEP_1) | instskip(SKIP_2) | instid1(VALU_DEP_2)
	v_sub_f32_e32 v11, v11, v7
	v_lshlrev_b64 v[7:8], 2, v[0:1]
	v_add_nc_u32_e32 v0, s11, v0
	v_add_co_u32 v9, vcc_lo, s4, v7
	s_delay_alu instid0(VALU_DEP_3)
	v_add_co_ci_u32_e32 v10, vcc_lo, s5, v8, vcc_lo
	v_add_co_u32 v7, vcc_lo, s6, v7
	v_add_co_ci_u32_e32 v8, vcc_lo, s7, v8, vcc_lo
	global_load_b32 v9, v[9:10], off
	global_load_b32 v7, v[7:8], off
	s_waitcnt vmcnt(0)
	v_sub_f32_e32 v7, v9, v7
	s_delay_alu instid0(VALU_DEP_1) | instskip(SKIP_1) | instid1(VALU_DEP_1)
	v_sub_f32_e32 v11, v11, v7
	v_lshlrev_b64 v[7:8], 2, v[0:1]
	v_add_co_u32 v9, vcc_lo, s4, v7
	s_delay_alu instid0(VALU_DEP_2)
	v_add_co_ci_u32_e32 v10, vcc_lo, s5, v8, vcc_lo
	v_add_co_u32 v7, vcc_lo, s6, v7
	v_add_co_ci_u32_e32 v8, vcc_lo, s7, v8, vcc_lo
	global_load_b32 v9, v[9:10], off
	global_load_b32 v7, v[7:8], off
	s_waitcnt vmcnt(0)
	v_sub_f32_e32 v7, v9, v7
	v_mad_u64_u32 v[8:9], null, s11, 15, v[0:1]
	v_mov_b32_e32 v9, v1
	s_delay_alu instid0(VALU_DEP_3) | instskip(NEXT) | instid1(VALU_DEP_2)
	v_add_f32_e32 v13, v11, v7
	v_lshlrev_b64 v[9:10], 2, v[8:9]
	s_delay_alu instid0(VALU_DEP_1) | instskip(NEXT) | instid1(VALU_DEP_2)
	v_add_co_u32 v11, vcc_lo, s4, v9
	v_add_co_ci_u32_e32 v12, vcc_lo, s5, v10, vcc_lo
	v_add_co_u32 v9, vcc_lo, s6, v9
	v_add_co_ci_u32_e32 v10, vcc_lo, s7, v10, vcc_lo
	global_load_b32 v0, v[11:12], off
	global_load_b32 v9, v[9:10], off
	s_waitcnt vmcnt(0)
	v_sub_f32_e32 v0, v0, v9
	v_mad_u64_u32 v[9:10], null, s11, 37, v[8:9]
	v_mov_b32_e32 v10, v1
	s_delay_alu instid0(VALU_DEP_3) | instskip(NEXT) | instid1(VALU_DEP_2)
	v_add_f32_e32 v0, v13, v0
	v_lshlrev_b64 v[10:11], 2, v[9:10]
	s_delay_alu instid0(VALU_DEP_1) | instskip(NEXT) | instid1(VALU_DEP_2)
	v_add_co_u32 v12, vcc_lo, s4, v10
	v_add_co_ci_u32_e32 v13, vcc_lo, s5, v11, vcc_lo
	v_add_co_u32 v10, vcc_lo, s6, v10
	v_add_co_ci_u32_e32 v11, vcc_lo, s7, v11, vcc_lo
	global_load_b32 v8, v[12:13], off
	global_load_b32 v10, v[10:11], off
	s_waitcnt vmcnt(0)
	v_sub_f32_e32 v8, v8, v10
	s_delay_alu instid0(VALU_DEP_1) | instskip(SKIP_2) | instid1(VALU_DEP_1)
	v_add_f32_e32 v12, v0, v8
	v_add_nc_u32_e32 v0, s12, v9
	s_mul_i32 s12, s11, 9
	v_lshlrev_b64 v[8:9], 2, v[0:1]
	v_add_nc_u32_e32 v0, s11, v0
	s_delay_alu instid0(VALU_DEP_2) | instskip(NEXT) | instid1(VALU_DEP_3)
	v_add_co_u32 v10, vcc_lo, s4, v8
	v_add_co_ci_u32_e32 v11, vcc_lo, s5, v9, vcc_lo
	v_add_co_u32 v8, vcc_lo, s6, v8
	v_add_co_ci_u32_e32 v9, vcc_lo, s7, v9, vcc_lo
	global_load_b32 v10, v[10:11], off
	global_load_b32 v8, v[8:9], off
	s_waitcnt vmcnt(0)
	v_sub_f32_e32 v8, v10, v8
	s_delay_alu instid0(VALU_DEP_1) | instskip(SKIP_2) | instid1(VALU_DEP_2)
	v_sub_f32_e32 v12, v12, v8
	v_lshlrev_b64 v[8:9], 2, v[0:1]
	v_add_nc_u32_e32 v0, s0, v0
	v_add_co_u32 v10, vcc_lo, s4, v8
	s_delay_alu instid0(VALU_DEP_3)
	v_add_co_ci_u32_e32 v11, vcc_lo, s5, v9, vcc_lo
	v_add_co_u32 v8, vcc_lo, s6, v8
	v_add_co_ci_u32_e32 v9, vcc_lo, s7, v9, vcc_lo
	global_load_b32 v10, v[10:11], off
	global_load_b32 v8, v[8:9], off
	s_waitcnt vmcnt(0)
	v_sub_f32_e32 v8, v10, v8
	v_lshlrev_b64 v[9:10], 2, v[0:1]
	v_add_nc_u32_e32 v0, s12, v0
	s_delay_alu instid0(VALU_DEP_3) | instskip(NEXT) | instid1(VALU_DEP_3)
	v_add_f32_e32 v13, v12, v8
	v_add_co_u32 v11, vcc_lo, s4, v9
	s_delay_alu instid0(VALU_DEP_4)
	v_add_co_ci_u32_e32 v12, vcc_lo, s5, v10, vcc_lo
	v_add_co_u32 v9, vcc_lo, s6, v9
	v_add_co_ci_u32_e32 v10, vcc_lo, s7, v10, vcc_lo
	global_load_b32 v11, v[11:12], off
	global_load_b32 v9, v[9:10], off
	s_waitcnt vmcnt(0)
	v_sub_f32_e32 v9, v11, v9
	s_delay_alu instid0(VALU_DEP_1) | instskip(SKIP_2) | instid1(VALU_DEP_2)
	v_add_f32_e32 v13, v13, v9
	v_lshlrev_b64 v[9:10], 2, v[0:1]
	v_add_nc_u32_e32 v0, s11, v0
	v_add_co_u32 v11, vcc_lo, s4, v9
	s_delay_alu instid0(VALU_DEP_3)
	v_add_co_ci_u32_e32 v12, vcc_lo, s5, v10, vcc_lo
	v_add_co_u32 v9, vcc_lo, s6, v9
	v_add_co_ci_u32_e32 v10, vcc_lo, s7, v10, vcc_lo
	global_load_b32 v11, v[11:12], off
	global_load_b32 v9, v[9:10], off
	s_waitcnt vmcnt(0)
	v_sub_f32_e32 v9, v11, v9
	s_delay_alu instid0(VALU_DEP_1) | instskip(SKIP_3) | instid1(VALU_DEP_2)
	v_add_f32_e32 v13, v13, v9
	v_lshlrev_b64 v[9:10], 2, v[0:1]
	v_add_nc_u32_e32 v0, s0, v0
	s_load_b64 s[0:1], s[8:9], 0x18
	v_add_co_u32 v11, vcc_lo, s4, v9
	s_delay_alu instid0(VALU_DEP_3)
	v_add_co_ci_u32_e32 v12, vcc_lo, s5, v10, vcc_lo
	v_add_co_u32 v9, vcc_lo, s6, v9
	v_add_co_ci_u32_e32 v10, vcc_lo, s7, v10, vcc_lo
	global_load_b32 v11, v[11:12], off
	global_load_b32 v9, v[9:10], off
	s_waitcnt vmcnt(0)
	v_sub_f32_e32 v9, v11, v9
	s_delay_alu instid0(VALU_DEP_1) | instskip(SKIP_2) | instid1(VALU_DEP_2)
	v_sub_f32_e32 v13, v13, v9
	v_lshlrev_b64 v[9:10], 2, v[0:1]
	v_add_nc_u32_e32 v0, s11, v0
	v_add_co_u32 v11, vcc_lo, s4, v9
	s_delay_alu instid0(VALU_DEP_3)
	v_add_co_ci_u32_e32 v12, vcc_lo, s5, v10, vcc_lo
	v_add_co_u32 v9, vcc_lo, s6, v9
	v_add_co_ci_u32_e32 v10, vcc_lo, s7, v10, vcc_lo
	global_load_b32 v11, v[11:12], off
	global_load_b32 v9, v[9:10], off
	s_waitcnt vmcnt(0)
	v_sub_f32_e32 v9, v11, v9
	s_delay_alu instid0(VALU_DEP_1) | instskip(SKIP_2) | instid1(VALU_DEP_2)
	v_add_f32_e32 v13, v13, v9
	v_lshlrev_b64 v[9:10], 2, v[0:1]
	v_add_nc_u32_e32 v0, s11, v0
	v_add_co_u32 v11, vcc_lo, s4, v9
	s_delay_alu instid0(VALU_DEP_3)
	v_add_co_ci_u32_e32 v12, vcc_lo, s5, v10, vcc_lo
	v_add_co_u32 v9, vcc_lo, s6, v9
	v_add_co_ci_u32_e32 v10, vcc_lo, s7, v10, vcc_lo
	global_load_b32 v11, v[11:12], off
	global_load_b32 v9, v[9:10], off
	s_waitcnt vmcnt(0)
	v_sub_f32_e32 v9, v11, v9
	s_delay_alu instid0(VALU_DEP_1) | instskip(SKIP_2) | instid1(VALU_DEP_2)
	v_sub_f32_e32 v13, v13, v9
	v_lshlrev_b64 v[9:10], 2, v[0:1]
	v_add_nc_u32_e32 v0, s11, v0
	v_add_co_u32 v11, vcc_lo, s4, v9
	s_delay_alu instid0(VALU_DEP_3)
	v_add_co_ci_u32_e32 v12, vcc_lo, s5, v10, vcc_lo
	v_add_co_u32 v9, vcc_lo, s6, v9
	v_add_co_ci_u32_e32 v10, vcc_lo, s7, v10, vcc_lo
	global_load_b32 v11, v[11:12], off
	global_load_b32 v9, v[9:10], off
	s_waitcnt vmcnt(0)
	v_sub_f32_e32 v9, v11, v9
	v_lshlrev_b64 v[10:11], 2, v[0:1]
	v_add_nc_u32_e32 v0, s11, v0
	s_delay_alu instid0(VALU_DEP_3) | instskip(NEXT) | instid1(VALU_DEP_3)
	v_sub_f32_e32 v14, v13, v9
	v_add_co_u32 v12, vcc_lo, s4, v10
	s_delay_alu instid0(VALU_DEP_4)
	v_add_co_ci_u32_e32 v13, vcc_lo, s5, v11, vcc_lo
	v_add_co_u32 v10, vcc_lo, s6, v10
	v_add_co_ci_u32_e32 v11, vcc_lo, s7, v11, vcc_lo
	global_load_b32 v12, v[12:13], off
	global_load_b32 v10, v[10:11], off
	s_waitcnt vmcnt(0)
	v_sub_f32_e32 v10, v12, v10
	s_delay_alu instid0(VALU_DEP_1) | instskip(SKIP_2) | instid1(VALU_DEP_2)
	v_sub_f32_e32 v14, v14, v10
	v_lshlrev_b64 v[10:11], 2, v[0:1]
	v_add_nc_u32_e32 v0, s12, v0
	v_add_co_u32 v12, vcc_lo, s4, v10
	s_delay_alu instid0(VALU_DEP_3)
	v_add_co_ci_u32_e32 v13, vcc_lo, s5, v11, vcc_lo
	v_add_co_u32 v10, vcc_lo, s6, v10
	v_add_co_ci_u32_e32 v11, vcc_lo, s7, v11, vcc_lo
	global_load_b32 v12, v[12:13], off
	global_load_b32 v10, v[10:11], off
	s_waitcnt vmcnt(0)
	v_sub_f32_e32 v15, v12, v10
	v_lshlrev_b64 v[10:11], 2, v[0:1]
	v_add_nc_u32_e32 v0, s11, v0
	s_delay_alu instid0(VALU_DEP_3) | instskip(NEXT) | instid1(VALU_DEP_3)
	v_add_f32_e32 v14, v14, v15
	v_add_co_u32 v12, vcc_lo, s4, v10
	s_delay_alu instid0(VALU_DEP_4)
	v_add_co_ci_u32_e32 v13, vcc_lo, s5, v11, vcc_lo
	v_add_co_u32 v10, vcc_lo, s6, v10
	v_add_co_ci_u32_e32 v11, vcc_lo, s7, v11, vcc_lo
	global_load_b32 v12, v[12:13], off
	global_load_b32 v10, v[10:11], off
	s_waitcnt vmcnt(0)
	v_sub_f32_e32 v10, v12, v10
	s_delay_alu instid0(VALU_DEP_1) | instskip(SKIP_2) | instid1(VALU_DEP_2)
	v_sub_f32_e32 v14, v14, v10
	v_lshlrev_b64 v[10:11], 2, v[0:1]
	v_add_nc_u32_e32 v0, s12, v0
	v_add_co_u32 v12, vcc_lo, s4, v10
	s_delay_alu instid0(VALU_DEP_3)
	v_add_co_ci_u32_e32 v13, vcc_lo, s5, v11, vcc_lo
	v_add_co_u32 v10, vcc_lo, s6, v10
	v_add_co_ci_u32_e32 v11, vcc_lo, s7, v11, vcc_lo
	global_load_b32 v12, v[12:13], off
	global_load_b32 v10, v[10:11], off
	s_waitcnt vmcnt(0)
	v_sub_f32_e32 v10, v12, v10
	s_delay_alu instid0(VALU_DEP_1) | instskip(SKIP_1) | instid1(VALU_DEP_1)
	v_sub_f32_e32 v14, v14, v10
	v_lshlrev_b64 v[10:11], 2, v[0:1]
	v_add_co_u32 v12, vcc_lo, s4, v10
	s_delay_alu instid0(VALU_DEP_2)
	v_add_co_ci_u32_e32 v13, vcc_lo, s5, v11, vcc_lo
	v_add_co_u32 v10, vcc_lo, s6, v10
	v_add_co_ci_u32_e32 v11, vcc_lo, s7, v11, vcc_lo
	global_load_b32 v12, v[12:13], off
	global_load_b32 v10, v[10:11], off
	s_waitcnt vmcnt(0)
	v_sub_f32_e32 v16, v12, v10
	v_mad_u64_u32 v[10:11], null, s11, 6, v[0:1]
	v_mov_b32_e32 v11, v1
	s_delay_alu instid0(VALU_DEP_3) | instskip(NEXT) | instid1(VALU_DEP_2)
	v_sub_f32_e32 v17, v14, v16
	v_lshlrev_b64 v[11:12], 2, v[10:11]
	s_delay_alu instid0(VALU_DEP_1) | instskip(NEXT) | instid1(VALU_DEP_2)
	v_add_co_u32 v13, vcc_lo, s4, v11
	v_add_co_ci_u32_e32 v14, vcc_lo, s5, v12, vcc_lo
	v_add_co_u32 v11, vcc_lo, s6, v11
	v_add_co_ci_u32_e32 v12, vcc_lo, s7, v12, vcc_lo
	global_load_b32 v0, v[13:14], off
	global_load_b32 v11, v[11:12], off
	s_waitcnt vmcnt(0)
	v_sub_f32_e32 v0, v0, v11
	s_delay_alu instid0(VALU_DEP_1) | instskip(SKIP_1) | instid1(VALU_DEP_1)
	v_add_f32_e32 v14, v17, v0
	v_add_nc_u32_e32 v0, s11, v10
	v_lshlrev_b64 v[10:11], 2, v[0:1]
	s_delay_alu instid0(VALU_DEP_1) | instskip(NEXT) | instid1(VALU_DEP_2)
	v_add_co_u32 v12, vcc_lo, s4, v10
	v_add_co_ci_u32_e32 v13, vcc_lo, s5, v11, vcc_lo
	v_add_co_u32 v10, vcc_lo, s6, v10
	v_add_co_ci_u32_e32 v11, vcc_lo, s7, v11, vcc_lo
	global_load_b32 v12, v[12:13], off
	global_load_b32 v10, v[10:11], off
	s_waitcnt vmcnt(0)
	v_sub_f32_e32 v10, v12, v10
	s_delay_alu instid0(VALU_DEP_1) | instskip(NEXT) | instid1(VALU_DEP_1)
	v_sub_f32_e32 v10, v14, v10
	v_mul_f32_e32 v10, s10, v10
	s_waitcnt lgkmcnt(0)
	s_delay_alu instid0(VALU_DEP_1) | instskip(SKIP_2) | instid1(VALU_DEP_1)
	v_mul_f32_e32 v13, s0, v10
	v_mad_u64_u32 v[10:11], null, 0xffffff3b, s11, v[0:1]
	v_mov_b32_e32 v11, v1
	v_lshlrev_b64 v[11:12], 2, v[10:11]
	v_add_nc_u32_e32 v0, s12, v10
	s_delay_alu instid0(VALU_DEP_2) | instskip(NEXT) | instid1(VALU_DEP_3)
	v_add_co_u32 v11, vcc_lo, s2, v11
	v_add_co_ci_u32_e32 v12, vcc_lo, s3, v12, vcc_lo
	global_store_b32 v[11:12], v13, off
	v_lshlrev_b64 v[10:11], 2, v[0:1]
	v_add_nc_u32_e32 v0, s12, v0
	s_delay_alu instid0(VALU_DEP_2) | instskip(NEXT) | instid1(VALU_DEP_3)
	v_add_co_u32 v12, vcc_lo, s4, v10
	v_add_co_ci_u32_e32 v13, vcc_lo, s5, v11, vcc_lo
	v_add_co_u32 v10, vcc_lo, s6, v10
	v_add_co_ci_u32_e32 v11, vcc_lo, s7, v11, vcc_lo
	global_load_b32 v12, v[12:13], off
	global_load_b32 v10, v[10:11], off
	s_waitcnt vmcnt(0)
	v_sub_f32_e32 v10, v12, v10
	s_delay_alu instid0(VALU_DEP_1) | instskip(SKIP_1) | instid1(VALU_DEP_2)
	v_add_f32_e32 v3, v3, v10
	v_lshlrev_b64 v[10:11], 2, v[0:1]
	v_sub_f32_e32 v3, v3, v6
	s_delay_alu instid0(VALU_DEP_2) | instskip(NEXT) | instid1(VALU_DEP_3)
	v_add_co_u32 v12, vcc_lo, s4, v10
	v_add_co_ci_u32_e32 v13, vcc_lo, s5, v11, vcc_lo
	v_add_co_u32 v10, vcc_lo, s6, v10
	v_add_co_ci_u32_e32 v11, vcc_lo, s7, v11, vcc_lo
	global_load_b32 v6, v[12:13], off
	global_load_b32 v10, v[10:11], off
	s_waitcnt vmcnt(0)
	v_sub_f32_e32 v6, v6, v10
	s_delay_alu instid0(VALU_DEP_1) | instskip(NEXT) | instid1(VALU_DEP_1)
	v_sub_f32_e32 v3, v3, v6
	v_sub_f32_e32 v3, v3, v4
	s_delay_alu instid0(VALU_DEP_1) | instskip(NEXT) | instid1(VALU_DEP_1)
	v_sub_f32_e32 v2, v3, v2
	v_add_f32_e32 v2, v5, v2
	s_delay_alu instid0(VALU_DEP_1) | instskip(NEXT) | instid1(VALU_DEP_1)
	v_sub_f32_e32 v2, v2, v7
	v_sub_f32_e32 v2, v2, v8
	s_delay_alu instid0(VALU_DEP_1) | instskip(NEXT) | instid1(VALU_DEP_1)
	v_add_f32_e32 v2, v9, v2
	v_sub_f32_e32 v2, v2, v15
	s_delay_alu instid0(VALU_DEP_1) | instskip(NEXT) | instid1(VALU_DEP_1)
	v_add_f32_e32 v2, v16, v2
	v_mul_f32_e32 v2, s10, v2
	s_delay_alu instid0(VALU_DEP_1) | instskip(SKIP_2) | instid1(VALU_DEP_1)
	v_mul_f32_e32 v4, s1, v2
	v_mad_u64_u32 v[2:3], null, 0xffffffef, s11, v[0:1]
	v_mov_b32_e32 v3, v1
	v_lshlrev_b64 v[0:1], 2, v[2:3]
	s_delay_alu instid0(VALU_DEP_1) | instskip(NEXT) | instid1(VALU_DEP_2)
	v_add_co_u32 v0, vcc_lo, s2, v0
	v_add_co_ci_u32_e32 v1, vcc_lo, s3, v1, vcc_lo
	global_store_b32 v[0:1], v4, off
	s_nop 0
	s_sendmsg sendmsg(MSG_DEALLOC_VGPRS)
	s_endpgm
	.section	.rodata,"a",@progbits
	.p2align	6, 0x0
	.amdhsa_kernel _Z14rdwdot8_kernelIfEvPKT_S2_PS0_S0_S2_
		.amdhsa_group_segment_fixed_size 0
		.amdhsa_private_segment_fixed_size 0
		.amdhsa_kernarg_size 296
		.amdhsa_user_sgpr_count 15
		.amdhsa_user_sgpr_dispatch_ptr 0
		.amdhsa_user_sgpr_queue_ptr 0
		.amdhsa_user_sgpr_kernarg_segment_ptr 1
		.amdhsa_user_sgpr_dispatch_id 0
		.amdhsa_user_sgpr_private_segment_size 0
		.amdhsa_wavefront_size32 1
		.amdhsa_uses_dynamic_stack 0
		.amdhsa_enable_private_segment 0
		.amdhsa_system_sgpr_workgroup_id_x 1
		.amdhsa_system_sgpr_workgroup_id_y 0
		.amdhsa_system_sgpr_workgroup_id_z 0
		.amdhsa_system_sgpr_workgroup_info 0
		.amdhsa_system_vgpr_workitem_id 0
		.amdhsa_next_free_vgpr 18
		.amdhsa_next_free_sgpr 16
		.amdhsa_reserve_vcc 1
		.amdhsa_float_round_mode_32 0
		.amdhsa_float_round_mode_16_64 0
		.amdhsa_float_denorm_mode_32 3
		.amdhsa_float_denorm_mode_16_64 3
		.amdhsa_dx10_clamp 1
		.amdhsa_ieee_mode 1
		.amdhsa_fp16_overflow 0
		.amdhsa_workgroup_processor_mode 1
		.amdhsa_memory_ordered 1
		.amdhsa_forward_progress 0
		.amdhsa_shared_vgpr_count 0
		.amdhsa_exception_fp_ieee_invalid_op 0
		.amdhsa_exception_fp_denorm_src 0
		.amdhsa_exception_fp_ieee_div_zero 0
		.amdhsa_exception_fp_ieee_overflow 0
		.amdhsa_exception_fp_ieee_underflow 0
		.amdhsa_exception_fp_ieee_inexact 0
		.amdhsa_exception_int_div_zero 0
	.end_amdhsa_kernel
	.section	.text._Z14rdwdot8_kernelIfEvPKT_S2_PS0_S0_S2_,"axG",@progbits,_Z14rdwdot8_kernelIfEvPKT_S2_PS0_S0_S2_,comdat
.Lfunc_end24:
	.size	_Z14rdwdot8_kernelIfEvPKT_S2_PS0_S0_S2_, .Lfunc_end24-_Z14rdwdot8_kernelIfEvPKT_S2_PS0_S0_S2_
                                        ; -- End function
	.section	.AMDGPU.csdata,"",@progbits
; Kernel info:
; codeLenInByte = 3376
; NumSgprs: 18
; NumVgprs: 18
; ScratchSize: 0
; MemoryBound: 0
; FloatMode: 240
; IeeeMode: 1
; LDSByteSize: 0 bytes/workgroup (compile time only)
; SGPRBlocks: 2
; VGPRBlocks: 2
; NumSGPRsForWavesPerEU: 18
; NumVGPRsForWavesPerEU: 18
; Occupancy: 16
; WaveLimiterHint : 0
; COMPUTE_PGM_RSRC2:SCRATCH_EN: 0
; COMPUTE_PGM_RSRC2:USER_SGPR: 15
; COMPUTE_PGM_RSRC2:TRAP_HANDLER: 0
; COMPUTE_PGM_RSRC2:TGID_X_EN: 1
; COMPUTE_PGM_RSRC2:TGID_Y_EN: 0
; COMPUTE_PGM_RSRC2:TGID_Z_EN: 0
; COMPUTE_PGM_RSRC2:TIDIG_COMP_CNT: 0
	.section	.text._Z14rdwdot9_kernelIfEvPKT_S2_PS0_S0_S2_,"axG",@progbits,_Z14rdwdot9_kernelIfEvPKT_S2_PS0_S0_S2_,comdat
	.protected	_Z14rdwdot9_kernelIfEvPKT_S2_PS0_S0_S2_ ; -- Begin function _Z14rdwdot9_kernelIfEvPKT_S2_PS0_S0_S2_
	.globl	_Z14rdwdot9_kernelIfEvPKT_S2_PS0_S0_S2_
	.p2align	8
	.type	_Z14rdwdot9_kernelIfEvPKT_S2_PS0_S0_S2_,@function
_Z14rdwdot9_kernelIfEvPKT_S2_PS0_S0_S2_: ; @_Z14rdwdot9_kernelIfEvPKT_S2_PS0_S0_S2_
; %bb.0:
	s_clause 0x5
	s_load_b128 s[4:7], s[0:1], 0x0
	s_load_b64 s[2:3], s[0:1], 0x10
	s_load_b32 s10, s[0:1], 0x18
	s_load_b64 s[8:9], s[0:1], 0x20
	s_load_b32 s11, s[0:1], 0x28
	s_load_b32 s0, s[0:1], 0x34
	s_waitcnt lgkmcnt(0)
	s_and_b32 s1, s0, 0xffff
	s_delay_alu instid0(SALU_CYCLE_1) | instskip(SKIP_1) | instid1(SALU_CYCLE_1)
	v_mad_u64_u32 v[3:4], null, s15, s1, v[0:1]
	s_mul_i32 s0, s11, s1
	s_mul_i32 s14, s0, 5
	;; [unrolled: 1-line block ×4, first 2 shown]
	s_lshl_b32 s13, s0, 2
	s_delay_alu instid0(VALU_DEP_1) | instskip(SKIP_3) | instid1(VALU_DEP_1)
	v_mad_u64_u32 v[0:1], null, s0, 26, v[3:4]
	v_mov_b32_e32 v1, 0
	s_lshl_b32 s11, s0, 1
	s_lshl_b32 s15, s0, 3
	v_lshlrev_b64 v[4:5], 2, v[0:1]
	v_add_nc_u32_e32 v0, s0, v0
	s_delay_alu instid0(VALU_DEP_2) | instskip(NEXT) | instid1(VALU_DEP_3)
	v_add_co_u32 v6, vcc_lo, s4, v4
	v_add_co_ci_u32_e32 v7, vcc_lo, s5, v5, vcc_lo
	v_add_co_u32 v4, vcc_lo, s6, v4
	v_add_co_ci_u32_e32 v5, vcc_lo, s7, v5, vcc_lo
	global_load_b32 v2, v[6:7], off
	global_load_b32 v4, v[4:5], off
	s_waitcnt vmcnt(0)
	v_sub_f32_e32 v2, v2, v4
	v_lshlrev_b64 v[4:5], 2, v[0:1]
	s_delay_alu instid0(VALU_DEP_1) | instskip(NEXT) | instid1(VALU_DEP_2)
	v_add_co_u32 v6, vcc_lo, s4, v4
	v_add_co_ci_u32_e32 v7, vcc_lo, s5, v5, vcc_lo
	v_add_co_u32 v4, vcc_lo, s6, v4
	v_add_co_ci_u32_e32 v5, vcc_lo, s7, v5, vcc_lo
	global_load_b32 v0, v[6:7], off
	global_load_b32 v4, v[4:5], off
	s_waitcnt vmcnt(0)
	v_sub_f32_e32 v0, v0, v4
	v_mov_b32_e32 v4, v1
	s_delay_alu instid0(VALU_DEP_2) | instskip(NEXT) | instid1(VALU_DEP_2)
	v_add_f32_e32 v2, v2, v0
	v_lshlrev_b64 v[4:5], 2, v[3:4]
	s_delay_alu instid0(VALU_DEP_1) | instskip(NEXT) | instid1(VALU_DEP_2)
	v_add_co_u32 v6, vcc_lo, s4, v4
	v_add_co_ci_u32_e32 v7, vcc_lo, s5, v5, vcc_lo
	v_add_co_u32 v4, vcc_lo, s6, v4
	v_add_co_ci_u32_e32 v5, vcc_lo, s7, v5, vcc_lo
	global_load_b32 v0, v[6:7], off
	global_load_b32 v4, v[4:5], off
	s_waitcnt vmcnt(0)
	v_dual_sub_f32 v7, v0, v4 :: v_dual_add_nc_u32 v0, s0, v3
	s_delay_alu instid0(VALU_DEP_1) | instskip(SKIP_1) | instid1(VALU_DEP_2)
	v_lshlrev_b64 v[3:4], 2, v[0:1]
	v_add_nc_u32_e32 v0, s0, v0
	v_add_co_u32 v5, vcc_lo, s4, v3
	s_delay_alu instid0(VALU_DEP_3)
	v_add_co_ci_u32_e32 v6, vcc_lo, s5, v4, vcc_lo
	v_add_co_u32 v3, vcc_lo, s6, v3
	v_add_co_ci_u32_e32 v4, vcc_lo, s7, v4, vcc_lo
	global_load_b32 v5, v[5:6], off
	global_load_b32 v3, v[3:4], off
	s_waitcnt vmcnt(0)
	v_sub_f32_e32 v3, v5, v3
	s_delay_alu instid0(VALU_DEP_1) | instskip(SKIP_2) | instid1(VALU_DEP_2)
	v_add_f32_e32 v7, v7, v3
	v_lshlrev_b64 v[3:4], 2, v[0:1]
	v_add_nc_u32_e32 v0, s0, v0
	v_add_co_u32 v5, vcc_lo, s4, v3
	s_delay_alu instid0(VALU_DEP_3)
	v_add_co_ci_u32_e32 v6, vcc_lo, s5, v4, vcc_lo
	v_add_co_u32 v3, vcc_lo, s6, v3
	v_add_co_ci_u32_e32 v4, vcc_lo, s7, v4, vcc_lo
	global_load_b32 v5, v[5:6], off
	global_load_b32 v3, v[3:4], off
	s_waitcnt vmcnt(0)
	v_sub_f32_e32 v3, v5, v3
	s_delay_alu instid0(VALU_DEP_1) | instskip(SKIP_1) | instid1(VALU_DEP_1)
	v_sub_f32_e32 v7, v7, v3
	v_lshlrev_b64 v[3:4], 2, v[0:1]
	v_add_co_u32 v5, vcc_lo, s4, v3
	s_delay_alu instid0(VALU_DEP_2)
	v_add_co_ci_u32_e32 v6, vcc_lo, s5, v4, vcc_lo
	v_add_co_u32 v3, vcc_lo, s6, v3
	v_add_co_ci_u32_e32 v4, vcc_lo, s7, v4, vcc_lo
	global_load_b32 v5, v[5:6], off
	global_load_b32 v3, v[3:4], off
	s_waitcnt vmcnt(0)
	v_sub_f32_e32 v3, v5, v3
	s_delay_alu instid0(VALU_DEP_1) | instskip(NEXT) | instid1(VALU_DEP_1)
	v_sub_f32_e32 v4, v7, v3
	v_dual_sub_f32 v7, v4, v3 :: v_dual_add_nc_u32 v0, s14, v0
	s_delay_alu instid0(VALU_DEP_1) | instskip(NEXT) | instid1(VALU_DEP_1)
	v_lshlrev_b64 v[3:4], 2, v[0:1]
	v_add_co_u32 v5, vcc_lo, s4, v3
	s_delay_alu instid0(VALU_DEP_2)
	v_add_co_ci_u32_e32 v6, vcc_lo, s5, v4, vcc_lo
	v_add_co_u32 v3, vcc_lo, s6, v3
	v_add_co_ci_u32_e32 v4, vcc_lo, s7, v4, vcc_lo
	global_load_b32 v5, v[5:6], off
	global_load_b32 v3, v[3:4], off
	s_waitcnt vmcnt(0)
	v_dual_sub_f32 v3, v5, v3 :: v_dual_add_nc_u32 v0, s0, v0
	s_delay_alu instid0(VALU_DEP_1) | instskip(NEXT) | instid1(VALU_DEP_2)
	v_sub_f32_e32 v7, v7, v3
	v_lshlrev_b64 v[3:4], 2, v[0:1]
	v_add_nc_u32_e32 v0, s1, v0
	s_delay_alu instid0(VALU_DEP_2) | instskip(NEXT) | instid1(VALU_DEP_3)
	v_add_co_u32 v5, vcc_lo, s4, v3
	v_add_co_ci_u32_e32 v6, vcc_lo, s5, v4, vcc_lo
	v_add_co_u32 v3, vcc_lo, s6, v3
	v_add_co_ci_u32_e32 v4, vcc_lo, s7, v4, vcc_lo
	global_load_b32 v5, v[5:6], off
	global_load_b32 v3, v[3:4], off
	s_waitcnt vmcnt(0)
	v_sub_f32_e32 v3, v5, v3
	s_delay_alu instid0(VALU_DEP_1) | instskip(SKIP_2) | instid1(VALU_DEP_2)
	v_add_f32_e32 v7, v7, v3
	v_lshlrev_b64 v[3:4], 2, v[0:1]
	v_add_nc_u32_e32 v0, s12, v0
	v_add_co_u32 v5, vcc_lo, s4, v3
	s_delay_alu instid0(VALU_DEP_3)
	v_add_co_ci_u32_e32 v6, vcc_lo, s5, v4, vcc_lo
	v_add_co_u32 v3, vcc_lo, s6, v3
	v_add_co_ci_u32_e32 v4, vcc_lo, s7, v4, vcc_lo
	global_load_b32 v5, v[5:6], off
	global_load_b32 v3, v[3:4], off
	s_waitcnt vmcnt(0)
	v_sub_f32_e32 v3, v5, v3
	s_delay_alu instid0(VALU_DEP_1) | instskip(NEXT) | instid1(VALU_DEP_1)
	v_sub_f32_e32 v4, v7, v3
	v_sub_f32_e32 v7, v4, v3
	v_lshlrev_b64 v[3:4], 2, v[0:1]
	v_add_nc_u32_e32 v0, s0, v0
	s_delay_alu instid0(VALU_DEP_2) | instskip(NEXT) | instid1(VALU_DEP_3)
	v_add_co_u32 v5, vcc_lo, s4, v3
	v_add_co_ci_u32_e32 v6, vcc_lo, s5, v4, vcc_lo
	v_add_co_u32 v3, vcc_lo, s6, v3
	v_add_co_ci_u32_e32 v4, vcc_lo, s7, v4, vcc_lo
	global_load_b32 v5, v[5:6], off
	global_load_b32 v3, v[3:4], off
	s_waitcnt vmcnt(0)
	v_sub_f32_e32 v3, v5, v3
	s_delay_alu instid0(VALU_DEP_1) | instskip(NEXT) | instid1(VALU_DEP_1)
	v_add_f32_e32 v4, v7, v3
	v_add_f32_e32 v7, v3, v4
	v_lshlrev_b64 v[3:4], 2, v[0:1]
	v_add_nc_u32_e32 v0, s0, v0
	s_delay_alu instid0(VALU_DEP_2) | instskip(NEXT) | instid1(VALU_DEP_3)
	v_add_co_u32 v5, vcc_lo, s4, v3
	v_add_co_ci_u32_e32 v6, vcc_lo, s5, v4, vcc_lo
	v_add_co_u32 v3, vcc_lo, s6, v3
	v_add_co_ci_u32_e32 v4, vcc_lo, s7, v4, vcc_lo
	global_load_b32 v5, v[5:6], off
	global_load_b32 v3, v[3:4], off
	s_waitcnt vmcnt(0)
	v_sub_f32_e32 v3, v5, v3
	s_delay_alu instid0(VALU_DEP_1) | instskip(SKIP_2) | instid1(VALU_DEP_2)
	v_add_f32_e32 v7, v7, v3
	v_lshlrev_b64 v[3:4], 2, v[0:1]
	v_add_nc_u32_e32 v0, s13, v0
	v_add_co_u32 v5, vcc_lo, s4, v3
	s_delay_alu instid0(VALU_DEP_3)
	v_add_co_ci_u32_e32 v6, vcc_lo, s5, v4, vcc_lo
	v_add_co_u32 v3, vcc_lo, s6, v3
	v_add_co_ci_u32_e32 v4, vcc_lo, s7, v4, vcc_lo
	global_load_b32 v5, v[5:6], off
	global_load_b32 v3, v[3:4], off
	s_waitcnt vmcnt(0)
	v_sub_f32_e32 v3, v5, v3
	s_delay_alu instid0(VALU_DEP_1) | instskip(SKIP_2) | instid1(VALU_DEP_2)
	v_sub_f32_e32 v7, v7, v3
	v_lshlrev_b64 v[3:4], 2, v[0:1]
	v_add_nc_u32_e32 v0, s0, v0
	v_add_co_u32 v5, vcc_lo, s4, v3
	s_delay_alu instid0(VALU_DEP_3)
	v_add_co_ci_u32_e32 v6, vcc_lo, s5, v4, vcc_lo
	v_add_co_u32 v3, vcc_lo, s6, v3
	v_add_co_ci_u32_e32 v4, vcc_lo, s7, v4, vcc_lo
	global_load_b32 v5, v[5:6], off
	global_load_b32 v3, v[3:4], off
	s_waitcnt vmcnt(0)
	v_sub_f32_e32 v3, v5, v3
	s_delay_alu instid0(VALU_DEP_1) | instskip(SKIP_2) | instid1(VALU_DEP_2)
	v_add_f32_e32 v7, v7, v3
	v_lshlrev_b64 v[3:4], 2, v[0:1]
	v_add_nc_u32_e32 v0, s13, v0
	v_add_co_u32 v5, vcc_lo, s4, v3
	s_delay_alu instid0(VALU_DEP_3)
	v_add_co_ci_u32_e32 v6, vcc_lo, s5, v4, vcc_lo
	v_add_co_u32 v3, vcc_lo, s6, v3
	v_add_co_ci_u32_e32 v4, vcc_lo, s7, v4, vcc_lo
	global_load_b32 v5, v[5:6], off
	global_load_b32 v3, v[3:4], off
	s_waitcnt vmcnt(0)
	v_sub_f32_e32 v3, v5, v3
	s_delay_alu instid0(VALU_DEP_1) | instskip(NEXT) | instid1(VALU_DEP_1)
	v_add_f32_e32 v3, v7, v3
	v_sub_f32_e32 v6, v3, v2
	v_lshlrev_b64 v[2:3], 2, v[0:1]
	v_add_nc_u32_e32 v0, s12, v0
	s_delay_alu instid0(VALU_DEP_2) | instskip(NEXT) | instid1(VALU_DEP_3)
	v_add_co_u32 v4, vcc_lo, s4, v2
	v_add_co_ci_u32_e32 v5, vcc_lo, s5, v3, vcc_lo
	v_add_co_u32 v2, vcc_lo, s6, v2
	v_add_co_ci_u32_e32 v3, vcc_lo, s7, v3, vcc_lo
	global_load_b32 v4, v[4:5], off
	global_load_b32 v2, v[2:3], off
	s_waitcnt vmcnt(0)
	v_sub_f32_e32 v2, v4, v2
	s_delay_alu instid0(VALU_DEP_1) | instskip(SKIP_2) | instid1(VALU_DEP_2)
	v_sub_f32_e32 v6, v6, v2
	v_lshlrev_b64 v[2:3], 2, v[0:1]
	v_add_nc_u32_e32 v0, s11, v0
	v_add_co_u32 v4, vcc_lo, s4, v2
	s_delay_alu instid0(VALU_DEP_3)
	v_add_co_ci_u32_e32 v5, vcc_lo, s5, v3, vcc_lo
	v_add_co_u32 v2, vcc_lo, s6, v2
	v_add_co_ci_u32_e32 v3, vcc_lo, s7, v3, vcc_lo
	global_load_b32 v4, v[4:5], off
	global_load_b32 v2, v[2:3], off
	s_waitcnt vmcnt(0)
	v_sub_f32_e32 v2, v4, v2
	s_delay_alu instid0(VALU_DEP_1) | instskip(SKIP_2) | instid1(VALU_DEP_2)
	v_add_f32_e32 v6, v6, v2
	v_lshlrev_b64 v[2:3], 2, v[0:1]
	v_add_nc_u32_e32 v0, s15, v0
	v_add_co_u32 v4, vcc_lo, s4, v2
	s_delay_alu instid0(VALU_DEP_3)
	v_add_co_ci_u32_e32 v5, vcc_lo, s5, v3, vcc_lo
	v_add_co_u32 v2, vcc_lo, s6, v2
	v_add_co_ci_u32_e32 v3, vcc_lo, s7, v3, vcc_lo
	global_load_b32 v4, v[4:5], off
	global_load_b32 v2, v[2:3], off
	s_waitcnt vmcnt(0)
	v_sub_f32_e32 v2, v4, v2
	s_delay_alu instid0(VALU_DEP_1) | instskip(SKIP_2) | instid1(VALU_DEP_2)
	v_sub_f32_e32 v6, v6, v2
	v_lshlrev_b64 v[2:3], 2, v[0:1]
	v_add_nc_u32_e32 v0, s11, v0
	v_add_co_u32 v4, vcc_lo, s4, v2
	s_delay_alu instid0(VALU_DEP_3)
	v_add_co_ci_u32_e32 v5, vcc_lo, s5, v3, vcc_lo
	v_add_co_u32 v2, vcc_lo, s6, v2
	v_add_co_ci_u32_e32 v3, vcc_lo, s7, v3, vcc_lo
	global_load_b32 v4, v[4:5], off
	global_load_b32 v2, v[2:3], off
	s_waitcnt vmcnt(0)
	v_sub_f32_e32 v2, v4, v2
	s_delay_alu instid0(VALU_DEP_1) | instskip(SKIP_2) | instid1(VALU_DEP_2)
	v_add_f32_e32 v6, v6, v2
	v_lshlrev_b64 v[2:3], 2, v[0:1]
	v_add_nc_u32_e32 v0, s1, v0
	v_add_co_u32 v4, vcc_lo, s4, v2
	s_delay_alu instid0(VALU_DEP_3)
	;; [unrolled: 26-line block ×3, first 2 shown]
	v_add_co_ci_u32_e32 v5, vcc_lo, s5, v3, vcc_lo
	v_add_co_u32 v2, vcc_lo, s6, v2
	v_add_co_ci_u32_e32 v3, vcc_lo, s7, v3, vcc_lo
	global_load_b32 v4, v[4:5], off
	global_load_b32 v2, v[2:3], off
	s_waitcnt vmcnt(0)
	v_sub_f32_e32 v2, v4, v2
	s_delay_alu instid0(VALU_DEP_1) | instskip(SKIP_2) | instid1(VALU_DEP_2)
	v_sub_f32_e32 v6, v6, v2
	v_lshlrev_b64 v[2:3], 2, v[0:1]
	v_add_nc_u32_e32 v0, s0, v0
	v_add_co_u32 v4, vcc_lo, s4, v2
	s_delay_alu instid0(VALU_DEP_3)
	v_add_co_ci_u32_e32 v5, vcc_lo, s5, v3, vcc_lo
	v_add_co_u32 v2, vcc_lo, s6, v2
	v_add_co_ci_u32_e32 v3, vcc_lo, s7, v3, vcc_lo
	global_load_b32 v4, v[4:5], off
	global_load_b32 v2, v[2:3], off
	s_waitcnt vmcnt(0)
	v_sub_f32_e32 v2, v4, v2
	s_delay_alu instid0(VALU_DEP_1) | instskip(SKIP_2) | instid1(VALU_DEP_2)
	v_sub_f32_e32 v6, v6, v2
	v_lshlrev_b64 v[2:3], 2, v[0:1]
	v_add_nc_u32_e32 v0, s15, v0
	v_add_co_u32 v4, vcc_lo, s4, v2
	s_delay_alu instid0(VALU_DEP_3)
	v_add_co_ci_u32_e32 v5, vcc_lo, s5, v3, vcc_lo
	v_add_co_u32 v2, vcc_lo, s6, v2
	v_add_co_ci_u32_e32 v3, vcc_lo, s7, v3, vcc_lo
	global_load_b32 v4, v[4:5], off
	global_load_b32 v2, v[2:3], off
	s_waitcnt vmcnt(0)
	v_sub_f32_e32 v2, v4, v2
	s_delay_alu instid0(VALU_DEP_1) | instskip(SKIP_2) | instid1(VALU_DEP_2)
	v_add_f32_e32 v6, v6, v2
	v_lshlrev_b64 v[2:3], 2, v[0:1]
	v_add_nc_u32_e32 v0, s11, v0
	v_add_co_u32 v4, vcc_lo, s4, v2
	s_delay_alu instid0(VALU_DEP_3)
	v_add_co_ci_u32_e32 v5, vcc_lo, s5, v3, vcc_lo
	v_add_co_u32 v2, vcc_lo, s6, v2
	v_add_co_ci_u32_e32 v3, vcc_lo, s7, v3, vcc_lo
	global_load_b32 v4, v[4:5], off
	global_load_b32 v2, v[2:3], off
	s_waitcnt vmcnt(0)
	v_sub_f32_e32 v2, v4, v2
	s_delay_alu instid0(VALU_DEP_1) | instskip(SKIP_2) | instid1(VALU_DEP_2)
	v_sub_f32_e32 v6, v6, v2
	v_lshlrev_b64 v[2:3], 2, v[0:1]
	v_add_nc_u32_e32 v0, s15, v0
	v_add_co_u32 v4, vcc_lo, s4, v2
	s_delay_alu instid0(VALU_DEP_3)
	v_add_co_ci_u32_e32 v5, vcc_lo, s5, v3, vcc_lo
	v_add_co_u32 v2, vcc_lo, s6, v2
	v_add_co_ci_u32_e32 v3, vcc_lo, s7, v3, vcc_lo
	global_load_b32 v4, v[4:5], off
	global_load_b32 v2, v[2:3], off
	s_waitcnt vmcnt(0)
	v_sub_f32_e32 v2, v4, v2
	s_delay_alu instid0(VALU_DEP_1) | instskip(SKIP_2) | instid1(VALU_DEP_2)
	v_add_f32_e32 v6, v6, v2
	v_lshlrev_b64 v[2:3], 2, v[0:1]
	v_add_nc_u32_e32 v0, s0, v0
	v_add_co_u32 v4, vcc_lo, s4, v2
	s_delay_alu instid0(VALU_DEP_3)
	v_add_co_ci_u32_e32 v5, vcc_lo, s5, v3, vcc_lo
	v_add_co_u32 v2, vcc_lo, s6, v2
	v_add_co_ci_u32_e32 v3, vcc_lo, s7, v3, vcc_lo
	global_load_b32 v4, v[4:5], off
	global_load_b32 v2, v[2:3], off
	s_waitcnt vmcnt(0)
	v_sub_f32_e32 v2, v4, v2
	s_delay_alu instid0(VALU_DEP_1) | instskip(SKIP_2) | instid1(VALU_DEP_2)
	v_add_f32_e32 v6, v6, v2
	v_lshlrev_b64 v[2:3], 2, v[0:1]
	v_add_nc_u32_e32 v0, s1, v0
	v_add_co_u32 v4, vcc_lo, s4, v2
	s_delay_alu instid0(VALU_DEP_3)
	v_add_co_ci_u32_e32 v5, vcc_lo, s5, v3, vcc_lo
	v_add_co_u32 v2, vcc_lo, s6, v2
	v_add_co_ci_u32_e32 v3, vcc_lo, s7, v3, vcc_lo
	global_load_b32 v4, v[4:5], off
	global_load_b32 v2, v[2:3], off
	s_waitcnt vmcnt(0)
	v_sub_f32_e32 v2, v4, v2
	s_delay_alu instid0(VALU_DEP_1) | instskip(SKIP_2) | instid1(VALU_DEP_2)
	v_sub_f32_e32 v6, v6, v2
	v_lshlrev_b64 v[2:3], 2, v[0:1]
	v_add_nc_u32_e32 v0, s0, v0
	v_add_co_u32 v4, vcc_lo, s4, v2
	s_delay_alu instid0(VALU_DEP_3)
	v_add_co_ci_u32_e32 v5, vcc_lo, s5, v3, vcc_lo
	v_add_co_u32 v2, vcc_lo, s6, v2
	v_add_co_ci_u32_e32 v3, vcc_lo, s7, v3, vcc_lo
	global_load_b32 v4, v[4:5], off
	global_load_b32 v2, v[2:3], off
	s_waitcnt vmcnt(0)
	v_sub_f32_e32 v2, v4, v2
	s_delay_alu instid0(VALU_DEP_1) | instskip(SKIP_2) | instid1(VALU_DEP_2)
	v_sub_f32_e32 v6, v6, v2
	;; [unrolled: 13-line block ×3, first 2 shown]
	v_lshlrev_b64 v[2:3], 2, v[0:1]
	v_add_nc_u32_e32 v0, s11, v0
	v_add_co_u32 v4, vcc_lo, s4, v2
	s_delay_alu instid0(VALU_DEP_3)
	v_add_co_ci_u32_e32 v5, vcc_lo, s5, v3, vcc_lo
	v_add_co_u32 v2, vcc_lo, s6, v2
	v_add_co_ci_u32_e32 v3, vcc_lo, s7, v3, vcc_lo
	global_load_b32 v4, v[4:5], off
	global_load_b32 v2, v[2:3], off
	s_waitcnt vmcnt(0)
	v_sub_f32_e32 v2, v4, v2
	s_delay_alu instid0(VALU_DEP_1) | instskip(SKIP_1) | instid1(VALU_DEP_1)
	v_add_f32_e32 v6, v6, v2
	v_lshlrev_b64 v[2:3], 2, v[0:1]
	v_add_co_u32 v4, vcc_lo, s4, v2
	s_delay_alu instid0(VALU_DEP_2)
	v_add_co_ci_u32_e32 v5, vcc_lo, s5, v3, vcc_lo
	v_add_co_u32 v2, vcc_lo, s6, v2
	v_add_co_ci_u32_e32 v3, vcc_lo, s7, v3, vcc_lo
	global_load_b32 v4, v[4:5], off
	global_load_b32 v2, v[2:3], off
	s_waitcnt vmcnt(0)
	v_sub_f32_e32 v2, v4, v2
	s_delay_alu instid0(VALU_DEP_1) | instskip(SKIP_2) | instid1(VALU_DEP_1)
	v_add_f32_e32 v7, v6, v2
	v_mad_u64_u32 v[2:3], null, s0, 12, v[0:1]
	v_mov_b32_e32 v3, v1
	v_lshlrev_b64 v[3:4], 2, v[2:3]
	s_delay_alu instid0(VALU_DEP_1) | instskip(NEXT) | instid1(VALU_DEP_2)
	v_add_co_u32 v5, vcc_lo, s4, v3
	v_add_co_ci_u32_e32 v6, vcc_lo, s5, v4, vcc_lo
	v_add_co_u32 v3, vcc_lo, s6, v3
	v_add_co_ci_u32_e32 v4, vcc_lo, s7, v4, vcc_lo
	global_load_b32 v0, v[5:6], off
	global_load_b32 v3, v[3:4], off
	s_waitcnt vmcnt(0)
	v_sub_f32_e32 v0, v0, v3
	s_delay_alu instid0(VALU_DEP_1) | instskip(SKIP_1) | instid1(VALU_DEP_1)
	v_add_f32_e32 v6, v7, v0
	v_add_nc_u32_e32 v0, s11, v2
	v_lshlrev_b64 v[2:3], 2, v[0:1]
	v_add_nc_u32_e32 v0, s0, v0
	s_delay_alu instid0(VALU_DEP_2) | instskip(NEXT) | instid1(VALU_DEP_3)
	v_add_co_u32 v4, vcc_lo, s4, v2
	v_add_co_ci_u32_e32 v5, vcc_lo, s5, v3, vcc_lo
	v_add_co_u32 v2, vcc_lo, s6, v2
	v_add_co_ci_u32_e32 v3, vcc_lo, s7, v3, vcc_lo
	global_load_b32 v4, v[4:5], off
	global_load_b32 v2, v[2:3], off
	s_waitcnt vmcnt(0)
	v_sub_f32_e32 v2, v4, v2
	s_delay_alu instid0(VALU_DEP_1) | instskip(SKIP_2) | instid1(VALU_DEP_2)
	v_add_f32_e32 v6, v6, v2
	v_lshlrev_b64 v[2:3], 2, v[0:1]
	v_add_nc_u32_e32 v0, s12, v0
	v_add_co_u32 v4, vcc_lo, s4, v2
	s_delay_alu instid0(VALU_DEP_3)
	v_add_co_ci_u32_e32 v5, vcc_lo, s5, v3, vcc_lo
	v_add_co_u32 v2, vcc_lo, s6, v2
	v_add_co_ci_u32_e32 v3, vcc_lo, s7, v3, vcc_lo
	global_load_b32 v4, v[4:5], off
	global_load_b32 v2, v[2:3], off
	s_waitcnt vmcnt(0)
	v_sub_f32_e32 v2, v4, v2
	s_delay_alu instid0(VALU_DEP_1) | instskip(SKIP_2) | instid1(VALU_DEP_2)
	v_sub_f32_e32 v6, v6, v2
	v_lshlrev_b64 v[2:3], 2, v[0:1]
	v_add_nc_u32_e32 v0, s0, v0
	v_add_co_u32 v4, vcc_lo, s4, v2
	s_delay_alu instid0(VALU_DEP_3)
	v_add_co_ci_u32_e32 v5, vcc_lo, s5, v3, vcc_lo
	v_add_co_u32 v2, vcc_lo, s6, v2
	v_add_co_ci_u32_e32 v3, vcc_lo, s7, v3, vcc_lo
	global_load_b32 v4, v[4:5], off
	global_load_b32 v2, v[2:3], off
	s_waitcnt vmcnt(0)
	v_sub_f32_e32 v2, v4, v2
	s_delay_alu instid0(VALU_DEP_1) | instskip(SKIP_2) | instid1(VALU_DEP_2)
	v_add_f32_e32 v6, v6, v2
	v_lshlrev_b64 v[2:3], 2, v[0:1]
	v_add_nc_u32_e32 v0, s1, v0
	v_add_co_u32 v4, vcc_lo, s4, v2
	s_delay_alu instid0(VALU_DEP_3)
	v_add_co_ci_u32_e32 v5, vcc_lo, s5, v3, vcc_lo
	v_add_co_u32 v2, vcc_lo, s6, v2
	v_add_co_ci_u32_e32 v3, vcc_lo, s7, v3, vcc_lo
	global_load_b32 v4, v[4:5], off
	global_load_b32 v2, v[2:3], off
	s_waitcnt vmcnt(0)
	v_sub_f32_e32 v2, v4, v2
	s_delay_alu instid0(VALU_DEP_1) | instskip(SKIP_2) | instid1(VALU_DEP_2)
	v_sub_f32_e32 v6, v6, v2
	v_lshlrev_b64 v[2:3], 2, v[0:1]
	v_add_nc_u32_e32 v0, s15, v0
	v_add_co_u32 v4, vcc_lo, s4, v2
	s_delay_alu instid0(VALU_DEP_3)
	;; [unrolled: 26-line block ×3, first 2 shown]
	v_add_co_ci_u32_e32 v5, vcc_lo, s5, v3, vcc_lo
	v_add_co_u32 v2, vcc_lo, s6, v2
	v_add_co_ci_u32_e32 v3, vcc_lo, s7, v3, vcc_lo
	global_load_b32 v4, v[4:5], off
	global_load_b32 v2, v[2:3], off
	s_waitcnt vmcnt(0)
	v_sub_f32_e32 v2, v4, v2
	s_delay_alu instid0(VALU_DEP_1) | instskip(SKIP_2) | instid1(VALU_DEP_2)
	v_sub_f32_e32 v6, v6, v2
	v_lshlrev_b64 v[2:3], 2, v[0:1]
	v_add_nc_u32_e32 v0, s14, v0
	v_add_co_u32 v4, vcc_lo, s4, v2
	s_delay_alu instid0(VALU_DEP_3)
	v_add_co_ci_u32_e32 v5, vcc_lo, s5, v3, vcc_lo
	v_add_co_u32 v2, vcc_lo, s6, v2
	v_add_co_ci_u32_e32 v3, vcc_lo, s7, v3, vcc_lo
	global_load_b32 v4, v[4:5], off
	global_load_b32 v2, v[2:3], off
	s_waitcnt vmcnt(0)
	v_sub_f32_e32 v2, v4, v2
	s_delay_alu instid0(VALU_DEP_1) | instskip(SKIP_2) | instid1(VALU_DEP_2)
	v_sub_f32_e32 v6, v6, v2
	v_lshlrev_b64 v[2:3], 2, v[0:1]
	v_add_nc_u32_e32 v0, s11, v0
	v_add_co_u32 v4, vcc_lo, s4, v2
	s_delay_alu instid0(VALU_DEP_3)
	v_add_co_ci_u32_e32 v5, vcc_lo, s5, v3, vcc_lo
	v_add_co_u32 v2, vcc_lo, s6, v2
	v_add_co_ci_u32_e32 v3, vcc_lo, s7, v3, vcc_lo
	global_load_b32 v4, v[4:5], off
	global_load_b32 v2, v[2:3], off
	s_waitcnt vmcnt(0)
	v_sub_f32_e32 v2, v4, v2
	s_delay_alu instid0(VALU_DEP_1) | instskip(SKIP_2) | instid1(VALU_DEP_2)
	v_add_f32_e32 v6, v6, v2
	v_lshlrev_b64 v[2:3], 2, v[0:1]
	v_add_nc_u32_e32 v0, s1, v0
	v_add_co_u32 v4, vcc_lo, s4, v2
	s_delay_alu instid0(VALU_DEP_3)
	v_add_co_ci_u32_e32 v5, vcc_lo, s5, v3, vcc_lo
	v_add_co_u32 v2, vcc_lo, s6, v2
	v_add_co_ci_u32_e32 v3, vcc_lo, s7, v3, vcc_lo
	global_load_b32 v4, v[4:5], off
	global_load_b32 v2, v[2:3], off
	s_waitcnt vmcnt(0)
	v_sub_f32_e32 v2, v4, v2
	s_delay_alu instid0(VALU_DEP_1) | instskip(SKIP_2) | instid1(VALU_DEP_2)
	v_sub_f32_e32 v6, v6, v2
	v_lshlrev_b64 v[2:3], 2, v[0:1]
	v_add_nc_u32_e32 v0, s13, v0
	v_add_co_u32 v4, vcc_lo, s4, v2
	s_delay_alu instid0(VALU_DEP_3)
	v_add_co_ci_u32_e32 v5, vcc_lo, s5, v3, vcc_lo
	v_add_co_u32 v2, vcc_lo, s6, v2
	v_add_co_ci_u32_e32 v3, vcc_lo, s7, v3, vcc_lo
	global_load_b32 v4, v[4:5], off
	global_load_b32 v2, v[2:3], off
	s_waitcnt vmcnt(0)
	v_sub_f32_e32 v2, v4, v2
	s_delay_alu instid0(VALU_DEP_1) | instskip(SKIP_1) | instid1(VALU_DEP_1)
	v_sub_f32_e32 v6, v6, v2
	v_lshlrev_b64 v[2:3], 2, v[0:1]
	v_add_co_u32 v4, vcc_lo, s4, v2
	s_delay_alu instid0(VALU_DEP_2)
	v_add_co_ci_u32_e32 v5, vcc_lo, s5, v3, vcc_lo
	v_add_co_u32 v2, vcc_lo, s6, v2
	v_add_co_ci_u32_e32 v3, vcc_lo, s7, v3, vcc_lo
	global_load_b32 v4, v[4:5], off
	global_load_b32 v2, v[2:3], off
	s_waitcnt vmcnt(0)
	v_sub_f32_e32 v2, v4, v2
	s_delay_alu instid0(VALU_DEP_1) | instskip(SKIP_2) | instid1(VALU_DEP_1)
	v_add_f32_e32 v7, v6, v2
	v_mad_u64_u32 v[2:3], null, s0, 10, v[0:1]
	v_mov_b32_e32 v3, v1
	v_lshlrev_b64 v[3:4], 2, v[2:3]
	s_delay_alu instid0(VALU_DEP_1) | instskip(NEXT) | instid1(VALU_DEP_2)
	v_add_co_u32 v5, vcc_lo, s4, v3
	v_add_co_ci_u32_e32 v6, vcc_lo, s5, v4, vcc_lo
	v_add_co_u32 v3, vcc_lo, s6, v3
	v_add_co_ci_u32_e32 v4, vcc_lo, s7, v4, vcc_lo
	global_load_b32 v0, v[5:6], off
	global_load_b32 v3, v[3:4], off
	s_waitcnt vmcnt(0)
	v_sub_f32_e32 v0, v0, v3
	s_delay_alu instid0(VALU_DEP_1) | instskip(SKIP_1) | instid1(VALU_DEP_1)
	v_add_f32_e32 v6, v7, v0
	v_add_nc_u32_e32 v0, s0, v2
	v_lshlrev_b64 v[2:3], 2, v[0:1]
	v_add_nc_u32_e32 v0, s11, v0
	s_delay_alu instid0(VALU_DEP_2) | instskip(NEXT) | instid1(VALU_DEP_3)
	v_add_co_u32 v4, vcc_lo, s4, v2
	v_add_co_ci_u32_e32 v5, vcc_lo, s5, v3, vcc_lo
	v_add_co_u32 v2, vcc_lo, s6, v2
	v_add_co_ci_u32_e32 v3, vcc_lo, s7, v3, vcc_lo
	global_load_b32 v4, v[4:5], off
	global_load_b32 v2, v[2:3], off
	s_waitcnt vmcnt(0)
	v_sub_f32_e32 v2, v4, v2
	s_delay_alu instid0(VALU_DEP_1) | instskip(SKIP_2) | instid1(VALU_DEP_2)
	v_sub_f32_e32 v6, v6, v2
	v_lshlrev_b64 v[2:3], 2, v[0:1]
	v_add_nc_u32_e32 v0, s13, v0
	v_add_co_u32 v4, vcc_lo, s4, v2
	s_delay_alu instid0(VALU_DEP_3)
	v_add_co_ci_u32_e32 v5, vcc_lo, s5, v3, vcc_lo
	v_add_co_u32 v2, vcc_lo, s6, v2
	v_add_co_ci_u32_e32 v3, vcc_lo, s7, v3, vcc_lo
	global_load_b32 v4, v[4:5], off
	global_load_b32 v2, v[2:3], off
	s_waitcnt vmcnt(0)
	v_sub_f32_e32 v2, v4, v2
	s_delay_alu instid0(VALU_DEP_1) | instskip(SKIP_2) | instid1(VALU_DEP_2)
	v_add_f32_e32 v6, v6, v2
	v_lshlrev_b64 v[2:3], 2, v[0:1]
	v_add_nc_u32_e32 v0, s12, v0
	v_add_co_u32 v4, vcc_lo, s4, v2
	s_delay_alu instid0(VALU_DEP_3)
	v_add_co_ci_u32_e32 v5, vcc_lo, s5, v3, vcc_lo
	v_add_co_u32 v2, vcc_lo, s6, v2
	v_add_co_ci_u32_e32 v3, vcc_lo, s7, v3, vcc_lo
	global_load_b32 v4, v[4:5], off
	global_load_b32 v2, v[2:3], off
	s_waitcnt vmcnt(0)
	v_sub_f32_e32 v2, v4, v2
	s_delay_alu instid0(VALU_DEP_1) | instskip(SKIP_2) | instid1(VALU_DEP_2)
	v_add_f32_e32 v6, v6, v2
	v_lshlrev_b64 v[2:3], 2, v[0:1]
	v_add_nc_u32_e32 v0, s11, v0
	v_add_co_u32 v4, vcc_lo, s4, v2
	s_delay_alu instid0(VALU_DEP_3)
	v_add_co_ci_u32_e32 v5, vcc_lo, s5, v3, vcc_lo
	v_add_co_u32 v2, vcc_lo, s6, v2
	v_add_co_ci_u32_e32 v3, vcc_lo, s7, v3, vcc_lo
	global_load_b32 v4, v[4:5], off
	global_load_b32 v2, v[2:3], off
	s_waitcnt vmcnt(0)
	v_sub_f32_e32 v2, v4, v2
	s_delay_alu instid0(VALU_DEP_1) | instskip(SKIP_1) | instid1(VALU_DEP_1)
	v_sub_f32_e32 v6, v6, v2
	v_lshlrev_b64 v[2:3], 2, v[0:1]
	v_add_co_u32 v4, vcc_lo, s4, v2
	s_delay_alu instid0(VALU_DEP_2)
	v_add_co_ci_u32_e32 v5, vcc_lo, s5, v3, vcc_lo
	v_add_co_u32 v2, vcc_lo, s6, v2
	v_add_co_ci_u32_e32 v3, vcc_lo, s7, v3, vcc_lo
	global_load_b32 v4, v[4:5], off
	global_load_b32 v2, v[2:3], off
	s_waitcnt vmcnt(0)
	v_sub_f32_e32 v2, v4, v2
	s_delay_alu instid0(VALU_DEP_1) | instskip(SKIP_2) | instid1(VALU_DEP_1)
	v_add_f32_e32 v7, v6, v2
	v_mad_u64_u32 v[2:3], null, s0, 14, v[0:1]
	v_mov_b32_e32 v3, v1
	v_lshlrev_b64 v[3:4], 2, v[2:3]
	s_delay_alu instid0(VALU_DEP_1) | instskip(NEXT) | instid1(VALU_DEP_2)
	v_add_co_u32 v5, vcc_lo, s4, v3
	v_add_co_ci_u32_e32 v6, vcc_lo, s5, v4, vcc_lo
	v_add_co_u32 v3, vcc_lo, s6, v3
	v_add_co_ci_u32_e32 v4, vcc_lo, s7, v4, vcc_lo
	global_load_b32 v0, v[5:6], off
	global_load_b32 v3, v[3:4], off
	s_waitcnt vmcnt(0)
	v_sub_f32_e32 v0, v0, v3
	s_delay_alu instid0(VALU_DEP_1) | instskip(SKIP_1) | instid1(VALU_DEP_1)
	v_add_f32_e32 v6, v7, v0
	v_add_nc_u32_e32 v0, s13, v2
	v_lshlrev_b64 v[2:3], 2, v[0:1]
	v_add_nc_u32_e32 v0, s0, v0
	s_delay_alu instid0(VALU_DEP_2) | instskip(NEXT) | instid1(VALU_DEP_3)
	v_add_co_u32 v4, vcc_lo, s4, v2
	v_add_co_ci_u32_e32 v5, vcc_lo, s5, v3, vcc_lo
	v_add_co_u32 v2, vcc_lo, s6, v2
	v_add_co_ci_u32_e32 v3, vcc_lo, s7, v3, vcc_lo
	global_load_b32 v4, v[4:5], off
	global_load_b32 v2, v[2:3], off
	s_waitcnt vmcnt(0)
	v_sub_f32_e32 v2, v4, v2
	s_delay_alu instid0(VALU_DEP_1) | instskip(SKIP_2) | instid1(VALU_DEP_2)
	v_add_f32_e32 v6, v6, v2
	v_lshlrev_b64 v[2:3], 2, v[0:1]
	v_add_nc_u32_e32 v0, s1, v0
	v_add_co_u32 v4, vcc_lo, s4, v2
	s_delay_alu instid0(VALU_DEP_3)
	v_add_co_ci_u32_e32 v5, vcc_lo, s5, v3, vcc_lo
	v_add_co_u32 v2, vcc_lo, s6, v2
	v_add_co_ci_u32_e32 v3, vcc_lo, s7, v3, vcc_lo
	global_load_b32 v4, v[4:5], off
	global_load_b32 v2, v[2:3], off
	s_waitcnt vmcnt(0)
	v_sub_f32_e32 v2, v4, v2
	s_delay_alu instid0(VALU_DEP_1) | instskip(SKIP_1) | instid1(VALU_DEP_1)
	v_sub_f32_e32 v6, v6, v2
	v_lshlrev_b64 v[2:3], 2, v[0:1]
	v_add_co_u32 v4, vcc_lo, s4, v2
	s_delay_alu instid0(VALU_DEP_2)
	v_add_co_ci_u32_e32 v5, vcc_lo, s5, v3, vcc_lo
	v_add_co_u32 v2, vcc_lo, s6, v2
	v_add_co_ci_u32_e32 v3, vcc_lo, s7, v3, vcc_lo
	global_load_b32 v4, v[4:5], off
	global_load_b32 v2, v[2:3], off
	s_waitcnt vmcnt(0)
	v_sub_f32_e32 v2, v4, v2
	s_delay_alu instid0(VALU_DEP_1) | instskip(SKIP_2) | instid1(VALU_DEP_1)
	v_add_f32_e32 v7, v6, v2
	v_mad_u64_u32 v[2:3], null, s0, 7, v[0:1]
	v_mov_b32_e32 v3, v1
	v_lshlrev_b64 v[3:4], 2, v[2:3]
	s_delay_alu instid0(VALU_DEP_1) | instskip(NEXT) | instid1(VALU_DEP_2)
	v_add_co_u32 v5, vcc_lo, s4, v3
	v_add_co_ci_u32_e32 v6, vcc_lo, s5, v4, vcc_lo
	v_add_co_u32 v3, vcc_lo, s6, v3
	v_add_co_ci_u32_e32 v4, vcc_lo, s7, v4, vcc_lo
	global_load_b32 v0, v[5:6], off
	global_load_b32 v3, v[3:4], off
	s_waitcnt vmcnt(0)
	v_sub_f32_e32 v0, v0, v3
	s_delay_alu instid0(VALU_DEP_1) | instskip(SKIP_1) | instid1(VALU_DEP_1)
	v_add_f32_e32 v6, v7, v0
	v_add_nc_u32_e32 v0, s0, v2
	v_lshlrev_b64 v[2:3], 2, v[0:1]
	v_add_nc_u32_e32 v0, s1, v0
	s_load_b32 s1, s[8:9], 0x10
	s_delay_alu instid0(VALU_DEP_2) | instskip(NEXT) | instid1(VALU_DEP_3)
	v_add_co_u32 v4, vcc_lo, s4, v2
	v_add_co_ci_u32_e32 v5, vcc_lo, s5, v3, vcc_lo
	v_add_co_u32 v2, vcc_lo, s6, v2
	v_add_co_ci_u32_e32 v3, vcc_lo, s7, v3, vcc_lo
	global_load_b32 v4, v[4:5], off
	global_load_b32 v2, v[2:3], off
	s_waitcnt vmcnt(0)
	v_sub_f32_e32 v2, v4, v2
	s_delay_alu instid0(VALU_DEP_1) | instskip(SKIP_2) | instid1(VALU_DEP_2)
	v_sub_f32_e32 v6, v6, v2
	v_lshlrev_b64 v[2:3], 2, v[0:1]
	v_add_nc_u32_e32 v0, s11, v0
	v_add_co_u32 v4, vcc_lo, s4, v2
	s_delay_alu instid0(VALU_DEP_3)
	v_add_co_ci_u32_e32 v5, vcc_lo, s5, v3, vcc_lo
	v_add_co_u32 v2, vcc_lo, s6, v2
	v_add_co_ci_u32_e32 v3, vcc_lo, s7, v3, vcc_lo
	global_load_b32 v4, v[4:5], off
	global_load_b32 v2, v[2:3], off
	s_waitcnt vmcnt(0)
	v_sub_f32_e32 v2, v4, v2
	s_delay_alu instid0(VALU_DEP_1) | instskip(SKIP_1) | instid1(VALU_DEP_1)
	v_sub_f32_e32 v6, v6, v2
	v_lshlrev_b64 v[2:3], 2, v[0:1]
	v_add_co_u32 v4, vcc_lo, s4, v2
	s_delay_alu instid0(VALU_DEP_2)
	v_add_co_ci_u32_e32 v5, vcc_lo, s5, v3, vcc_lo
	v_add_co_u32 v2, vcc_lo, s6, v2
	v_add_co_ci_u32_e32 v3, vcc_lo, s7, v3, vcc_lo
	global_load_b32 v4, v[4:5], off
	global_load_b32 v2, v[2:3], off
	s_waitcnt vmcnt(0)
	v_sub_f32_e32 v2, v4, v2
	s_delay_alu instid0(VALU_DEP_1) | instskip(NEXT) | instid1(VALU_DEP_1)
	v_add_f32_e32 v2, v6, v2
	v_mul_f32_e32 v2, s10, v2
	s_waitcnt lgkmcnt(0)
	s_delay_alu instid0(VALU_DEP_1) | instskip(SKIP_2) | instid1(VALU_DEP_1)
	v_mul_f32_e32 v4, s1, v2
	v_mad_u64_u32 v[2:3], null, 0xffffff39, s0, v[0:1]
	v_mov_b32_e32 v3, v1
	v_lshlrev_b64 v[0:1], 2, v[2:3]
	s_delay_alu instid0(VALU_DEP_1) | instskip(NEXT) | instid1(VALU_DEP_2)
	v_add_co_u32 v0, vcc_lo, s2, v0
	v_add_co_ci_u32_e32 v1, vcc_lo, s3, v1, vcc_lo
	global_store_b32 v[0:1], v4, off
	s_nop 0
	s_sendmsg sendmsg(MSG_DEALLOC_VGPRS)
	s_endpgm
	.section	.rodata,"a",@progbits
	.p2align	6, 0x0
	.amdhsa_kernel _Z14rdwdot9_kernelIfEvPKT_S2_PS0_S0_S2_
		.amdhsa_group_segment_fixed_size 0
		.amdhsa_private_segment_fixed_size 0
		.amdhsa_kernarg_size 296
		.amdhsa_user_sgpr_count 15
		.amdhsa_user_sgpr_dispatch_ptr 0
		.amdhsa_user_sgpr_queue_ptr 0
		.amdhsa_user_sgpr_kernarg_segment_ptr 1
		.amdhsa_user_sgpr_dispatch_id 0
		.amdhsa_user_sgpr_private_segment_size 0
		.amdhsa_wavefront_size32 1
		.amdhsa_uses_dynamic_stack 0
		.amdhsa_enable_private_segment 0
		.amdhsa_system_sgpr_workgroup_id_x 1
		.amdhsa_system_sgpr_workgroup_id_y 0
		.amdhsa_system_sgpr_workgroup_id_z 0
		.amdhsa_system_sgpr_workgroup_info 0
		.amdhsa_system_vgpr_workitem_id 0
		.amdhsa_next_free_vgpr 8
		.amdhsa_next_free_sgpr 16
		.amdhsa_reserve_vcc 1
		.amdhsa_float_round_mode_32 0
		.amdhsa_float_round_mode_16_64 0
		.amdhsa_float_denorm_mode_32 3
		.amdhsa_float_denorm_mode_16_64 3
		.amdhsa_dx10_clamp 1
		.amdhsa_ieee_mode 1
		.amdhsa_fp16_overflow 0
		.amdhsa_workgroup_processor_mode 1
		.amdhsa_memory_ordered 1
		.amdhsa_forward_progress 0
		.amdhsa_shared_vgpr_count 0
		.amdhsa_exception_fp_ieee_invalid_op 0
		.amdhsa_exception_fp_denorm_src 0
		.amdhsa_exception_fp_ieee_div_zero 0
		.amdhsa_exception_fp_ieee_overflow 0
		.amdhsa_exception_fp_ieee_underflow 0
		.amdhsa_exception_fp_ieee_inexact 0
		.amdhsa_exception_int_div_zero 0
	.end_amdhsa_kernel
	.section	.text._Z14rdwdot9_kernelIfEvPKT_S2_PS0_S0_S2_,"axG",@progbits,_Z14rdwdot9_kernelIfEvPKT_S2_PS0_S0_S2_,comdat
.Lfunc_end25:
	.size	_Z14rdwdot9_kernelIfEvPKT_S2_PS0_S0_S2_, .Lfunc_end25-_Z14rdwdot9_kernelIfEvPKT_S2_PS0_S0_S2_
                                        ; -- End function
	.section	.AMDGPU.csdata,"",@progbits
; Kernel info:
; codeLenInByte = 4416
; NumSgprs: 18
; NumVgprs: 8
; ScratchSize: 0
; MemoryBound: 0
; FloatMode: 240
; IeeeMode: 1
; LDSByteSize: 0 bytes/workgroup (compile time only)
; SGPRBlocks: 2
; VGPRBlocks: 0
; NumSGPRsForWavesPerEU: 18
; NumVGPRsForWavesPerEU: 8
; Occupancy: 16
; WaveLimiterHint : 0
; COMPUTE_PGM_RSRC2:SCRATCH_EN: 0
; COMPUTE_PGM_RSRC2:USER_SGPR: 15
; COMPUTE_PGM_RSRC2:TRAP_HANDLER: 0
; COMPUTE_PGM_RSRC2:TGID_X_EN: 1
; COMPUTE_PGM_RSRC2:TGID_Y_EN: 0
; COMPUTE_PGM_RSRC2:TGID_Z_EN: 0
; COMPUTE_PGM_RSRC2:TIDIG_COMP_CNT: 0
	.section	.text._Z15rdwdot10_kernelIfEvPKT_S2_PS0_S0_S2_,"axG",@progbits,_Z15rdwdot10_kernelIfEvPKT_S2_PS0_S0_S2_,comdat
	.protected	_Z15rdwdot10_kernelIfEvPKT_S2_PS0_S0_S2_ ; -- Begin function _Z15rdwdot10_kernelIfEvPKT_S2_PS0_S0_S2_
	.globl	_Z15rdwdot10_kernelIfEvPKT_S2_PS0_S0_S2_
	.p2align	8
	.type	_Z15rdwdot10_kernelIfEvPKT_S2_PS0_S0_S2_,@function
_Z15rdwdot10_kernelIfEvPKT_S2_PS0_S0_S2_: ; @_Z15rdwdot10_kernelIfEvPKT_S2_PS0_S0_S2_
; %bb.0:
	s_clause 0x5
	s_load_b128 s[4:7], s[0:1], 0x0
	s_load_b64 s[2:3], s[0:1], 0x10
	s_load_b32 s10, s[0:1], 0x18
	s_load_b64 s[8:9], s[0:1], 0x20
	s_load_b32 s11, s[0:1], 0x28
	s_load_b32 s0, s[0:1], 0x34
	v_mov_b32_e32 v3, 0
	s_waitcnt lgkmcnt(0)
	s_load_b32 s21, s[8:9], 0x0
	s_and_b32 s0, s0, 0xffff
	s_delay_alu instid0(SALU_CYCLE_1) | instskip(SKIP_1) | instid1(SALU_CYCLE_1)
	v_mad_u64_u32 v[6:7], null, s15, s0, v[0:1]
	s_mul_i32 s11, s11, s0
	s_mul_i32 s1, s11, 11
	;; [unrolled: 1-line block ×3, first 2 shown]
	s_lshl_b32 s12, s11, 2
	s_mul_i32 s14, s11, 15
	s_delay_alu instid0(VALU_DEP_1)
	v_add_nc_u32_e32 v2, s1, v6
	s_mul_i32 s13, s11, 6
	s_mul_i32 s22, s11, 5
	;; [unrolled: 1-line block ×3, first 2 shown]
	s_lshl_b32 s16, s11, 1
	v_lshlrev_b64 v[0:1], 2, v[2:3]
	s_mul_i32 s23, s11, 3
	s_lshl_b32 s18, s11, 3
	s_lshl_b32 s19, s11, 4
	s_mul_i32 s17, s11, 14
	s_mul_i32 s20, s11, 12
	v_add_co_u32 v4, vcc_lo, s4, v0
	v_add_co_ci_u32_e32 v5, vcc_lo, s5, v1, vcc_lo
	v_add_co_u32 v0, vcc_lo, s6, v0
	v_add_co_ci_u32_e32 v1, vcc_lo, s7, v1, vcc_lo
	global_load_b32 v4, v[4:5], off
	v_add_nc_u32_e32 v2, s11, v2
	global_load_b32 v0, v[0:1], off
	s_waitcnt vmcnt(0)
	v_sub_f32_e32 v7, v4, v0
	v_lshlrev_b64 v[0:1], 2, v[2:3]
	v_add_nc_u32_e32 v2, s11, v2
	s_delay_alu instid0(VALU_DEP_2) | instskip(NEXT) | instid1(VALU_DEP_3)
	v_add_co_u32 v4, vcc_lo, s4, v0
	v_add_co_ci_u32_e32 v5, vcc_lo, s5, v1, vcc_lo
	v_add_co_u32 v0, vcc_lo, s6, v0
	v_add_co_ci_u32_e32 v1, vcc_lo, s7, v1, vcc_lo
	global_load_b32 v4, v[4:5], off
	global_load_b32 v0, v[0:1], off
	s_waitcnt vmcnt(0)
	v_sub_f32_e32 v0, v4, v0
	s_delay_alu instid0(VALU_DEP_1) | instskip(SKIP_2) | instid1(VALU_DEP_2)
	v_add_f32_e32 v7, v7, v0
	v_lshlrev_b64 v[0:1], 2, v[2:3]
	v_add_nc_u32_e32 v2, s11, v2
	v_add_co_u32 v4, vcc_lo, s4, v0
	s_delay_alu instid0(VALU_DEP_3)
	v_add_co_ci_u32_e32 v5, vcc_lo, s5, v1, vcc_lo
	v_add_co_u32 v0, vcc_lo, s6, v0
	v_add_co_ci_u32_e32 v1, vcc_lo, s7, v1, vcc_lo
	global_load_b32 v4, v[4:5], off
	global_load_b32 v0, v[0:1], off
	s_waitcnt vmcnt(0)
	v_sub_f32_e32 v0, v4, v0
	s_delay_alu instid0(VALU_DEP_1) | instskip(SKIP_2) | instid1(VALU_DEP_2)
	v_add_f32_e32 v7, v7, v0
	v_lshlrev_b64 v[0:1], 2, v[2:3]
	v_add_nc_u32_e32 v2, s0, v2
	v_add_co_u32 v4, vcc_lo, s4, v0
	s_delay_alu instid0(VALU_DEP_3)
	v_add_co_ci_u32_e32 v5, vcc_lo, s5, v1, vcc_lo
	v_add_co_u32 v0, vcc_lo, s6, v0
	v_add_co_ci_u32_e32 v1, vcc_lo, s7, v1, vcc_lo
	global_load_b32 v4, v[4:5], off
	global_load_b32 v0, v[0:1], off
	s_waitcnt vmcnt(0)
	v_sub_f32_e32 v0, v4, v0
	s_delay_alu instid0(VALU_DEP_1) | instskip(SKIP_1) | instid1(VALU_DEP_1)
	v_add_f32_e32 v10, v7, v0
	v_lshlrev_b64 v[0:1], 2, v[2:3]
	v_add_co_u32 v4, vcc_lo, s4, v0
	s_delay_alu instid0(VALU_DEP_2)
	v_add_co_ci_u32_e32 v5, vcc_lo, s5, v1, vcc_lo
	v_add_co_u32 v0, vcc_lo, s6, v0
	v_add_co_ci_u32_e32 v1, vcc_lo, s7, v1, vcc_lo
	global_load_b32 v4, v[4:5], off
	global_load_b32 v0, v[0:1], off
	s_waitcnt vmcnt(0)
	v_dual_sub_f32 v7, v4, v0 :: v_dual_add_nc_u32 v2, s11, v2
	s_delay_alu instid0(VALU_DEP_1) | instskip(NEXT) | instid1(VALU_DEP_1)
	v_lshlrev_b64 v[0:1], 2, v[2:3]
	v_add_co_u32 v4, vcc_lo, s4, v0
	s_delay_alu instid0(VALU_DEP_2)
	v_add_co_ci_u32_e32 v5, vcc_lo, s5, v1, vcc_lo
	v_add_co_u32 v0, vcc_lo, s6, v0
	v_add_co_ci_u32_e32 v1, vcc_lo, s7, v1, vcc_lo
	global_load_b32 v4, v[4:5], off
	global_load_b32 v0, v[0:1], off
	s_waitcnt vmcnt(0)
	v_sub_f32_e32 v0, v4, v0
	s_delay_alu instid0(VALU_DEP_1) | instskip(NEXT) | instid1(VALU_DEP_1)
	v_dual_add_f32 v11, v7, v0 :: v_dual_add_nc_u32 v2, s12, v2
	v_lshlrev_b64 v[0:1], 2, v[2:3]
	s_delay_alu instid0(VALU_DEP_1) | instskip(NEXT) | instid1(VALU_DEP_2)
	v_add_co_u32 v4, vcc_lo, s4, v0
	v_add_co_ci_u32_e32 v5, vcc_lo, s5, v1, vcc_lo
	v_add_co_u32 v0, vcc_lo, s6, v0
	v_add_co_ci_u32_e32 v1, vcc_lo, s7, v1, vcc_lo
	global_load_b32 v4, v[4:5], off
	global_load_b32 v0, v[0:1], off
	s_waitcnt vmcnt(0)
	v_dual_sub_f32 v7, v4, v0 :: v_dual_add_nc_u32 v2, s11, v2
	s_delay_alu instid0(VALU_DEP_1) | instskip(NEXT) | instid1(VALU_DEP_1)
	v_lshlrev_b64 v[0:1], 2, v[2:3]
	v_add_co_u32 v4, vcc_lo, s4, v0
	s_delay_alu instid0(VALU_DEP_2)
	v_add_co_ci_u32_e32 v5, vcc_lo, s5, v1, vcc_lo
	v_add_co_u32 v0, vcc_lo, s6, v0
	v_add_co_ci_u32_e32 v1, vcc_lo, s7, v1, vcc_lo
	global_load_b32 v4, v[4:5], off
	global_load_b32 v0, v[0:1], off
	s_waitcnt vmcnt(0)
	v_sub_f32_e32 v0, v4, v0
	s_delay_alu instid0(VALU_DEP_1) | instskip(SKIP_2) | instid1(VALU_DEP_1)
	v_add_f32_e32 v8, v7, v0
	v_mad_u64_u32 v[0:1], null, 0xffffffe9, s11, v[2:3]
	v_mov_b32_e32 v1, v3
	v_lshlrev_b64 v[1:2], 2, v[0:1]
	s_delay_alu instid0(VALU_DEP_1) | instskip(NEXT) | instid1(VALU_DEP_2)
	v_add_co_u32 v4, vcc_lo, s4, v1
	v_add_co_ci_u32_e32 v5, vcc_lo, s5, v2, vcc_lo
	v_add_co_u32 v1, vcc_lo, s6, v1
	v_add_co_ci_u32_e32 v2, vcc_lo, s7, v2, vcc_lo
	global_load_b32 v4, v[4:5], off
	global_load_b32 v1, v[1:2], off
	s_waitcnt vmcnt(0)
	v_dual_sub_f32 v7, v4, v1 :: v_dual_add_nc_u32 v2, s11, v0
	s_delay_alu instid0(VALU_DEP_1) | instskip(NEXT) | instid1(VALU_DEP_1)
	v_lshlrev_b64 v[0:1], 2, v[2:3]
	v_add_co_u32 v4, vcc_lo, s4, v0
	s_delay_alu instid0(VALU_DEP_2)
	v_add_co_ci_u32_e32 v5, vcc_lo, s5, v1, vcc_lo
	global_load_b32 v9, v[4:5], off
	v_add_co_u32 v4, vcc_lo, s6, v0
	v_add_co_ci_u32_e32 v5, vcc_lo, s7, v1, vcc_lo
	global_load_b32 v4, v[4:5], off
	s_waitcnt vmcnt(0)
	v_sub_f32_e32 v4, v9, v4
	s_delay_alu instid0(VALU_DEP_1) | instskip(NEXT) | instid1(VALU_DEP_1)
	v_dual_add_f32 v7, v7, v4 :: v_dual_add_nc_u32 v2, s11, v2
	v_lshlrev_b64 v[4:5], 2, v[2:3]
	s_delay_alu instid0(VALU_DEP_1) | instskip(NEXT) | instid1(VALU_DEP_2)
	v_add_co_u32 v12, vcc_lo, s4, v4
	v_add_co_ci_u32_e32 v13, vcc_lo, s5, v5, vcc_lo
	v_add_co_u32 v4, vcc_lo, s6, v4
	v_add_co_ci_u32_e32 v5, vcc_lo, s7, v5, vcc_lo
	global_load_b32 v9, v[12:13], off
	global_load_b32 v4, v[4:5], off
	s_waitcnt vmcnt(0)
	v_sub_f32_e32 v4, v9, v4
	s_delay_alu instid0(VALU_DEP_1) | instskip(NEXT) | instid1(VALU_DEP_1)
	v_dual_add_f32 v7, v7, v4 :: v_dual_add_nc_u32 v2, s11, v2
	v_lshlrev_b64 v[4:5], 2, v[2:3]
	s_delay_alu instid0(VALU_DEP_1) | instskip(NEXT) | instid1(VALU_DEP_2)
	v_add_co_u32 v12, vcc_lo, s4, v4
	v_add_co_ci_u32_e32 v13, vcc_lo, s5, v5, vcc_lo
	v_add_co_u32 v4, vcc_lo, s6, v4
	v_add_co_ci_u32_e32 v5, vcc_lo, s7, v5, vcc_lo
	global_load_b32 v2, v[12:13], off
	global_load_b32 v4, v[4:5], off
	s_waitcnt vmcnt(0)
	v_sub_f32_e32 v2, v2, v4
	s_delay_alu instid0(VALU_DEP_1) | instskip(SKIP_1) | instid1(VALU_DEP_1)
	v_add_f32_e32 v7, v7, v2
	v_add_nc_u32_e32 v2, s11, v6
	v_lshlrev_b64 v[4:5], 2, v[2:3]
	v_add_nc_u32_e32 v2, s11, v2
	s_delay_alu instid0(VALU_DEP_2) | instskip(NEXT) | instid1(VALU_DEP_3)
	v_add_co_u32 v12, vcc_lo, s4, v4
	v_add_co_ci_u32_e32 v13, vcc_lo, s5, v5, vcc_lo
	v_add_co_u32 v4, vcc_lo, s6, v4
	v_add_co_ci_u32_e32 v5, vcc_lo, s7, v5, vcc_lo
	global_load_b32 v9, v[12:13], off
	global_load_b32 v4, v[4:5], off
	s_waitcnt vmcnt(0)
	v_sub_f32_e32 v13, v9, v4
	v_lshlrev_b64 v[4:5], 2, v[2:3]
	s_delay_alu instid0(VALU_DEP_1) | instskip(NEXT) | instid1(VALU_DEP_2)
	v_add_co_u32 v14, vcc_lo, s4, v4
	v_add_co_ci_u32_e32 v15, vcc_lo, s5, v5, vcc_lo
	global_load_b32 v9, v[14:15], off
	v_add_co_u32 v14, vcc_lo, s6, v4
	v_add_co_ci_u32_e32 v15, vcc_lo, s7, v5, vcc_lo
	global_load_b32 v12, v[14:15], off
	s_waitcnt vmcnt(0)
	v_sub_f32_e32 v9, v9, v12
	s_delay_alu instid0(VALU_DEP_1) | instskip(NEXT) | instid1(VALU_DEP_1)
	v_sub_f32_e64 v12, -v13, v9
	v_dual_add_f32 v7, v7, v12 :: v_dual_add_nc_u32 v2, s14, v2
	s_delay_alu instid0(VALU_DEP_1) | instskip(NEXT) | instid1(VALU_DEP_1)
	v_lshlrev_b64 v[14:15], 2, v[2:3]
	v_add_co_u32 v16, vcc_lo, s4, v14
	s_delay_alu instid0(VALU_DEP_2)
	v_add_co_ci_u32_e32 v17, vcc_lo, s5, v15, vcc_lo
	v_add_co_u32 v14, vcc_lo, s6, v14
	v_add_co_ci_u32_e32 v15, vcc_lo, s7, v15, vcc_lo
	global_load_b32 v12, v[16:17], off
	global_load_b32 v14, v[14:15], off
	s_waitcnt vmcnt(0)
	v_sub_f32_e32 v12, v12, v14
	s_delay_alu instid0(VALU_DEP_1) | instskip(NEXT) | instid1(VALU_DEP_1)
	v_dual_add_f32 v7, v7, v12 :: v_dual_add_nc_u32 v2, s13, v2
	v_lshlrev_b64 v[14:15], 2, v[2:3]
	v_add_nc_u32_e32 v2, s0, v2
	s_delay_alu instid0(VALU_DEP_2) | instskip(NEXT) | instid1(VALU_DEP_3)
	v_add_co_u32 v16, vcc_lo, s4, v14
	v_add_co_ci_u32_e32 v17, vcc_lo, s5, v15, vcc_lo
	v_add_co_u32 v14, vcc_lo, s6, v14
	v_add_co_ci_u32_e32 v15, vcc_lo, s7, v15, vcc_lo
	global_load_b32 v16, v[16:17], off
	global_load_b32 v14, v[14:15], off
	s_waitcnt vmcnt(0)
	v_sub_f32_e32 v14, v16, v14
	s_delay_alu instid0(VALU_DEP_1) | instskip(SKIP_2) | instid1(VALU_DEP_2)
	v_add_f32_e32 v7, v7, v14
	v_lshlrev_b64 v[14:15], 2, v[2:3]
	v_add_nc_u32_e32 v2, s22, v2
	v_add_co_u32 v16, vcc_lo, s4, v14
	s_delay_alu instid0(VALU_DEP_3)
	v_add_co_ci_u32_e32 v17, vcc_lo, s5, v15, vcc_lo
	v_add_co_u32 v14, vcc_lo, s6, v14
	v_add_co_ci_u32_e32 v15, vcc_lo, s7, v15, vcc_lo
	global_load_b32 v16, v[16:17], off
	global_load_b32 v14, v[14:15], off
	s_waitcnt vmcnt(0)
	v_sub_f32_e32 v14, v16, v14
	s_delay_alu instid0(VALU_DEP_1) | instskip(SKIP_2) | instid1(VALU_DEP_2)
	v_sub_f32_e32 v7, v7, v14
	v_lshlrev_b64 v[14:15], 2, v[2:3]
	v_add_nc_u32_e32 v2, s13, v2
	v_add_co_u32 v16, vcc_lo, s4, v14
	s_delay_alu instid0(VALU_DEP_3)
	v_add_co_ci_u32_e32 v17, vcc_lo, s5, v15, vcc_lo
	v_add_co_u32 v14, vcc_lo, s6, v14
	v_add_co_ci_u32_e32 v15, vcc_lo, s7, v15, vcc_lo
	global_load_b32 v16, v[16:17], off
	global_load_b32 v14, v[14:15], off
	s_waitcnt vmcnt(0)
	v_sub_f32_e32 v14, v16, v14
	s_delay_alu instid0(VALU_DEP_1) | instskip(SKIP_2) | instid1(VALU_DEP_2)
	v_sub_f32_e32 v7, v7, v14
	v_lshlrev_b64 v[14:15], 2, v[2:3]
	v_add_nc_u32_e32 v2, s0, v2
	v_add_co_u32 v16, vcc_lo, s4, v14
	s_delay_alu instid0(VALU_DEP_3)
	v_add_co_ci_u32_e32 v17, vcc_lo, s5, v15, vcc_lo
	v_add_co_u32 v14, vcc_lo, s6, v14
	v_add_co_ci_u32_e32 v15, vcc_lo, s7, v15, vcc_lo
	global_load_b32 v16, v[16:17], off
	global_load_b32 v14, v[14:15], off
	s_waitcnt vmcnt(0)
	v_sub_f32_e32 v14, v16, v14
	s_delay_alu instid0(VALU_DEP_1) | instskip(SKIP_2) | instid1(VALU_DEP_2)
	v_add_f32_e32 v7, v7, v14
	v_lshlrev_b64 v[14:15], 2, v[2:3]
	v_add_nc_u32_e32 v2, s15, v2
	v_add_co_u32 v16, vcc_lo, s4, v14
	s_delay_alu instid0(VALU_DEP_3)
	v_add_co_ci_u32_e32 v17, vcc_lo, s5, v15, vcc_lo
	v_add_co_u32 v14, vcc_lo, s6, v14
	v_add_co_ci_u32_e32 v15, vcc_lo, s7, v15, vcc_lo
	global_load_b32 v16, v[16:17], off
	global_load_b32 v14, v[14:15], off
	s_waitcnt vmcnt(0)
	v_sub_f32_e32 v14, v16, v14
	s_delay_alu instid0(VALU_DEP_1) | instskip(SKIP_2) | instid1(VALU_DEP_2)
	v_sub_f32_e32 v7, v7, v14
	v_lshlrev_b64 v[14:15], 2, v[2:3]
	v_add_nc_u32_e32 v2, s16, v2
	v_add_co_u32 v16, vcc_lo, s4, v14
	s_delay_alu instid0(VALU_DEP_3)
	v_add_co_ci_u32_e32 v17, vcc_lo, s5, v15, vcc_lo
	v_add_co_u32 v14, vcc_lo, s6, v14
	v_add_co_ci_u32_e32 v15, vcc_lo, s7, v15, vcc_lo
	global_load_b32 v16, v[16:17], off
	global_load_b32 v14, v[14:15], off
	s_waitcnt vmcnt(0)
	v_sub_f32_e32 v14, v16, v14
	s_delay_alu instid0(VALU_DEP_1) | instskip(SKIP_2) | instid1(VALU_DEP_2)
	v_add_f32_e32 v7, v7, v14
	v_lshlrev_b64 v[14:15], 2, v[2:3]
	v_add_nc_u32_e32 v2, s11, v2
	v_add_co_u32 v16, vcc_lo, s4, v14
	s_delay_alu instid0(VALU_DEP_3)
	v_add_co_ci_u32_e32 v17, vcc_lo, s5, v15, vcc_lo
	v_add_co_u32 v14, vcc_lo, s6, v14
	v_add_co_ci_u32_e32 v15, vcc_lo, s7, v15, vcc_lo
	global_load_b32 v16, v[16:17], off
	global_load_b32 v14, v[14:15], off
	s_waitcnt vmcnt(0)
	v_sub_f32_e32 v14, v16, v14
	s_delay_alu instid0(VALU_DEP_1) | instskip(SKIP_2) | instid1(VALU_DEP_2)
	v_add_f32_e32 v7, v7, v14
	v_lshlrev_b64 v[14:15], 2, v[2:3]
	v_add_nc_u32_e32 v2, s23, v2
	v_add_co_u32 v16, vcc_lo, s4, v14
	s_delay_alu instid0(VALU_DEP_3)
	v_add_co_ci_u32_e32 v17, vcc_lo, s5, v15, vcc_lo
	v_add_co_u32 v14, vcc_lo, s6, v14
	v_add_co_ci_u32_e32 v15, vcc_lo, s7, v15, vcc_lo
	global_load_b32 v16, v[16:17], off
	global_load_b32 v14, v[14:15], off
	s_waitcnt vmcnt(0)
	v_sub_f32_e32 v19, v16, v14
	v_lshlrev_b64 v[14:15], 2, v[2:3]
	s_delay_alu instid0(VALU_DEP_2) | instskip(NEXT) | instid1(VALU_DEP_2)
	v_dual_add_f32 v7, v7, v19 :: v_dual_add_nc_u32 v2, s18, v2
	v_add_co_u32 v16, vcc_lo, s4, v14
	s_delay_alu instid0(VALU_DEP_3)
	v_add_co_ci_u32_e32 v17, vcc_lo, s5, v15, vcc_lo
	v_add_co_u32 v14, vcc_lo, s6, v14
	v_add_co_ci_u32_e32 v15, vcc_lo, s7, v15, vcc_lo
	global_load_b32 v16, v[16:17], off
	global_load_b32 v14, v[14:15], off
	s_waitcnt vmcnt(0)
	v_sub_f32_e32 v14, v16, v14
	s_delay_alu instid0(VALU_DEP_1) | instskip(SKIP_1) | instid1(VALU_DEP_1)
	v_sub_f32_e32 v7, v7, v14
	v_lshlrev_b64 v[14:15], 2, v[2:3]
	v_add_co_u32 v16, vcc_lo, s4, v14
	s_delay_alu instid0(VALU_DEP_2)
	v_add_co_ci_u32_e32 v17, vcc_lo, s5, v15, vcc_lo
	v_add_co_u32 v14, vcc_lo, s6, v14
	v_add_co_ci_u32_e32 v15, vcc_lo, s7, v15, vcc_lo
	global_load_b32 v16, v[16:17], off
	global_load_b32 v14, v[14:15], off
	s_waitcnt vmcnt(0)
	v_sub_f32_e32 v14, v16, v14
	s_delay_alu instid0(VALU_DEP_1) | instskip(SKIP_2) | instid1(VALU_DEP_1)
	v_add_f32_e32 v7, v7, v14
	v_mad_u64_u32 v[14:15], null, s11, 24, v[2:3]
	v_mov_b32_e32 v15, v3
	v_lshlrev_b64 v[15:16], 2, v[14:15]
	s_delay_alu instid0(VALU_DEP_1) | instskip(NEXT) | instid1(VALU_DEP_2)
	v_add_co_u32 v17, vcc_lo, s4, v15
	v_add_co_ci_u32_e32 v18, vcc_lo, s5, v16, vcc_lo
	v_add_co_u32 v15, vcc_lo, s6, v15
	v_add_co_ci_u32_e32 v16, vcc_lo, s7, v16, vcc_lo
	global_load_b32 v2, v[17:18], off
	global_load_b32 v15, v[15:16], off
	s_waitcnt vmcnt(0)
	v_sub_f32_e32 v2, v2, v15
	s_delay_alu instid0(VALU_DEP_1) | instskip(SKIP_1) | instid1(VALU_DEP_1)
	v_add_f32_e32 v7, v7, v2
	v_add_nc_u32_e32 v2, s13, v14
	v_lshlrev_b64 v[14:15], 2, v[2:3]
	s_delay_alu instid0(VALU_DEP_1) | instskip(NEXT) | instid1(VALU_DEP_2)
	v_add_co_u32 v16, vcc_lo, s4, v14
	v_add_co_ci_u32_e32 v17, vcc_lo, s5, v15, vcc_lo
	v_add_co_u32 v14, vcc_lo, s6, v14
	v_add_co_ci_u32_e32 v15, vcc_lo, s7, v15, vcc_lo
	global_load_b32 v16, v[16:17], off
	global_load_b32 v14, v[14:15], off
	s_waitcnt vmcnt(0)
	v_sub_f32_e32 v14, v16, v14
	s_delay_alu instid0(VALU_DEP_1) | instskip(SKIP_2) | instid1(VALU_DEP_1)
	v_add_f32_e32 v7, v7, v14
	v_mad_u64_u32 v[14:15], null, s11, 25, v[2:3]
	v_mov_b32_e32 v15, v3
	v_lshlrev_b64 v[15:16], 2, v[14:15]
	s_delay_alu instid0(VALU_DEP_1) | instskip(NEXT) | instid1(VALU_DEP_2)
	v_add_co_u32 v17, vcc_lo, s4, v15
	v_add_co_ci_u32_e32 v18, vcc_lo, s5, v16, vcc_lo
	v_add_co_u32 v15, vcc_lo, s6, v15
	v_add_co_ci_u32_e32 v16, vcc_lo, s7, v16, vcc_lo
	global_load_b32 v2, v[17:18], off
	global_load_b32 v15, v[15:16], off
	s_waitcnt vmcnt(0)
	v_sub_f32_e32 v2, v2, v15
	s_delay_alu instid0(VALU_DEP_1) | instskip(SKIP_1) | instid1(VALU_DEP_1)
	v_add_f32_e32 v7, v7, v2
	v_add_nc_u32_e32 v2, s13, v14
	v_lshlrev_b64 v[14:15], 2, v[2:3]
	v_add_nc_u32_e32 v2, s11, v2
	s_delay_alu instid0(VALU_DEP_2) | instskip(NEXT) | instid1(VALU_DEP_3)
	v_add_co_u32 v16, vcc_lo, s4, v14
	v_add_co_ci_u32_e32 v17, vcc_lo, s5, v15, vcc_lo
	v_add_co_u32 v14, vcc_lo, s6, v14
	v_add_co_ci_u32_e32 v15, vcc_lo, s7, v15, vcc_lo
	global_load_b32 v16, v[16:17], off
	global_load_b32 v14, v[14:15], off
	s_waitcnt vmcnt(0)
	v_sub_f32_e32 v14, v16, v14
	s_delay_alu instid0(VALU_DEP_1) | instskip(SKIP_2) | instid1(VALU_DEP_2)
	v_add_f32_e32 v7, v7, v14
	v_lshlrev_b64 v[14:15], 2, v[2:3]
	v_add_nc_u32_e32 v2, s19, v2
	v_add_co_u32 v16, vcc_lo, s4, v14
	s_delay_alu instid0(VALU_DEP_3)
	v_add_co_ci_u32_e32 v17, vcc_lo, s5, v15, vcc_lo
	v_add_co_u32 v14, vcc_lo, s6, v14
	v_add_co_ci_u32_e32 v15, vcc_lo, s7, v15, vcc_lo
	global_load_b32 v16, v[16:17], off
	global_load_b32 v14, v[14:15], off
	s_waitcnt vmcnt(0)
	v_sub_f32_e32 v14, v16, v14
	s_delay_alu instid0(VALU_DEP_1) | instskip(SKIP_2) | instid1(VALU_DEP_2)
	v_add_f32_e32 v7, v7, v14
	v_lshlrev_b64 v[14:15], 2, v[2:3]
	v_add_nc_u32_e32 v2, s22, v2
	v_add_co_u32 v16, vcc_lo, s4, v14
	s_delay_alu instid0(VALU_DEP_3)
	;; [unrolled: 13-line block ×7, first 2 shown]
	v_add_co_ci_u32_e32 v17, vcc_lo, s5, v15, vcc_lo
	v_add_co_u32 v14, vcc_lo, s6, v14
	v_add_co_ci_u32_e32 v15, vcc_lo, s7, v15, vcc_lo
	global_load_b32 v16, v[16:17], off
	global_load_b32 v14, v[14:15], off
	s_waitcnt vmcnt(0)
	v_sub_f32_e32 v14, v16, v14
	s_delay_alu instid0(VALU_DEP_1) | instskip(SKIP_1) | instid1(VALU_DEP_1)
	v_add_f32_e32 v7, v7, v14
	v_lshlrev_b64 v[14:15], 2, v[2:3]
	v_add_co_u32 v16, vcc_lo, s4, v14
	s_delay_alu instid0(VALU_DEP_2)
	v_add_co_ci_u32_e32 v17, vcc_lo, s5, v15, vcc_lo
	v_add_co_u32 v14, vcc_lo, s6, v14
	v_add_co_ci_u32_e32 v15, vcc_lo, s7, v15, vcc_lo
	global_load_b32 v16, v[16:17], off
	global_load_b32 v14, v[14:15], off
	s_waitcnt vmcnt(0)
	v_sub_f32_e32 v14, v16, v14
	s_delay_alu instid0(VALU_DEP_1) | instskip(NEXT) | instid1(VALU_DEP_1)
	v_add_f32_e32 v7, v7, v14
	v_mul_f32_e32 v7, s10, v7
	s_waitcnt lgkmcnt(0)
	s_delay_alu instid0(VALU_DEP_1) | instskip(SKIP_1) | instid1(VALU_DEP_1)
	v_dual_mul_f32 v16, s21, v7 :: v_dual_mov_b32 v7, v3
	s_mul_i32 s21, s11, 17
	v_lshlrev_b64 v[6:7], 2, v[6:7]
	s_delay_alu instid0(VALU_DEP_1) | instskip(NEXT) | instid1(VALU_DEP_2)
	v_add_co_u32 v14, vcc_lo, s2, v6
	v_add_co_ci_u32_e32 v15, vcc_lo, s3, v7, vcc_lo
	global_store_b32 v[14:15], v16, off
	v_add_co_u32 v14, vcc_lo, s4, v6
	v_add_co_ci_u32_e32 v15, vcc_lo, s5, v7, vcc_lo
	v_add_co_u32 v6, vcc_lo, s6, v6
	v_add_co_ci_u32_e32 v7, vcc_lo, s7, v7, vcc_lo
	global_load_b32 v14, v[14:15], off
	v_mad_u64_u32 v[16:17], null, 0xffffff3c, s11, v[2:3]
	global_load_b32 v6, v[6:7], off
	v_mov_b32_e32 v17, v3
	s_waitcnt vmcnt(0)
	v_sub_f32_e32 v15, v14, v6
	s_delay_alu instid0(VALU_DEP_2) | instskip(NEXT) | instid1(VALU_DEP_2)
	v_lshlrev_b64 v[6:7], 2, v[16:17]
	v_sub_f32_e32 v18, v15, v13
	s_delay_alu instid0(VALU_DEP_2) | instskip(NEXT) | instid1(VALU_DEP_3)
	v_add_co_u32 v13, vcc_lo, s4, v6
	v_add_co_ci_u32_e32 v14, vcc_lo, s5, v7, vcc_lo
	global_load_b32 v2, v[13:14], off
	v_add_co_u32 v13, vcc_lo, s6, v6
	v_add_co_ci_u32_e32 v14, vcc_lo, s7, v7, vcc_lo
	global_load_b32 v13, v[13:14], off
	s_waitcnt vmcnt(0)
	v_dual_sub_f32 v13, v2, v13 :: v_dual_add_nc_u32 v2, s13, v16
	s_delay_alu instid0(VALU_DEP_1) | instskip(NEXT) | instid1(VALU_DEP_2)
	v_add_f32_e32 v14, v18, v13
	v_lshlrev_b64 v[16:17], 2, v[2:3]
	v_dual_add_f32 v13, v9, v13 :: v_dual_add_nc_u32 v2, s11, v2
	s_delay_alu instid0(VALU_DEP_2) | instskip(NEXT) | instid1(VALU_DEP_3)
	v_add_co_u32 v20, vcc_lo, s4, v16
	v_add_co_ci_u32_e32 v21, vcc_lo, s5, v17, vcc_lo
	v_add_co_u32 v16, vcc_lo, s6, v16
	v_add_co_ci_u32_e32 v17, vcc_lo, s7, v17, vcc_lo
	global_load_b32 v18, v[20:21], off
	global_load_b32 v16, v[16:17], off
	s_waitcnt vmcnt(0)
	v_sub_f32_e32 v16, v18, v16
	s_delay_alu instid0(VALU_DEP_1) | instskip(SKIP_2) | instid1(VALU_DEP_2)
	v_sub_f32_e32 v14, v14, v16
	v_lshlrev_b64 v[16:17], 2, v[2:3]
	v_add_nc_u32_e32 v2, s13, v2
	v_add_co_u32 v20, vcc_lo, s4, v16
	s_delay_alu instid0(VALU_DEP_3)
	v_add_co_ci_u32_e32 v21, vcc_lo, s5, v17, vcc_lo
	v_add_co_u32 v16, vcc_lo, s6, v16
	v_add_co_ci_u32_e32 v17, vcc_lo, s7, v17, vcc_lo
	global_load_b32 v18, v[20:21], off
	global_load_b32 v16, v[16:17], off
	s_waitcnt vmcnt(0)
	v_sub_f32_e32 v16, v18, v16
	v_lshlrev_b64 v[17:18], 2, v[2:3]
	v_add_nc_u32_e32 v2, s23, v2
	s_delay_alu instid0(VALU_DEP_3) | instskip(NEXT) | instid1(VALU_DEP_3)
	v_sub_f32_e32 v14, v14, v16
	v_add_co_u32 v20, vcc_lo, s4, v17
	s_delay_alu instid0(VALU_DEP_4)
	v_add_co_ci_u32_e32 v21, vcc_lo, s5, v18, vcc_lo
	v_add_co_u32 v17, vcc_lo, s6, v17
	v_add_co_ci_u32_e32 v18, vcc_lo, s7, v18, vcc_lo
	v_sub_f32_e32 v22, v14, v16
	global_load_b32 v14, v[20:21], off
	global_load_b32 v17, v[17:18], off
	s_waitcnt vmcnt(0)
	v_sub_f32_e32 v14, v14, v17
	v_lshlrev_b64 v[17:18], 2, v[2:3]
	v_add_nc_u32_e32 v2, s13, v2
	s_delay_alu instid0(VALU_DEP_3) | instskip(NEXT) | instid1(VALU_DEP_3)
	v_add_f32_e32 v22, v22, v14
	v_add_co_u32 v20, vcc_lo, s4, v17
	s_delay_alu instid0(VALU_DEP_4)
	v_add_co_ci_u32_e32 v21, vcc_lo, s5, v18, vcc_lo
	v_add_co_u32 v17, vcc_lo, s6, v17
	v_add_co_ci_u32_e32 v18, vcc_lo, s7, v18, vcc_lo
	global_load_b32 v20, v[20:21], off
	global_load_b32 v17, v[17:18], off
	s_waitcnt vmcnt(0)
	v_sub_f32_e32 v17, v20, v17
	v_lshlrev_b64 v[20:21], 2, v[2:3]
	v_add_nc_u32_e32 v2, s23, v2
	s_delay_alu instid0(VALU_DEP_3) | instskip(NEXT) | instid1(VALU_DEP_3)
	v_sub_f32_e32 v18, v22, v17
	v_add_co_u32 v22, vcc_lo, s4, v20
	s_delay_alu instid0(VALU_DEP_4)
	v_add_co_ci_u32_e32 v23, vcc_lo, s5, v21, vcc_lo
	v_add_co_u32 v20, vcc_lo, s6, v20
	v_add_co_ci_u32_e32 v21, vcc_lo, s7, v21, vcc_lo
	global_load_b32 v22, v[22:23], off
	global_load_b32 v20, v[20:21], off
	s_waitcnt vmcnt(0)
	v_sub_f32_e32 v20, v22, v20
	s_delay_alu instid0(VALU_DEP_1) | instskip(SKIP_2) | instid1(VALU_DEP_2)
	v_sub_f32_e32 v18, v18, v20
	v_lshlrev_b64 v[20:21], 2, v[2:3]
	v_add_nc_u32_e32 v2, s23, v2
	v_add_co_u32 v22, vcc_lo, s4, v20
	s_delay_alu instid0(VALU_DEP_3)
	v_add_co_ci_u32_e32 v23, vcc_lo, s5, v21, vcc_lo
	v_add_co_u32 v20, vcc_lo, s6, v20
	v_add_co_ci_u32_e32 v21, vcc_lo, s7, v21, vcc_lo
	global_load_b32 v22, v[22:23], off
	global_load_b32 v20, v[20:21], off
	s_waitcnt vmcnt(0)
	v_sub_f32_e32 v20, v22, v20
	s_delay_alu instid0(VALU_DEP_1) | instskip(SKIP_2) | instid1(VALU_DEP_2)
	v_sub_f32_e32 v24, v18, v20
	v_lshlrev_b64 v[20:21], 2, v[2:3]
	v_add_nc_u32_e32 v2, s16, v2
	v_add_co_u32 v22, vcc_lo, s4, v20
	s_delay_alu instid0(VALU_DEP_3)
	v_add_co_ci_u32_e32 v23, vcc_lo, s5, v21, vcc_lo
	v_add_co_u32 v20, vcc_lo, s6, v20
	v_add_co_ci_u32_e32 v21, vcc_lo, s7, v21, vcc_lo
	global_load_b32 v18, v[22:23], off
	global_load_b32 v20, v[20:21], off
	s_waitcnt vmcnt(0)
	v_sub_f32_e32 v18, v18, v20
	v_lshlrev_b64 v[20:21], 2, v[2:3]
	v_add_nc_u32_e32 v2, s12, v2
	s_delay_alu instid0(VALU_DEP_3) | instskip(NEXT) | instid1(VALU_DEP_3)
	v_add_f32_e32 v24, v24, v18
	v_add_co_u32 v22, vcc_lo, s4, v20
	s_delay_alu instid0(VALU_DEP_4)
	v_add_co_ci_u32_e32 v23, vcc_lo, s5, v21, vcc_lo
	v_add_co_u32 v20, vcc_lo, s6, v20
	v_add_co_ci_u32_e32 v21, vcc_lo, s7, v21, vcc_lo
	global_load_b32 v22, v[22:23], off
	global_load_b32 v20, v[20:21], off
	s_waitcnt vmcnt(0)
	v_sub_f32_e32 v20, v22, v20
	s_delay_alu instid0(VALU_DEP_1) | instskip(SKIP_2) | instid1(VALU_DEP_2)
	v_sub_f32_e32 v24, v24, v20
	v_lshlrev_b64 v[20:21], 2, v[2:3]
	v_add_nc_u32_e32 v2, s22, v2
	v_add_co_u32 v22, vcc_lo, s4, v20
	s_delay_alu instid0(VALU_DEP_3)
	v_add_co_ci_u32_e32 v23, vcc_lo, s5, v21, vcc_lo
	v_add_co_u32 v20, vcc_lo, s6, v20
	v_add_co_ci_u32_e32 v21, vcc_lo, s7, v21, vcc_lo
	global_load_b32 v22, v[22:23], off
	global_load_b32 v20, v[20:21], off
	s_waitcnt vmcnt(0)
	v_sub_f32_e32 v20, v22, v20
	v_lshlrev_b64 v[21:22], 2, v[2:3]
	s_delay_alu instid0(VALU_DEP_2) | instskip(NEXT) | instid1(VALU_DEP_2)
	v_dual_add_f32 v25, v24, v20 :: v_dual_add_nc_u32 v2, s11, v2
	v_add_co_u32 v23, vcc_lo, s4, v21
	s_delay_alu instid0(VALU_DEP_3)
	v_add_co_ci_u32_e32 v24, vcc_lo, s5, v22, vcc_lo
	v_add_co_u32 v21, vcc_lo, s6, v21
	v_add_co_ci_u32_e32 v22, vcc_lo, s7, v22, vcc_lo
	global_load_b32 v23, v[23:24], off
	global_load_b32 v21, v[21:22], off
	s_waitcnt vmcnt(0)
	v_sub_f32_e32 v21, v23, v21
	s_delay_alu instid0(VALU_DEP_1) | instskip(SKIP_2) | instid1(VALU_DEP_2)
	v_sub_f32_e32 v25, v25, v21
	v_lshlrev_b64 v[21:22], 2, v[2:3]
	v_add_nc_u32_e32 v2, s13, v2
	v_add_co_u32 v23, vcc_lo, s4, v21
	s_delay_alu instid0(VALU_DEP_3)
	v_add_co_ci_u32_e32 v24, vcc_lo, s5, v22, vcc_lo
	v_add_co_u32 v21, vcc_lo, s6, v21
	v_add_co_ci_u32_e32 v22, vcc_lo, s7, v22, vcc_lo
	global_load_b32 v23, v[23:24], off
	global_load_b32 v21, v[21:22], off
	s_waitcnt vmcnt(0)
	v_sub_f32_e32 v21, v23, v21
	s_delay_alu instid0(VALU_DEP_1) | instskip(SKIP_2) | instid1(VALU_DEP_2)
	v_sub_f32_e32 v25, v25, v21
	v_lshlrev_b64 v[21:22], 2, v[2:3]
	v_add_nc_u32_e32 v2, s20, v2
	v_add_co_u32 v23, vcc_lo, s4, v21
	s_delay_alu instid0(VALU_DEP_3)
	v_add_co_ci_u32_e32 v24, vcc_lo, s5, v22, vcc_lo
	v_add_co_u32 v21, vcc_lo, s6, v21
	v_add_co_ci_u32_e32 v22, vcc_lo, s7, v22, vcc_lo
	global_load_b32 v23, v[23:24], off
	global_load_b32 v21, v[21:22], off
	s_waitcnt vmcnt(0)
	v_sub_f32_e32 v21, v23, v21
	s_delay_alu instid0(VALU_DEP_1) | instskip(NEXT) | instid1(VALU_DEP_1)
	v_sub_f32_e32 v21, v25, v21
	v_sub_f32_e32 v19, v21, v19
	v_lshlrev_b64 v[21:22], 2, v[2:3]
	v_add_nc_u32_e32 v2, s1, v2
	s_delay_alu instid0(VALU_DEP_2) | instskip(NEXT) | instid1(VALU_DEP_3)
	v_add_co_u32 v23, vcc_lo, s4, v21
	v_add_co_ci_u32_e32 v24, vcc_lo, s5, v22, vcc_lo
	v_add_co_u32 v21, vcc_lo, s6, v21
	v_add_co_ci_u32_e32 v22, vcc_lo, s7, v22, vcc_lo
	global_load_b32 v23, v[23:24], off
	global_load_b32 v21, v[21:22], off
	s_waitcnt vmcnt(0)
	v_sub_f32_e32 v21, v23, v21
	s_delay_alu instid0(VALU_DEP_1) | instskip(SKIP_2) | instid1(VALU_DEP_2)
	v_sub_f32_e32 v19, v19, v21
	v_lshlrev_b64 v[21:22], 2, v[2:3]
	v_add_nc_u32_e32 v2, s13, v2
	v_add_co_u32 v23, vcc_lo, s4, v21
	s_delay_alu instid0(VALU_DEP_3)
	v_add_co_ci_u32_e32 v24, vcc_lo, s5, v22, vcc_lo
	v_add_co_u32 v21, vcc_lo, s6, v21
	v_add_co_ci_u32_e32 v22, vcc_lo, s7, v22, vcc_lo
	global_load_b32 v23, v[23:24], off
	global_load_b32 v21, v[21:22], off
	s_waitcnt vmcnt(0)
	v_sub_f32_e32 v21, v23, v21
	s_delay_alu instid0(VALU_DEP_1) | instskip(SKIP_2) | instid1(VALU_DEP_2)
	v_sub_f32_e32 v19, v19, v21
	v_lshlrev_b64 v[21:22], 2, v[2:3]
	v_add_nc_u32_e32 v2, s23, v2
	v_add_co_u32 v23, vcc_lo, s4, v21
	s_delay_alu instid0(VALU_DEP_3)
	;; [unrolled: 13-line block ×3, first 2 shown]
	v_add_co_ci_u32_e32 v24, vcc_lo, s5, v22, vcc_lo
	v_add_co_u32 v21, vcc_lo, s6, v21
	v_add_co_ci_u32_e32 v22, vcc_lo, s7, v22, vcc_lo
	global_load_b32 v19, v[23:24], off
	global_load_b32 v21, v[21:22], off
	s_waitcnt vmcnt(0)
	v_sub_f32_e32 v19, v19, v21
	v_lshlrev_b64 v[21:22], 2, v[2:3]
	s_delay_alu instid0(VALU_DEP_2) | instskip(NEXT) | instid1(VALU_DEP_2)
	v_dual_add_f32 v25, v25, v19 :: v_dual_add_nc_u32 v2, s12, v2
	v_add_co_u32 v23, vcc_lo, s4, v21
	s_delay_alu instid0(VALU_DEP_3)
	v_add_co_ci_u32_e32 v24, vcc_lo, s5, v22, vcc_lo
	v_add_co_u32 v21, vcc_lo, s6, v21
	v_add_co_ci_u32_e32 v22, vcc_lo, s7, v22, vcc_lo
	global_load_b32 v23, v[23:24], off
	global_load_b32 v21, v[21:22], off
	s_waitcnt vmcnt(0)
	v_sub_f32_e32 v21, v23, v21
	s_delay_alu instid0(VALU_DEP_1) | instskip(SKIP_2) | instid1(VALU_DEP_2)
	v_sub_f32_e32 v25, v25, v21
	v_lshlrev_b64 v[21:22], 2, v[2:3]
	v_add_nc_u32_e32 v2, s13, v2
	v_add_co_u32 v23, vcc_lo, s4, v21
	s_delay_alu instid0(VALU_DEP_3)
	v_add_co_ci_u32_e32 v24, vcc_lo, s5, v22, vcc_lo
	v_add_co_u32 v21, vcc_lo, s6, v21
	v_add_co_ci_u32_e32 v22, vcc_lo, s7, v22, vcc_lo
	global_load_b32 v23, v[23:24], off
	global_load_b32 v21, v[21:22], off
	s_waitcnt vmcnt(0)
	v_sub_f32_e32 v21, v23, v21
	s_delay_alu instid0(VALU_DEP_1) | instskip(SKIP_2) | instid1(VALU_DEP_2)
	v_sub_f32_e32 v25, v25, v21
	v_lshlrev_b64 v[21:22], 2, v[2:3]
	v_add_nc_u32_e32 v2, s0, v2
	;; [unrolled: 13-line block ×10, first 2 shown]
	v_add_co_u32 v23, vcc_lo, s4, v21
	s_delay_alu instid0(VALU_DEP_3)
	v_add_co_ci_u32_e32 v24, vcc_lo, s5, v22, vcc_lo
	v_add_co_u32 v21, vcc_lo, s6, v21
	v_add_co_ci_u32_e32 v22, vcc_lo, s7, v22, vcc_lo
	global_load_b32 v23, v[23:24], off
	global_load_b32 v21, v[21:22], off
	s_waitcnt vmcnt(0)
	v_sub_f32_e32 v21, v23, v21
	v_lshlrev_b64 v[22:23], 2, v[2:3]
	v_add_nc_u32_e32 v2, s0, v2
	s_load_b64 s[0:1], s[8:9], 0x8
	s_delay_alu instid0(VALU_DEP_3) | instskip(NEXT) | instid1(VALU_DEP_3)
	v_add_f32_e32 v26, v25, v21
	v_add_co_u32 v24, vcc_lo, s4, v22
	s_delay_alu instid0(VALU_DEP_4)
	v_add_co_ci_u32_e32 v25, vcc_lo, s5, v23, vcc_lo
	v_add_co_u32 v22, vcc_lo, s6, v22
	v_add_co_ci_u32_e32 v23, vcc_lo, s7, v23, vcc_lo
	global_load_b32 v24, v[24:25], off
	global_load_b32 v22, v[22:23], off
	s_waitcnt vmcnt(0)
	v_sub_f32_e32 v22, v24, v22
	s_delay_alu instid0(VALU_DEP_1) | instskip(SKIP_2) | instid1(VALU_DEP_2)
	v_sub_f32_e32 v26, v26, v22
	v_lshlrev_b64 v[22:23], 2, v[2:3]
	v_add_nc_u32_e32 v2, s11, v2
	v_add_co_u32 v24, vcc_lo, s4, v22
	s_delay_alu instid0(VALU_DEP_3)
	v_add_co_ci_u32_e32 v25, vcc_lo, s5, v23, vcc_lo
	v_add_co_u32 v22, vcc_lo, s6, v22
	v_add_co_ci_u32_e32 v23, vcc_lo, s7, v23, vcc_lo
	global_load_b32 v24, v[24:25], off
	global_load_b32 v22, v[22:23], off
	s_waitcnt vmcnt(0)
	v_sub_f32_e32 v22, v24, v22
	s_delay_alu instid0(VALU_DEP_1) | instskip(SKIP_2) | instid1(VALU_DEP_2)
	v_sub_f32_e32 v26, v26, v22
	v_lshlrev_b64 v[22:23], 2, v[2:3]
	v_add_nc_u32_e32 v2, s11, v2
	v_add_co_u32 v24, vcc_lo, s4, v22
	s_delay_alu instid0(VALU_DEP_3)
	;; [unrolled: 13-line block ×9, first 2 shown]
	v_add_co_ci_u32_e32 v25, vcc_lo, s5, v23, vcc_lo
	v_add_co_u32 v22, vcc_lo, s6, v22
	v_add_co_ci_u32_e32 v23, vcc_lo, s7, v23, vcc_lo
	global_load_b32 v24, v[24:25], off
	global_load_b32 v22, v[22:23], off
	s_waitcnt vmcnt(0)
	v_sub_f32_e32 v22, v24, v22
	s_delay_alu instid0(VALU_DEP_1) | instskip(SKIP_1) | instid1(VALU_DEP_1)
	v_sub_f32_e32 v26, v26, v22
	v_lshlrev_b64 v[22:23], 2, v[2:3]
	v_add_co_u32 v24, vcc_lo, s4, v22
	s_delay_alu instid0(VALU_DEP_2)
	v_add_co_ci_u32_e32 v25, vcc_lo, s5, v23, vcc_lo
	v_add_co_u32 v22, vcc_lo, s6, v22
	v_add_co_ci_u32_e32 v23, vcc_lo, s7, v23, vcc_lo
	global_load_b32 v24, v[24:25], off
	v_add_co_u32 v4, vcc_lo, s2, v4
	global_load_b32 v22, v[22:23], off
	v_add_co_ci_u32_e32 v5, vcc_lo, s3, v5, vcc_lo
	s_waitcnt vmcnt(0)
	v_sub_f32_e32 v22, v24, v22
	s_delay_alu instid0(VALU_DEP_1) | instskip(NEXT) | instid1(VALU_DEP_1)
	v_sub_f32_e32 v22, v26, v22
	v_mul_f32_e32 v22, s10, v22
	s_waitcnt lgkmcnt(0)
	s_delay_alu instid0(VALU_DEP_1)
	v_mul_f32_e32 v22, s0, v22
	s_mul_i32 s0, s11, 13
	global_store_b32 v[4:5], v22, off
	v_sub_f32_e32 v4, v16, v15
	v_mad_u64_u32 v[15:16], null, 0xffffff4c, s11, v[2:3]
	v_mov_b32_e32 v16, v3
	s_delay_alu instid0(VALU_DEP_3) | instskip(NEXT) | instid1(VALU_DEP_1)
	v_sub_f32_e32 v4, v4, v10
	v_add_f32_e32 v4, v12, v4
	s_delay_alu instid0(VALU_DEP_1) | instskip(NEXT) | instid1(VALU_DEP_4)
	v_add_f32_e32 v10, v4, v17
	v_lshlrev_b64 v[4:5], 2, v[15:16]
	s_delay_alu instid0(VALU_DEP_1) | instskip(NEXT) | instid1(VALU_DEP_2)
	v_add_co_u32 v16, vcc_lo, s4, v4
	v_add_co_ci_u32_e32 v17, vcc_lo, s5, v5, vcc_lo
	v_add_co_u32 v4, vcc_lo, s6, v4
	v_add_co_ci_u32_e32 v5, vcc_lo, s7, v5, vcc_lo
	global_load_b32 v2, v[16:17], off
	global_load_b32 v4, v[4:5], off
	s_waitcnt vmcnt(0)
	v_sub_f32_e32 v4, v2, v4
	s_delay_alu instid0(VALU_DEP_1) | instskip(NEXT) | instid1(VALU_DEP_1)
	v_add_f32_e32 v2, v10, v4
	v_add_f32_e32 v2, v11, v2
	v_mad_u64_u32 v[10:11], null, s11, 26, v[15:16]
	s_delay_alu instid0(VALU_DEP_2) | instskip(NEXT) | instid1(VALU_DEP_1)
	v_dual_mov_b32 v11, v3 :: v_dual_sub_f32 v2, v2, v18
	v_lshlrev_b64 v[11:12], 2, v[10:11]
	s_delay_alu instid0(VALU_DEP_2) | instskip(NEXT) | instid1(VALU_DEP_2)
	v_sub_f32_e32 v2, v2, v20
	v_add_co_u32 v15, vcc_lo, s4, v11
	s_delay_alu instid0(VALU_DEP_3)
	v_add_co_ci_u32_e32 v16, vcc_lo, s5, v12, vcc_lo
	v_add_co_u32 v11, vcc_lo, s6, v11
	v_add_co_ci_u32_e32 v12, vcc_lo, s7, v12, vcc_lo
	global_load_b32 v5, v[15:16], off
	global_load_b32 v11, v[11:12], off
	s_waitcnt vmcnt(0)
	v_sub_f32_e32 v5, v5, v11
	s_delay_alu instid0(VALU_DEP_1) | instskip(NEXT) | instid1(VALU_DEP_1)
	v_dual_sub_f32 v5, v2, v5 :: v_dual_add_nc_u32 v2, s12, v10
	v_lshlrev_b64 v[10:11], 2, v[2:3]
	v_add_nc_u32_e32 v2, s11, v2
	s_delay_alu instid0(VALU_DEP_2) | instskip(NEXT) | instid1(VALU_DEP_3)
	v_add_co_u32 v15, vcc_lo, s4, v10
	v_add_co_ci_u32_e32 v16, vcc_lo, s5, v11, vcc_lo
	v_add_co_u32 v10, vcc_lo, s6, v10
	v_add_co_ci_u32_e32 v11, vcc_lo, s7, v11, vcc_lo
	global_load_b32 v12, v[15:16], off
	global_load_b32 v10, v[10:11], off
	s_waitcnt vmcnt(0)
	v_sub_f32_e32 v10, v12, v10
	s_delay_alu instid0(VALU_DEP_1) | instskip(SKIP_2) | instid1(VALU_DEP_2)
	v_sub_f32_e32 v5, v5, v10
	v_lshlrev_b64 v[10:11], 2, v[2:3]
	v_add_nc_u32_e32 v2, s0, v2
	v_add_co_u32 v15, vcc_lo, s4, v10
	s_delay_alu instid0(VALU_DEP_3)
	v_add_co_ci_u32_e32 v16, vcc_lo, s5, v11, vcc_lo
	v_add_co_u32 v10, vcc_lo, s6, v10
	v_add_co_ci_u32_e32 v11, vcc_lo, s7, v11, vcc_lo
	global_load_b32 v12, v[15:16], off
	global_load_b32 v10, v[10:11], off
	s_waitcnt vmcnt(0)
	v_sub_f32_e32 v10, v12, v10
	s_delay_alu instid0(VALU_DEP_1) | instskip(SKIP_2) | instid1(VALU_DEP_2)
	v_sub_f32_e32 v5, v5, v10
	v_lshlrev_b64 v[10:11], 2, v[2:3]
	v_add_nc_u32_e32 v2, s11, v2
	v_add_co_u32 v15, vcc_lo, s4, v10
	s_delay_alu instid0(VALU_DEP_3)
	v_add_co_ci_u32_e32 v16, vcc_lo, s5, v11, vcc_lo
	v_add_co_u32 v10, vcc_lo, s6, v10
	v_add_co_ci_u32_e32 v11, vcc_lo, s7, v11, vcc_lo
	global_load_b32 v12, v[15:16], off
	global_load_b32 v10, v[10:11], off
	s_waitcnt vmcnt(0)
	v_sub_f32_e32 v10, v12, v10
	s_delay_alu instid0(VALU_DEP_1) | instskip(SKIP_2) | instid1(VALU_DEP_2)
	v_sub_f32_e32 v12, v5, v10
	v_lshlrev_b64 v[10:11], 2, v[2:3]
	v_add_nc_u32_e32 v2, s15, v2
	v_add_co_u32 v15, vcc_lo, s4, v10
	s_delay_alu instid0(VALU_DEP_3)
	v_add_co_ci_u32_e32 v16, vcc_lo, s5, v11, vcc_lo
	v_add_co_u32 v10, vcc_lo, s6, v10
	v_add_co_ci_u32_e32 v11, vcc_lo, s7, v11, vcc_lo
	global_load_b32 v5, v[15:16], off
	global_load_b32 v10, v[10:11], off
	s_waitcnt vmcnt(0)
	v_sub_f32_e32 v5, v5, v10
	v_lshlrev_b64 v[10:11], 2, v[2:3]
	v_add_nc_u32_e32 v2, s18, v2
	s_delay_alu instid0(VALU_DEP_3) | instskip(NEXT) | instid1(VALU_DEP_3)
	v_sub_f32_e32 v12, v12, v5
	v_add_co_u32 v15, vcc_lo, s4, v10
	s_delay_alu instid0(VALU_DEP_4)
	v_add_co_ci_u32_e32 v16, vcc_lo, s5, v11, vcc_lo
	v_add_co_u32 v10, vcc_lo, s6, v10
	v_add_co_ci_u32_e32 v11, vcc_lo, s7, v11, vcc_lo
	global_load_b32 v15, v[15:16], off
	global_load_b32 v10, v[10:11], off
	s_waitcnt vmcnt(0)
	v_sub_f32_e32 v10, v15, v10
	s_delay_alu instid0(VALU_DEP_1) | instskip(NEXT) | instid1(VALU_DEP_1)
	v_sub_f32_e32 v10, v12, v10
	v_sub_f32_e32 v12, v10, v19
	v_lshlrev_b64 v[10:11], 2, v[2:3]
	v_add_nc_u32_e32 v2, s11, v2
	s_delay_alu instid0(VALU_DEP_2) | instskip(NEXT) | instid1(VALU_DEP_3)
	v_add_co_u32 v15, vcc_lo, s4, v10
	v_add_co_ci_u32_e32 v16, vcc_lo, s5, v11, vcc_lo
	v_add_co_u32 v10, vcc_lo, s6, v10
	v_add_co_ci_u32_e32 v11, vcc_lo, s7, v11, vcc_lo
	global_load_b32 v15, v[15:16], off
	global_load_b32 v10, v[10:11], off
	s_waitcnt vmcnt(0)
	v_sub_f32_e32 v10, v15, v10
	s_delay_alu instid0(VALU_DEP_1) | instskip(SKIP_2) | instid1(VALU_DEP_2)
	v_sub_f32_e32 v12, v12, v10
	v_lshlrev_b64 v[10:11], 2, v[2:3]
	v_add_nc_u32_e32 v2, s21, v2
	v_add_co_u32 v15, vcc_lo, s4, v10
	s_delay_alu instid0(VALU_DEP_3)
	v_add_co_ci_u32_e32 v16, vcc_lo, s5, v11, vcc_lo
	v_add_co_u32 v10, vcc_lo, s6, v10
	v_add_co_ci_u32_e32 v11, vcc_lo, s7, v11, vcc_lo
	global_load_b32 v15, v[15:16], off
	global_load_b32 v10, v[10:11], off
	s_waitcnt vmcnt(0)
	v_sub_f32_e32 v10, v15, v10
	s_delay_alu instid0(VALU_DEP_1) | instskip(SKIP_2) | instid1(VALU_DEP_2)
	v_add_f32_e32 v12, v12, v10
	v_lshlrev_b64 v[10:11], 2, v[2:3]
	v_add_nc_u32_e32 v2, s15, v2
	v_add_co_u32 v15, vcc_lo, s4, v10
	s_delay_alu instid0(VALU_DEP_3)
	v_add_co_ci_u32_e32 v16, vcc_lo, s5, v11, vcc_lo
	v_add_co_u32 v10, vcc_lo, s6, v10
	v_add_co_ci_u32_e32 v11, vcc_lo, s7, v11, vcc_lo
	global_load_b32 v15, v[15:16], off
	global_load_b32 v10, v[10:11], off
	s_waitcnt vmcnt(0)
	v_sub_f32_e32 v10, v15, v10
	s_delay_alu instid0(VALU_DEP_1) | instskip(SKIP_2) | instid1(VALU_DEP_2)
	v_sub_f32_e32 v12, v12, v10
	v_lshlrev_b64 v[10:11], 2, v[2:3]
	v_add_nc_u32_e32 v2, s14, v2
	v_add_co_u32 v15, vcc_lo, s4, v10
	s_delay_alu instid0(VALU_DEP_3)
	v_add_co_ci_u32_e32 v16, vcc_lo, s5, v11, vcc_lo
	v_add_co_u32 v10, vcc_lo, s6, v10
	v_add_co_ci_u32_e32 v11, vcc_lo, s7, v11, vcc_lo
	global_load_b32 v15, v[15:16], off
	global_load_b32 v10, v[10:11], off
	s_waitcnt vmcnt(0)
	v_sub_f32_e32 v10, v15, v10
	s_delay_alu instid0(VALU_DEP_1) | instskip(SKIP_2) | instid1(VALU_DEP_2)
	v_sub_f32_e32 v12, v12, v10
	;; [unrolled: 13-line block ×3, first 2 shown]
	v_lshlrev_b64 v[10:11], 2, v[2:3]
	v_add_nc_u32_e32 v2, s16, v2
	v_add_co_u32 v15, vcc_lo, s4, v10
	s_delay_alu instid0(VALU_DEP_3)
	v_add_co_ci_u32_e32 v16, vcc_lo, s5, v11, vcc_lo
	v_add_co_u32 v10, vcc_lo, s6, v10
	v_add_co_ci_u32_e32 v11, vcc_lo, s7, v11, vcc_lo
	global_load_b32 v15, v[15:16], off
	global_load_b32 v10, v[10:11], off
	s_waitcnt vmcnt(0)
	v_sub_f32_e32 v10, v15, v10
	s_delay_alu instid0(VALU_DEP_1) | instskip(NEXT) | instid1(VALU_DEP_1)
	v_sub_f32_e32 v10, v12, v10
	v_sub_f32_e32 v12, v10, v21
	v_lshlrev_b64 v[10:11], 2, v[2:3]
	v_add_nc_u32_e32 v2, s0, v2
	s_load_b32 s0, s[8:9], 0x14
	s_delay_alu instid0(VALU_DEP_2) | instskip(NEXT) | instid1(VALU_DEP_3)
	v_add_co_u32 v15, vcc_lo, s4, v10
	v_add_co_ci_u32_e32 v16, vcc_lo, s5, v11, vcc_lo
	v_add_co_u32 v10, vcc_lo, s6, v10
	v_add_co_ci_u32_e32 v11, vcc_lo, s7, v11, vcc_lo
	global_load_b32 v15, v[15:16], off
	global_load_b32 v10, v[10:11], off
	s_waitcnt vmcnt(0)
	v_sub_f32_e32 v10, v15, v10
	s_delay_alu instid0(VALU_DEP_1) | instskip(SKIP_2) | instid1(VALU_DEP_2)
	v_sub_f32_e32 v12, v12, v10
	v_lshlrev_b64 v[10:11], 2, v[2:3]
	v_add_nc_u32_e32 v2, s11, v2
	v_add_co_u32 v15, vcc_lo, s4, v10
	s_delay_alu instid0(VALU_DEP_3)
	v_add_co_ci_u32_e32 v16, vcc_lo, s5, v11, vcc_lo
	v_add_co_u32 v10, vcc_lo, s6, v10
	v_add_co_ci_u32_e32 v11, vcc_lo, s7, v11, vcc_lo
	global_load_b32 v15, v[15:16], off
	global_load_b32 v10, v[10:11], off
	s_waitcnt vmcnt(0)
	v_sub_f32_e32 v10, v15, v10
	s_delay_alu instid0(VALU_DEP_1) | instskip(SKIP_2) | instid1(VALU_DEP_2)
	v_sub_f32_e32 v12, v12, v10
	v_lshlrev_b64 v[10:11], 2, v[2:3]
	v_add_nc_u32_e32 v2, s18, v2
	v_add_co_u32 v15, vcc_lo, s4, v10
	s_delay_alu instid0(VALU_DEP_3)
	;; [unrolled: 13-line block ×5, first 2 shown]
	v_add_co_ci_u32_e32 v16, vcc_lo, s5, v11, vcc_lo
	v_add_co_u32 v10, vcc_lo, s6, v10
	v_add_co_ci_u32_e32 v11, vcc_lo, s7, v11, vcc_lo
	global_load_b32 v15, v[15:16], off
	global_load_b32 v10, v[10:11], off
	s_waitcnt vmcnt(0)
	v_sub_f32_e32 v10, v15, v10
	s_delay_alu instid0(VALU_DEP_1) | instskip(SKIP_2) | instid1(VALU_DEP_2)
	v_add_f32_e32 v12, v12, v10
	v_lshlrev_b64 v[10:11], 2, v[2:3]
	v_add_nc_u32_e32 v2, s19, v2
	v_add_co_u32 v15, vcc_lo, s4, v10
	s_delay_alu instid0(VALU_DEP_3)
	v_add_co_ci_u32_e32 v16, vcc_lo, s5, v11, vcc_lo
	v_add_co_u32 v10, vcc_lo, s6, v10
	v_add_co_ci_u32_e32 v11, vcc_lo, s7, v11, vcc_lo
	global_load_b32 v15, v[15:16], off
	global_load_b32 v10, v[10:11], off
	s_waitcnt vmcnt(0)
	v_sub_f32_e32 v10, v15, v10
	s_delay_alu instid0(VALU_DEP_1) | instskip(SKIP_1) | instid1(VALU_DEP_1)
	v_add_f32_e32 v12, v12, v10
	v_lshlrev_b64 v[10:11], 2, v[2:3]
	v_add_co_u32 v15, vcc_lo, s4, v10
	s_delay_alu instid0(VALU_DEP_2)
	v_add_co_ci_u32_e32 v16, vcc_lo, s5, v11, vcc_lo
	v_add_co_u32 v10, vcc_lo, s6, v10
	v_add_co_ci_u32_e32 v11, vcc_lo, s7, v11, vcc_lo
	global_load_b32 v15, v[15:16], off
	v_add_co_u32 v6, vcc_lo, s2, v6
	global_load_b32 v10, v[10:11], off
	v_add_co_ci_u32_e32 v7, vcc_lo, s3, v7, vcc_lo
	s_waitcnt vmcnt(0)
	v_sub_f32_e32 v10, v15, v10
	s_delay_alu instid0(VALU_DEP_1) | instskip(NEXT) | instid1(VALU_DEP_1)
	v_sub_f32_e32 v10, v12, v10
	v_mul_f32_e32 v10, s10, v10
	s_delay_alu instid0(VALU_DEP_1) | instskip(SKIP_3) | instid1(VALU_DEP_1)
	v_mul_f32_e32 v10, s1, v10
	global_store_b32 v[6:7], v10, off
	v_mad_u64_u32 v[6:7], null, 0xffffff3e, s11, v[2:3]
	v_mov_b32_e32 v7, v3
	v_lshlrev_b64 v[9:10], 2, v[6:7]
	s_delay_alu instid0(VALU_DEP_1) | instskip(NEXT) | instid1(VALU_DEP_2)
	v_add_co_u32 v11, vcc_lo, s4, v9
	v_add_co_ci_u32_e32 v12, vcc_lo, s5, v10, vcc_lo
	v_add_co_u32 v9, vcc_lo, s6, v9
	v_add_co_ci_u32_e32 v10, vcc_lo, s7, v10, vcc_lo
	global_load_b32 v2, v[11:12], off
	global_load_b32 v7, v[9:10], off
	s_waitcnt vmcnt(0)
	v_sub_f32_e32 v2, v2, v7
	s_delay_alu instid0(VALU_DEP_1) | instskip(NEXT) | instid1(VALU_DEP_1)
	v_add_f32_e32 v2, v13, v2
	v_add_f32_e32 v2, v14, v2
	s_delay_alu instid0(VALU_DEP_1) | instskip(SKIP_1) | instid1(VALU_DEP_1)
	v_add_f32_e32 v4, v4, v2
	v_add_nc_u32_e32 v2, s19, v6
	v_lshlrev_b64 v[6:7], 2, v[2:3]
	v_add_nc_u32_e32 v2, s20, v2
	s_delay_alu instid0(VALU_DEP_2) | instskip(NEXT) | instid1(VALU_DEP_3)
	v_add_co_u32 v9, vcc_lo, s4, v6
	v_add_co_ci_u32_e32 v10, vcc_lo, s5, v7, vcc_lo
	v_add_co_u32 v6, vcc_lo, s6, v6
	v_add_co_ci_u32_e32 v7, vcc_lo, s7, v7, vcc_lo
	global_load_b32 v9, v[9:10], off
	global_load_b32 v6, v[6:7], off
	s_waitcnt vmcnt(0)
	v_sub_f32_e32 v6, v9, v6
	s_delay_alu instid0(VALU_DEP_1) | instskip(SKIP_2) | instid1(VALU_DEP_3)
	v_add_f32_e32 v4, v6, v4
	v_lshlrev_b64 v[6:7], 2, v[2:3]
	v_add_nc_u32_e32 v2, s18, v2
	v_add_f32_e32 v4, v8, v4
	s_delay_alu instid0(VALU_DEP_3) | instskip(NEXT) | instid1(VALU_DEP_4)
	v_add_co_u32 v8, vcc_lo, s4, v6
	v_add_co_ci_u32_e32 v9, vcc_lo, s5, v7, vcc_lo
	v_add_co_u32 v6, vcc_lo, s6, v6
	v_add_co_ci_u32_e32 v7, vcc_lo, s7, v7, vcc_lo
	global_load_b32 v8, v[8:9], off
	global_load_b32 v6, v[6:7], off
	s_waitcnt vmcnt(0)
	v_sub_f32_e32 v6, v8, v6
	s_delay_alu instid0(VALU_DEP_1) | instskip(SKIP_2) | instid1(VALU_DEP_2)
	v_sub_f32_e32 v4, v4, v6
	v_lshlrev_b64 v[6:7], 2, v[2:3]
	v_add_nc_u32_e32 v2, s15, v2
	v_add_co_u32 v8, vcc_lo, s4, v6
	s_delay_alu instid0(VALU_DEP_3)
	v_add_co_ci_u32_e32 v9, vcc_lo, s5, v7, vcc_lo
	v_add_co_u32 v6, vcc_lo, s6, v6
	v_add_co_ci_u32_e32 v7, vcc_lo, s7, v7, vcc_lo
	global_load_b32 v8, v[8:9], off
	global_load_b32 v6, v[6:7], off
	s_waitcnt vmcnt(0)
	v_sub_f32_e32 v6, v8, v6
	s_delay_alu instid0(VALU_DEP_1) | instskip(SKIP_1) | instid1(VALU_DEP_1)
	v_add_f32_e32 v4, v4, v6
	v_lshlrev_b64 v[6:7], 2, v[2:3]
	v_add_co_u32 v8, vcc_lo, s4, v6
	s_delay_alu instid0(VALU_DEP_2)
	v_add_co_ci_u32_e32 v9, vcc_lo, s5, v7, vcc_lo
	v_add_co_u32 v6, vcc_lo, s6, v6
	v_add_co_ci_u32_e32 v7, vcc_lo, s7, v7, vcc_lo
	global_load_b32 v8, v[8:9], off
	global_load_b32 v6, v[6:7], off
	s_waitcnt vmcnt(0)
	v_sub_f32_e32 v6, v8, v6
	s_delay_alu instid0(VALU_DEP_1) | instskip(NEXT) | instid1(VALU_DEP_1)
	v_add_f32_e32 v4, v4, v6
	v_add_f32_e32 v9, v5, v4
	v_mad_u64_u32 v[4:5], null, s11, 20, v[2:3]
	v_mov_b32_e32 v5, v3
	s_delay_alu instid0(VALU_DEP_1) | instskip(NEXT) | instid1(VALU_DEP_1)
	v_lshlrev_b64 v[5:6], 2, v[4:5]
	v_add_co_u32 v7, vcc_lo, s4, v5
	s_delay_alu instid0(VALU_DEP_2)
	v_add_co_ci_u32_e32 v8, vcc_lo, s5, v6, vcc_lo
	v_add_co_u32 v5, vcc_lo, s6, v5
	v_add_co_ci_u32_e32 v6, vcc_lo, s7, v6, vcc_lo
	global_load_b32 v2, v[7:8], off
	global_load_b32 v5, v[5:6], off
	s_waitcnt vmcnt(0)
	v_sub_f32_e32 v2, v2, v5
	s_delay_alu instid0(VALU_DEP_1) | instskip(SKIP_1) | instid1(VALU_DEP_1)
	v_add_f32_e32 v8, v9, v2
	v_add_nc_u32_e32 v2, s13, v4
	v_lshlrev_b64 v[4:5], 2, v[2:3]
	v_add_nc_u32_e32 v2, s11, v2
	s_delay_alu instid0(VALU_DEP_2) | instskip(NEXT) | instid1(VALU_DEP_3)
	v_add_co_u32 v6, vcc_lo, s4, v4
	v_add_co_ci_u32_e32 v7, vcc_lo, s5, v5, vcc_lo
	v_add_co_u32 v4, vcc_lo, s6, v4
	v_add_co_ci_u32_e32 v5, vcc_lo, s7, v5, vcc_lo
	global_load_b32 v6, v[6:7], off
	global_load_b32 v4, v[4:5], off
	s_waitcnt vmcnt(0)
	v_sub_f32_e32 v4, v6, v4
	s_delay_alu instid0(VALU_DEP_1) | instskip(SKIP_2) | instid1(VALU_DEP_2)
	v_add_f32_e32 v8, v8, v4
	v_lshlrev_b64 v[4:5], 2, v[2:3]
	v_add_nc_u32_e32 v2, s21, v2
	v_add_co_u32 v6, vcc_lo, s4, v4
	s_delay_alu instid0(VALU_DEP_3)
	v_add_co_ci_u32_e32 v7, vcc_lo, s5, v5, vcc_lo
	v_add_co_u32 v4, vcc_lo, s6, v4
	v_add_co_ci_u32_e32 v5, vcc_lo, s7, v5, vcc_lo
	global_load_b32 v6, v[6:7], off
	global_load_b32 v4, v[4:5], off
	s_waitcnt vmcnt(0)
	v_sub_f32_e32 v4, v6, v4
	s_delay_alu instid0(VALU_DEP_1) | instskip(SKIP_2) | instid1(VALU_DEP_2)
	v_add_f32_e32 v8, v8, v4
	v_lshlrev_b64 v[4:5], 2, v[2:3]
	v_add_nc_u32_e32 v2, s16, v2
	v_add_co_u32 v6, vcc_lo, s4, v4
	s_delay_alu instid0(VALU_DEP_3)
	;; [unrolled: 13-line block ×3, first 2 shown]
	v_add_co_ci_u32_e32 v7, vcc_lo, s5, v5, vcc_lo
	v_add_co_u32 v4, vcc_lo, s6, v4
	v_add_co_ci_u32_e32 v5, vcc_lo, s7, v5, vcc_lo
	global_load_b32 v6, v[6:7], off
	global_load_b32 v4, v[4:5], off
	s_waitcnt vmcnt(0)
	v_sub_f32_e32 v4, v6, v4
	s_delay_alu instid0(VALU_DEP_1) | instskip(SKIP_1) | instid1(VALU_DEP_1)
	v_add_f32_e32 v8, v8, v4
	v_lshlrev_b64 v[4:5], 2, v[2:3]
	v_add_co_u32 v6, vcc_lo, s4, v4
	s_delay_alu instid0(VALU_DEP_2)
	v_add_co_ci_u32_e32 v7, vcc_lo, s5, v5, vcc_lo
	v_add_co_u32 v4, vcc_lo, s6, v4
	v_add_co_ci_u32_e32 v5, vcc_lo, s7, v5, vcc_lo
	global_load_b32 v6, v[6:7], off
	global_load_b32 v4, v[4:5], off
	s_waitcnt vmcnt(0)
	v_sub_f32_e32 v4, v6, v4
	s_delay_alu instid0(VALU_DEP_1) | instskip(SKIP_2) | instid1(VALU_DEP_1)
	v_add_f32_e32 v9, v8, v4
	v_mad_u64_u32 v[4:5], null, s11, 27, v[2:3]
	v_mov_b32_e32 v5, v3
	v_lshlrev_b64 v[5:6], 2, v[4:5]
	s_delay_alu instid0(VALU_DEP_1) | instskip(NEXT) | instid1(VALU_DEP_2)
	v_add_co_u32 v7, vcc_lo, s4, v5
	v_add_co_ci_u32_e32 v8, vcc_lo, s5, v6, vcc_lo
	v_add_co_u32 v5, vcc_lo, s6, v5
	v_add_co_ci_u32_e32 v6, vcc_lo, s7, v6, vcc_lo
	global_load_b32 v2, v[7:8], off
	global_load_b32 v5, v[5:6], off
	s_waitcnt vmcnt(0)
	v_sub_f32_e32 v2, v2, v5
	s_delay_alu instid0(VALU_DEP_1) | instskip(SKIP_1) | instid1(VALU_DEP_1)
	v_add_f32_e32 v8, v9, v2
	v_add_nc_u32_e32 v2, s13, v4
	v_lshlrev_b64 v[4:5], 2, v[2:3]
	v_add_nc_u32_e32 v2, s14, v2
	s_delay_alu instid0(VALU_DEP_2) | instskip(NEXT) | instid1(VALU_DEP_3)
	v_add_co_u32 v6, vcc_lo, s4, v4
	v_add_co_ci_u32_e32 v7, vcc_lo, s5, v5, vcc_lo
	v_add_co_u32 v4, vcc_lo, s6, v4
	v_add_co_ci_u32_e32 v5, vcc_lo, s7, v5, vcc_lo
	global_load_b32 v6, v[6:7], off
	global_load_b32 v4, v[4:5], off
	s_waitcnt vmcnt(0)
	v_sub_f32_e32 v4, v6, v4
	s_delay_alu instid0(VALU_DEP_1) | instskip(SKIP_2) | instid1(VALU_DEP_2)
	v_add_f32_e32 v8, v8, v4
	v_lshlrev_b64 v[4:5], 2, v[2:3]
	v_add_nc_u32_e32 v2, s15, v2
	v_add_co_u32 v6, vcc_lo, s4, v4
	s_delay_alu instid0(VALU_DEP_3)
	v_add_co_ci_u32_e32 v7, vcc_lo, s5, v5, vcc_lo
	v_add_co_u32 v4, vcc_lo, s6, v4
	v_add_co_ci_u32_e32 v5, vcc_lo, s7, v5, vcc_lo
	global_load_b32 v6, v[6:7], off
	global_load_b32 v4, v[4:5], off
	s_waitcnt vmcnt(0)
	v_sub_f32_e32 v4, v6, v4
	s_delay_alu instid0(VALU_DEP_1) | instskip(SKIP_1) | instid1(VALU_DEP_1)
	v_add_f32_e32 v8, v8, v4
	v_lshlrev_b64 v[4:5], 2, v[2:3]
	v_add_co_u32 v6, vcc_lo, s4, v4
	s_delay_alu instid0(VALU_DEP_2)
	v_add_co_ci_u32_e32 v7, vcc_lo, s5, v5, vcc_lo
	v_add_co_u32 v4, vcc_lo, s6, v4
	v_add_co_ci_u32_e32 v5, vcc_lo, s7, v5, vcc_lo
	global_load_b32 v6, v[6:7], off
	global_load_b32 v4, v[4:5], off
	s_waitcnt vmcnt(0)
	v_sub_f32_e32 v4, v6, v4
	s_delay_alu instid0(VALU_DEP_1) | instskip(SKIP_2) | instid1(VALU_DEP_1)
	v_add_f32_e32 v9, v8, v4
	v_mad_u64_u32 v[4:5], null, s11, 21, v[2:3]
	v_mov_b32_e32 v5, v3
	v_lshlrev_b64 v[5:6], 2, v[4:5]
	s_delay_alu instid0(VALU_DEP_1) | instskip(NEXT) | instid1(VALU_DEP_2)
	v_add_co_u32 v7, vcc_lo, s4, v5
	v_add_co_ci_u32_e32 v8, vcc_lo, s5, v6, vcc_lo
	v_add_co_u32 v5, vcc_lo, s6, v5
	v_add_co_ci_u32_e32 v6, vcc_lo, s7, v6, vcc_lo
	global_load_b32 v2, v[7:8], off
	global_load_b32 v5, v[5:6], off
	s_waitcnt vmcnt(0)
	v_sub_f32_e32 v2, v2, v5
	s_delay_alu instid0(VALU_DEP_1) | instskip(SKIP_1) | instid1(VALU_DEP_1)
	v_add_f32_e32 v8, v9, v2
	v_add_nc_u32_e32 v2, s17, v4
	v_lshlrev_b64 v[4:5], 2, v[2:3]
	v_add_nc_u32_e32 v2, s13, v2
	s_delay_alu instid0(VALU_DEP_2) | instskip(NEXT) | instid1(VALU_DEP_3)
	v_add_co_u32 v6, vcc_lo, s4, v4
	v_add_co_ci_u32_e32 v7, vcc_lo, s5, v5, vcc_lo
	v_add_co_u32 v4, vcc_lo, s6, v4
	v_add_co_ci_u32_e32 v5, vcc_lo, s7, v5, vcc_lo
	global_load_b32 v6, v[6:7], off
	v_lshlrev_b64 v[2:3], 2, v[2:3]
	global_load_b32 v4, v[4:5], off
	s_waitcnt vmcnt(0)
	v_sub_f32_e32 v4, v6, v4
	s_delay_alu instid0(VALU_DEP_1)
	v_add_f32_e32 v6, v8, v4
	v_add_co_u32 v4, vcc_lo, s4, v2
	v_add_co_ci_u32_e32 v5, vcc_lo, s5, v3, vcc_lo
	v_add_co_u32 v2, vcc_lo, s6, v2
	v_add_co_ci_u32_e32 v3, vcc_lo, s7, v3, vcc_lo
	global_load_b32 v4, v[4:5], off
	v_add_co_u32 v0, vcc_lo, s2, v0
	global_load_b32 v2, v[2:3], off
	v_add_co_ci_u32_e32 v1, vcc_lo, s3, v1, vcc_lo
	s_waitcnt vmcnt(0)
	v_sub_f32_e32 v2, v4, v2
	s_delay_alu instid0(VALU_DEP_1) | instskip(NEXT) | instid1(VALU_DEP_1)
	v_add_f32_e32 v2, v6, v2
	v_mul_f32_e32 v2, s10, v2
	s_waitcnt lgkmcnt(0)
	s_delay_alu instid0(VALU_DEP_1)
	v_mul_f32_e32 v2, s0, v2
	global_store_b32 v[0:1], v2, off
	s_nop 0
	s_sendmsg sendmsg(MSG_DEALLOC_VGPRS)
	s_endpgm
	.section	.rodata,"a",@progbits
	.p2align	6, 0x0
	.amdhsa_kernel _Z15rdwdot10_kernelIfEvPKT_S2_PS0_S0_S2_
		.amdhsa_group_segment_fixed_size 0
		.amdhsa_private_segment_fixed_size 0
		.amdhsa_kernarg_size 296
		.amdhsa_user_sgpr_count 15
		.amdhsa_user_sgpr_dispatch_ptr 0
		.amdhsa_user_sgpr_queue_ptr 0
		.amdhsa_user_sgpr_kernarg_segment_ptr 1
		.amdhsa_user_sgpr_dispatch_id 0
		.amdhsa_user_sgpr_private_segment_size 0
		.amdhsa_wavefront_size32 1
		.amdhsa_uses_dynamic_stack 0
		.amdhsa_enable_private_segment 0
		.amdhsa_system_sgpr_workgroup_id_x 1
		.amdhsa_system_sgpr_workgroup_id_y 0
		.amdhsa_system_sgpr_workgroup_id_z 0
		.amdhsa_system_sgpr_workgroup_info 0
		.amdhsa_system_vgpr_workitem_id 0
		.amdhsa_next_free_vgpr 27
		.amdhsa_next_free_sgpr 24
		.amdhsa_reserve_vcc 1
		.amdhsa_float_round_mode_32 0
		.amdhsa_float_round_mode_16_64 0
		.amdhsa_float_denorm_mode_32 3
		.amdhsa_float_denorm_mode_16_64 3
		.amdhsa_dx10_clamp 1
		.amdhsa_ieee_mode 1
		.amdhsa_fp16_overflow 0
		.amdhsa_workgroup_processor_mode 1
		.amdhsa_memory_ordered 1
		.amdhsa_forward_progress 0
		.amdhsa_shared_vgpr_count 0
		.amdhsa_exception_fp_ieee_invalid_op 0
		.amdhsa_exception_fp_denorm_src 0
		.amdhsa_exception_fp_ieee_div_zero 0
		.amdhsa_exception_fp_ieee_overflow 0
		.amdhsa_exception_fp_ieee_underflow 0
		.amdhsa_exception_fp_ieee_inexact 0
		.amdhsa_exception_int_div_zero 0
	.end_amdhsa_kernel
	.section	.text._Z15rdwdot10_kernelIfEvPKT_S2_PS0_S0_S2_,"axG",@progbits,_Z15rdwdot10_kernelIfEvPKT_S2_PS0_S0_S2_,comdat
.Lfunc_end26:
	.size	_Z15rdwdot10_kernelIfEvPKT_S2_PS0_S0_S2_, .Lfunc_end26-_Z15rdwdot10_kernelIfEvPKT_S2_PS0_S0_S2_
                                        ; -- End function
	.section	.AMDGPU.csdata,"",@progbits
; Kernel info:
; codeLenInByte = 8836
; NumSgprs: 26
; NumVgprs: 27
; ScratchSize: 0
; MemoryBound: 0
; FloatMode: 240
; IeeeMode: 1
; LDSByteSize: 0 bytes/workgroup (compile time only)
; SGPRBlocks: 3
; VGPRBlocks: 3
; NumSGPRsForWavesPerEU: 26
; NumVGPRsForWavesPerEU: 27
; Occupancy: 16
; WaveLimiterHint : 0
; COMPUTE_PGM_RSRC2:SCRATCH_EN: 0
; COMPUTE_PGM_RSRC2:USER_SGPR: 15
; COMPUTE_PGM_RSRC2:TRAP_HANDLER: 0
; COMPUTE_PGM_RSRC2:TGID_X_EN: 1
; COMPUTE_PGM_RSRC2:TGID_Y_EN: 0
; COMPUTE_PGM_RSRC2:TGID_Z_EN: 0
; COMPUTE_PGM_RSRC2:TIDIG_COMP_CNT: 0
	.section	.text._Z11ratt_kernelIdEvPKT_PS0_S0_,"axG",@progbits,_Z11ratt_kernelIdEvPKT_PS0_S0_,comdat
	.protected	_Z11ratt_kernelIdEvPKT_PS0_S0_ ; -- Begin function _Z11ratt_kernelIdEvPKT_PS0_S0_
	.globl	_Z11ratt_kernelIdEvPKT_PS0_S0_
	.p2align	8
	.type	_Z11ratt_kernelIdEvPKT_PS0_S0_,@function
_Z11ratt_kernelIdEvPKT_PS0_S0_:         ; @_Z11ratt_kernelIdEvPKT_PS0_S0_
; %bb.0:
	s_clause 0x3
	s_load_b32 s2, s[0:1], 0x24
	s_load_b128 s[8:11], s[0:1], 0x0
	s_load_b64 s[4:5], s[0:1], 0x10
	s_load_b32 s33, s[0:1], 0x18
	s_mov_b32 s6, 0x6b47b09a
	s_mov_b32 s7, 0x3fc38538
	;; [unrolled: 1-line block ×16, first 2 shown]
	s_waitcnt lgkmcnt(0)
	s_and_b32 s2, s2, 0xffff
	s_mov_b32 s29, 0xbfeb851e
	v_mad_u64_u32 v[1:2], null, s15, s2, v[0:1]
	v_mov_b32_e32 v2, 0
	s_mul_i32 s33, s33, s2
	s_mov_b32 s14, 0x8c436fc1
	s_mov_b32 s15, 0x403330d7
	s_mov_b32 s28, 0xb851eb85
	v_mov_b32_e32 v5, v2
	s_delay_alu instid0(VALU_DEP_3)
	v_lshlrev_b64 v[7:8], 3, v[1:2]
	s_mov_b32 s26, 0x1852b7b0
	s_mov_b32 s27, 0x3f56c16c
	;; [unrolled: 1-line block ×5, first 2 shown]
	v_add_co_u32 v3, vcc_lo, s8, v7
	v_add_co_ci_u32_e32 v4, vcc_lo, s9, v8, vcc_lo
	s_mov_b32 s8, 0xbf559e2b
	s_mov_b32 s9, 0x3fc3ab76
	s_mov_b32 s37, 0x3fa55555
	global_load_b64 v[3:4], v[3:4], off
	s_mov_b32 s30, 0x55555511
	s_mov_b32 s31, 0x3fc55555
	;; [unrolled: 1-line block ×46, first 2 shown]
	s_lshl_b32 s82, s33, 1
	s_mov_b32 s80, 0xbaf88ef2
	s_mov_b32 s81, 0x40326bb1
	v_add_nc_u32_e32 v1, s33, v1
	s_waitcnt vmcnt(0)
	v_mul_f64 v[11:12], v[3:4], s[4:5]
	s_mov_b32 s5, 0x3fe55555
	s_mov_b32 s4, 0x55555555
	s_delay_alu instid0(VALU_DEP_1) | instskip(SKIP_1) | instid1(VALU_DEP_2)
	v_frexp_mant_f64_e32 v[3:4], v[11:12]
	v_frexp_exp_i32_f64_e32 v0, v[11:12]
	v_cmp_gt_f64_e32 vcc_lo, s[4:5], v[3:4]
	s_mov_b32 s4, 0x55555780
	v_cndmask_b32_e64 v6, 0x3ff00000, 2.0, vcc_lo
	s_delay_alu instid0(VALU_DEP_3) | instskip(NEXT) | instid1(VALU_DEP_2)
	v_subrev_co_ci_u32_e32 v0, vcc_lo, 0, v0, vcc_lo
	v_mul_f64 v[3:4], v[3:4], v[5:6]
	s_delay_alu instid0(VALU_DEP_1) | instskip(SKIP_1) | instid1(VALU_DEP_2)
	v_add_f64 v[5:6], v[3:4], 1.0
	v_add_f64 v[15:16], v[3:4], -1.0
	v_rcp_f64_e32 v[9:10], v[5:6]
	v_add_f64 v[17:18], v[5:6], -1.0
	s_delay_alu instid0(VALU_DEP_1) | instskip(SKIP_2) | instid1(VALU_DEP_1)
	v_add_f64 v[3:4], v[3:4], -v[17:18]
	s_waitcnt_depctr 0xfff
	v_fma_f64 v[13:14], -v[5:6], v[9:10], 1.0
	v_fma_f64 v[9:10], v[13:14], v[9:10], v[9:10]
	s_delay_alu instid0(VALU_DEP_1) | instskip(NEXT) | instid1(VALU_DEP_1)
	v_fma_f64 v[13:14], -v[5:6], v[9:10], 1.0
	v_fma_f64 v[9:10], v[13:14], v[9:10], v[9:10]
	s_delay_alu instid0(VALU_DEP_1) | instskip(NEXT) | instid1(VALU_DEP_1)
	v_mul_f64 v[13:14], v[15:16], v[9:10]
	v_mul_f64 v[19:20], v[5:6], v[13:14]
	s_delay_alu instid0(VALU_DEP_1) | instskip(NEXT) | instid1(VALU_DEP_1)
	v_fma_f64 v[5:6], v[13:14], v[5:6], -v[19:20]
	v_fma_f64 v[3:4], v[13:14], v[3:4], v[5:6]
	s_delay_alu instid0(VALU_DEP_1) | instskip(NEXT) | instid1(VALU_DEP_1)
	v_add_f64 v[5:6], v[19:20], v[3:4]
	v_add_f64 v[17:18], v[15:16], -v[5:6]
	v_add_f64 v[19:20], v[5:6], -v[19:20]
	s_delay_alu instid0(VALU_DEP_2) | instskip(NEXT) | instid1(VALU_DEP_2)
	v_add_f64 v[15:16], v[15:16], -v[17:18]
	v_add_f64 v[3:4], v[19:20], -v[3:4]
	s_delay_alu instid0(VALU_DEP_2) | instskip(NEXT) | instid1(VALU_DEP_1)
	v_add_f64 v[5:6], v[15:16], -v[5:6]
	v_add_f64 v[3:4], v[3:4], v[5:6]
	s_delay_alu instid0(VALU_DEP_1) | instskip(NEXT) | instid1(VALU_DEP_1)
	v_add_f64 v[3:4], v[17:18], v[3:4]
	v_mul_f64 v[3:4], v[9:10], v[3:4]
	s_delay_alu instid0(VALU_DEP_1) | instskip(NEXT) | instid1(VALU_DEP_1)
	v_add_f64 v[5:6], v[13:14], v[3:4]
	v_mul_f64 v[9:10], v[5:6], v[5:6]
	s_delay_alu instid0(VALU_DEP_1)
	v_fma_f64 v[15:16], v[9:10], s[8:9], s[6:7]
	s_mov_b32 s6, 0xd7f4df2e
	s_mov_b32 s7, 0x3fc7474d
	v_mul_f64 v[17:18], v[5:6], v[9:10]
	s_mov_b32 s9, 0x3fe62e42
	s_mov_b32 s8, 0xfefa39ef
	s_delay_alu instid0(VALU_DEP_2)
	v_fma_f64 v[15:16], v[9:10], v[15:16], s[6:7]
	s_mov_b32 s6, 0x16291751
	s_mov_b32 s7, 0x3fcc71c0
	s_delay_alu instid0(VALU_DEP_1) | instid1(SALU_CYCLE_1)
	v_fma_f64 v[15:16], v[9:10], v[15:16], s[6:7]
	s_mov_b32 s6, 0x9b27acf1
	s_mov_b32 s7, 0x3fd24924
	s_delay_alu instid0(VALU_DEP_1) | instid1(SALU_CYCLE_1)
	v_fma_f64 v[15:16], v[9:10], v[15:16], s[6:7]
	s_mov_b32 s6, 0x998ef7b6
	s_mov_b32 s7, 0x3fd99999
	s_delay_alu instid0(VALU_DEP_1) | instid1(SALU_CYCLE_1)
	v_fma_f64 v[15:16], v[9:10], v[15:16], s[6:7]
	s_mov_b32 s7, 0x3c7abc9e
	s_mov_b32 s6, 0x3b39803f
	s_delay_alu instid0(VALU_DEP_1) | instskip(SKIP_4) | instid1(VALU_DEP_3)
	v_fma_f64 v[9:10], v[9:10], v[15:16], s[4:5]
	v_ldexp_f64 v[15:16], v[5:6], 1
	v_add_f64 v[5:6], v[5:6], -v[13:14]
	s_mov_b32 s4, 0xde416957
	s_mov_b32 s5, 0x40400661
	v_mul_f64 v[9:10], v[17:18], v[9:10]
	v_cvt_f64_i32_e32 v[17:18], v0
	s_delay_alu instid0(VALU_DEP_3) | instskip(NEXT) | instid1(VALU_DEP_3)
	v_add_f64 v[3:4], v[3:4], -v[5:6]
	v_add_f64 v[13:14], v[15:16], v[9:10]
	s_delay_alu instid0(VALU_DEP_3) | instskip(NEXT) | instid1(VALU_DEP_3)
	v_mul_f64 v[19:20], v[17:18], s[8:9]
	v_ldexp_f64 v[3:4], v[3:4], 1
	s_delay_alu instid0(VALU_DEP_3) | instskip(NEXT) | instid1(VALU_DEP_3)
	v_add_f64 v[5:6], v[13:14], -v[15:16]
	v_fma_f64 v[15:16], v[17:18], s[8:9], -v[19:20]
	s_mov_b32 s9, 0xbfe62e42
	s_delay_alu instid0(VALU_DEP_2) | instskip(NEXT) | instid1(VALU_DEP_2)
	v_add_f64 v[5:6], v[9:10], -v[5:6]
	v_fma_f64 v[9:10], v[17:18], s[6:7], v[15:16]
	v_div_scale_f64 v[17:18], null, v[11:12], v[11:12], 1.0
	s_mov_b32 s7, 0xbc7abc9e
	s_delay_alu instid0(VALU_DEP_3) | instskip(NEXT) | instid1(VALU_DEP_3)
	v_add_f64 v[3:4], v[3:4], v[5:6]
	v_add_f64 v[5:6], v[19:20], v[9:10]
	s_delay_alu instid0(VALU_DEP_3) | instskip(NEXT) | instid1(VALU_DEP_2)
	v_rcp_f64_e32 v[23:24], v[17:18]
	v_add_f64 v[15:16], v[13:14], v[3:4]
	s_delay_alu instid0(VALU_DEP_2)
	v_add_f64 v[19:20], v[5:6], -v[19:20]
	s_waitcnt_depctr 0xfff
	v_fma_f64 v[27:28], -v[17:18], v[23:24], 1.0
	v_add_f64 v[21:22], v[5:6], v[15:16]
	v_add_f64 v[13:14], v[15:16], -v[13:14]
	v_add_f64 v[9:10], v[9:10], -v[19:20]
	s_delay_alu instid0(VALU_DEP_4) | instskip(NEXT) | instid1(VALU_DEP_4)
	v_fma_f64 v[23:24], v[23:24], v[27:28], v[23:24]
	v_add_f64 v[25:26], v[21:22], -v[5:6]
	s_delay_alu instid0(VALU_DEP_4) | instskip(NEXT) | instid1(VALU_DEP_2)
	v_add_f64 v[3:4], v[3:4], -v[13:14]
	v_add_f64 v[29:30], v[21:22], -v[25:26]
	;; [unrolled: 1-line block ×3, first 2 shown]
	v_fma_f64 v[15:16], -v[17:18], v[23:24], 1.0
	s_delay_alu instid0(VALU_DEP_4) | instskip(NEXT) | instid1(VALU_DEP_4)
	v_add_f64 v[19:20], v[9:10], v[3:4]
	v_add_f64 v[5:6], v[5:6], -v[29:30]
	s_delay_alu instid0(VALU_DEP_3) | instskip(NEXT) | instid1(VALU_DEP_3)
	v_fma_f64 v[15:16], v[23:24], v[15:16], v[23:24]
	v_add_f64 v[23:24], v[19:20], -v[9:10]
	s_delay_alu instid0(VALU_DEP_3) | instskip(SKIP_1) | instid1(VALU_DEP_3)
	v_add_f64 v[5:6], v[13:14], v[5:6]
	v_div_scale_f64 v[13:14], vcc_lo, 1.0, v[11:12], 1.0
	v_add_f64 v[3:4], v[3:4], -v[23:24]
	s_delay_alu instid0(VALU_DEP_3) | instskip(NEXT) | instid1(VALU_DEP_3)
	v_add_f64 v[5:6], v[19:20], v[5:6]
	v_mul_f64 v[25:26], v[13:14], v[15:16]
	v_add_f64 v[19:20], v[19:20], -v[23:24]
	s_delay_alu instid0(VALU_DEP_3) | instskip(NEXT) | instid1(VALU_DEP_3)
	v_add_f64 v[27:28], v[21:22], v[5:6]
	v_fma_f64 v[13:14], -v[17:18], v[25:26], v[13:14]
	s_delay_alu instid0(VALU_DEP_3) | instskip(NEXT) | instid1(VALU_DEP_3)
	v_add_f64 v[9:10], v[9:10], -v[19:20]
	v_add_f64 v[17:18], v[27:28], -v[21:22]
	s_delay_alu instid0(VALU_DEP_3) | instskip(NEXT) | instid1(VALU_DEP_3)
	v_div_fmas_f64 v[13:14], v[13:14], v[15:16], v[25:26]
	v_add_f64 v[9:10], v[3:4], v[9:10]
	v_cmp_class_f64_e64 vcc_lo, v[11:12], 0x204
	s_delay_alu instid0(VALU_DEP_4) | instskip(NEXT) | instid1(VALU_DEP_4)
	v_add_f64 v[5:6], v[5:6], -v[17:18]
	v_div_fixup_f64 v[3:4], v[13:14], v[11:12], 1.0
	s_delay_alu instid0(VALU_DEP_2) | instskip(NEXT) | instid1(VALU_DEP_2)
	v_add_f64 v[5:6], v[9:10], v[5:6]
	v_fma_f64 v[9:10], v[3:4], s[12:13], s[4:5]
	s_mov_b32 s12, 0x652b82fe
	s_mov_b32 s13, 0x3ff71547
	;; [unrolled: 1-line block ×4, first 2 shown]
	s_delay_alu instid0(VALU_DEP_2) | instskip(NEXT) | instid1(VALU_DEP_2)
	v_add_f64 v[5:6], v[27:28], v[5:6]
	v_mul_f64 v[13:14], v[9:10], s[12:13]
	s_delay_alu instid0(VALU_DEP_2) | instskip(SKIP_1) | instid1(VALU_DEP_3)
	v_dual_cndmask_b32 v0, v5, v11 :: v_dual_cndmask_b32 v5, v6, v12
	v_cmp_ngt_f64_e32 vcc_lo, 0, v[11:12]
	v_rndne_f64_e32 v[13:14], v[13:14]
	v_lshlrev_b64 v[75:76], 3, v[1:2]
	v_add_nc_u32_e32 v1, s33, v1
	v_cndmask_b32_e32 v6, 0x7ff80000, v5, vcc_lo
	v_cmp_nge_f64_e32 vcc_lo, 0, v[11:12]
	v_fma_f64 v[15:16], v[13:14], s[8:9], v[9:10]
	v_cndmask_b32_e32 v5, 0, v0, vcc_lo
	v_cmp_neq_f64_e32 vcc_lo, 0, v[11:12]
	s_delay_alu instid0(VALU_DEP_3) | instskip(SKIP_4) | instid1(VALU_DEP_3)
	v_fma_f64 v[23:24], v[13:14], s[6:7], v[15:16]
	v_cvt_i32_f64_e32 v0, v[13:14]
	v_cndmask_b32_e32 v6, 0xfff00000, v6, vcc_lo
	v_add_co_u32 v77, vcc_lo, s10, v7
	v_add_co_ci_u32_e32 v78, vcc_lo, s11, v8, vcc_lo
	v_fma_f64 v[11:12], v[5:6], s[24:25], s[4:5]
	v_fma_f64 v[17:18], v[5:6], s[44:45], s[14:15]
	s_mov_b32 s4, 0x36cdf267
	s_mov_b32 s5, 0xc0a8ba77
	;; [unrolled: 1-line block ×4, first 2 shown]
	v_lshlrev_b64 v[7:8], 3, v[1:2]
	v_add_nc_u32_e32 v1, s33, v1
	v_add_co_u32 v75, vcc_lo, s10, v75
	v_add_co_ci_u32_e32 v76, vcc_lo, s11, v76, vcc_lo
	s_delay_alu instid0(VALU_DEP_3)
	v_lshlrev_b64 v[79:80], 3, v[1:2]
	v_add_nc_u32_e32 v1, s33, v1
	s_mov_b32 s45, 0xbfe428f5
	s_mov_b32 s25, 0xc0075c28
	v_fma_f64 v[29:30], v[3:4], s[4:5], v[11:12]
	s_mov_b32 s5, 0x40033333
	s_mov_b32 s4, 0x33333333
	v_fma_f64 v[25:26], v[3:4], s[14:15], v[17:18]
	v_fma_f64 v[11:12], v[5:6], s[4:5], s[16:17]
	s_mov_b32 s14, 0xfe47992
	s_mov_b32 s15, 0x40909726
	;; [unrolled: 1-line block ×4, first 2 shown]
	v_fma_f64 v[15:16], v[5:6], s[4:5], s[18:19]
	s_mov_b32 s17, 0x3e5ade15
	s_mov_b32 s4, 0x6e6b17a6
	;; [unrolled: 1-line block ×4, first 2 shown]
	v_fma_f64 v[27:28], 0xbff40000, v[5:6], s[4:5]
	s_mov_b32 s19, 0x3f2a01a0
	s_mov_b32 s4, 0x84ed3a2b
	;; [unrolled: 1-line block ×3, first 2 shown]
	v_mul_f64 v[19:20], v[29:30], s[12:13]
	v_mul_f64 v[21:22], v[25:26], s[12:13]
	v_fma_f64 v[17:18], v[3:4], s[14:15], v[11:12]
	s_mov_b32 s14, 0xfca7ab0c
	s_mov_b32 s15, 0x3e928af3
	s_delay_alu instid0(SALU_CYCLE_1)
	v_fma_f64 v[11:12], v[23:24], s[16:17], s[14:15]
	v_mul_f64 v[31:32], v[15:16], s[12:13]
	v_rndne_f64_e32 v[45:46], v[19:20]
	v_rndne_f64_e32 v[49:50], v[21:22]
	v_mul_f64 v[19:20], v[17:18], s[12:13]
	v_fma_f64 v[11:12], v[23:24], v[11:12], s[22:23]
	v_rndne_f64_e32 v[59:60], v[31:32]
	v_fma_f64 v[21:22], v[45:46], s[8:9], v[29:30]
	v_fma_f64 v[31:32], v[49:50], s[8:9], v[25:26]
	v_rndne_f64_e32 v[47:48], v[19:20]
	v_mul_f64 v[19:20], v[27:28], s[12:13]
	v_fma_f64 v[11:12], v[23:24], v[11:12], s[20:21]
	v_fma_f64 v[33:34], v[59:60], s[8:9], v[15:16]
	;; [unrolled: 1-line block ×5, first 2 shown]
	v_rndne_f64_e32 v[37:38], v[19:20]
	v_fma_f64 v[19:20], v[5:6], s[28:29], s[4:5]
	s_mov_b32 s4, 0x7e0fd058
	v_fma_f64 v[11:12], v[23:24], v[11:12], s[18:19]
	v_fma_f64 v[61:62], v[59:60], s[6:7], v[33:34]
	s_mov_b32 s5, 0x4047933d
	s_mov_b32 s29, 0xbffb851e
	v_cvt_i32_f64_e32 v95, v[47:48]
	v_fma_f64 v[31:32], v[51:52], s[16:17], s[14:15]
	v_fma_f64 v[33:34], v[53:54], s[16:17], s[14:15]
	;; [unrolled: 1-line block ×4, first 2 shown]
	v_mul_f64 v[39:40], v[19:20], s[12:13]
	v_cvt_i32_f64_e32 v96, v[37:38]
	v_fma_f64 v[11:12], v[23:24], v[11:12], s[26:27]
	v_fma_f64 v[41:42], v[61:62], s[16:17], s[14:15]
	;; [unrolled: 1-line block ×7, first 2 shown]
	s_mov_b32 s28, 11
	v_fma_f64 v[11:12], v[23:24], v[11:12], s[34:35]
	s_mov_b32 s29, 0x3fe00000
	s_mov_b32 s4, 0x27fd750b
	;; [unrolled: 1-line block ×3, first 2 shown]
	v_fma_f64 v[43:44], v[51:52], v[31:32], s[20:21]
	v_rndne_f64_e32 v[31:32], v[39:40]
	v_fma_f64 v[39:40], v[61:62], v[41:42], s[22:23]
	v_fma_f64 v[41:42], v[53:54], v[33:34], s[20:21]
	;; [unrolled: 1-line block ×4, first 2 shown]
	v_mul_f64 v[65:66], v[21:22], s[12:13]
	v_fma_f64 v[11:12], v[23:24], v[11:12], s[36:37]
	v_fma_f64 v[43:44], v[51:52], v[43:44], s[18:19]
	v_cvt_i32_f64_e32 v99, v[31:32]
	v_fma_f64 v[39:40], v[61:62], v[39:40], s[20:21]
	v_fma_f64 v[41:42], v[53:54], v[41:42], s[18:19]
	;; [unrolled: 1-line block ×4, first 2 shown]
	v_rndne_f64_e32 v[33:34], v[65:66]
	v_fma_f64 v[65:66], v[31:32], s[8:9], v[19:20]
	v_fma_f64 v[11:12], v[23:24], v[11:12], s[30:31]
	;; [unrolled: 1-line block ×17, first 2 shown]
	v_fma_f64 v[71:72], v[23:24], v[11:12], 1.0
	v_fma_f64 v[11:12], v[5:6], s[38:39], s[4:5]
	s_mov_b32 s39, 0xbff3d70a
	s_mov_b32 s38, 0x3d70a3d7
	s_mov_b32 s4, 0xbda9435b
	v_fma_f64 v[13:14], v[5:6], s[38:39], s[0:1]
	s_mov_b32 s0, 0xcf27f0e0
	s_mov_b32 s1, 0x403fef61
	;; [unrolled: 1-line block ×4, first 2 shown]
	v_fma_f64 v[65:66], v[51:52], v[65:66], s[36:37]
	v_fma_f64 v[39:40], v[61:62], v[39:40], s[34:35]
	;; [unrolled: 1-line block ×7, first 2 shown]
	v_fma_f64 v[23:24], v[23:24], v[71:72], 1.0
	v_mul_f64 v[71:72], v[11:12], s[12:13]
	v_mul_f64 v[85:86], v[13:14], s[12:13]
	v_fma_f64 v[65:66], v[51:52], v[65:66], s[30:31]
	v_fma_f64 v[83:84], v[61:62], v[39:40], s[36:37]
	;; [unrolled: 1-line block ×7, first 2 shown]
	v_ldexp_f64 v[81:82], v[23:24], v0
	v_rndne_f64_e32 v[39:40], v[71:72]
	v_add_co_u32 v71, vcc_lo, s10, v7
	v_add_co_ci_u32_e32 v72, vcc_lo, s11, v8, vcc_lo
	v_lshlrev_b64 v[7:8], 3, v[1:2]
	v_add_nc_u32_e32 v1, s33, v1
	v_add_co_u32 v79, vcc_lo, s10, v79
	v_add_co_ci_u32_e32 v80, vcc_lo, s11, v80, vcc_lo
	s_delay_alu instid0(VALU_DEP_3) | instskip(SKIP_3) | instid1(VALU_DEP_3)
	v_lshlrev_b64 v[41:42], 3, v[1:2]
	v_add_nc_u32_e32 v1, s33, v1
	v_add_co_u32 v89, vcc_lo, s10, v7
	v_add_co_ci_u32_e32 v90, vcc_lo, s11, v8, vcc_lo
	v_lshlrev_b64 v[7:8], 3, v[1:2]
	v_add_co_u32 v91, vcc_lo, s10, v41
	v_add_co_ci_u32_e32 v92, vcc_lo, s11, v42, vcc_lo
	v_fma_f64 v[23:24], v[5:6], s[40:41], s[0:1]
	s_delay_alu instid0(VALU_DEP_4)
	v_add_co_u32 v93, vcc_lo, s10, v7
	v_add_co_ci_u32_e32 v94, vcc_lo, s11, v8, vcc_lo
	v_cmp_nlt_f64_e32 vcc_lo, 0x40900000, v[9:10]
	v_rndne_f64_e32 v[41:42], v[85:86]
	v_fma_f64 v[65:66], v[51:52], v[65:66], s[28:29]
	v_cvt_i32_f64_e32 v86, v[59:60]
	v_fma_f64 v[7:8], v[61:62], v[83:84], s[30:31]
	v_cmp_ngt_f64_e64 s0, 0xc090cc00, v[9:10]
	v_fma_f64 v[67:68], v[55:56], v[67:68], s[30:31]
	v_fma_f64 v[63:64], v[57:58], v[63:64], s[36:37]
	;; [unrolled: 1-line block ×6, first 2 shown]
	v_add_nc_u32_e32 v1, s33, v1
	s_mov_b32 s2, 0x9d39614b
	s_mov_b32 s4, 0xe24febd1
	;; [unrolled: 1-line block ×4, first 2 shown]
	v_lshlrev_b64 v[37:38], 3, v[1:2]
	v_add_nc_u32_e32 v1, s33, v1
	v_cmp_nlt_f64_e64 s1, 0x40900000, v[29:30]
	s_mov_b32 s41, 0xbfefae14
	v_mul_f64 v[59:60], v[23:24], s[12:13]
	v_cndmask_b32_e32 v0, 0x7ff00000, v82, vcc_lo
	v_fma_f64 v[82:83], v[53:54], v[87:88], s[28:29]
	v_fma_f64 v[65:66], v[51:52], v[65:66], 1.0
	v_cvt_i32_f64_e32 v88, v[49:50]
	v_fma_f64 v[49:50], v[41:42], s[8:9], v[13:14]
	v_fma_f64 v[7:8], v[61:62], v[7:8], s[28:29]
	;; [unrolled: 1-line block ×6, first 2 shown]
	v_cvt_i32_f64_e32 v87, v[45:46]
	s_and_b32 vcc_lo, s0, vcc_lo
	v_rndne_f64_e32 v[45:46], v[59:60]
	v_fma_f64 v[82:83], v[53:54], v[82:83], 1.0
	v_fma_f64 v[65:66], v[51:52], v[65:66], 1.0
	v_fma_f64 v[51:52], v[39:40], s[6:7], v[84:85]
	v_fma_f64 v[49:50], v[41:42], s[6:7], v[49:50]
	v_fma_f64 v[7:8], v[61:62], v[7:8], 1.0
	v_fma_f64 v[67:68], v[55:56], v[67:68], 1.0
	v_fma_f64 v[63:64], v[57:58], v[63:64], s[28:29]
	v_fma_f64 v[59:60], v[35:36], v[73:74], s[26:27]
	;; [unrolled: 1-line block ×3, first 2 shown]
	v_mul_f64 v[73:74], v[9:10], s[12:13]
	v_fma_f64 v[53:54], v[53:54], v[82:83], 1.0
	v_fma_f64 v[82:83], v[45:46], s[8:9], v[23:24]
	v_ldexp_f64 v[65:66], v[65:66], v87
	v_fma_f64 v[84:85], v[49:50], s[16:17], s[14:15]
	v_fma_f64 v[61:62], v[61:62], v[7:8], 1.0
	v_fma_f64 v[55:56], v[55:56], v[67:68], 1.0
	v_fma_f64 v[67:68], v[51:52], s[16:17], s[14:15]
	v_fma_f64 v[63:64], v[57:58], v[63:64], 1.0
	v_fma_f64 v[69:70], v[43:44], v[69:70], s[36:37]
	v_fma_f64 v[59:60], v[35:36], v[59:60], s[34:35]
	v_rndne_f64_e32 v[47:48], v[73:74]
	v_fma_f64 v[7:8], v[3:4], s[4:5], s[2:3]
	v_cmp_ngt_f64_e64 s2, 0xc090cc00, v[29:30]
	v_add_co_u32 v29, s3, s10, v37
	s_delay_alu instid0(VALU_DEP_1)
	v_add_co_ci_u32_e64 v30, s3, s11, v38, s3
	v_cndmask_b32_e64 v38, 0, v0, s0
	v_cndmask_b32_e32 v37, 0, v81, vcc_lo
	v_cmp_nlt_f64_e32 vcc_lo, 0x40900000, v[25:26]
	v_cmp_ngt_f64_e64 s0, 0xc090cc00, v[25:26]
	v_cmp_ngt_f64_e64 s4, 0xc090cc00, v[17:18]
	global_store_b64 v[77:78], v[37:38], off
	v_ldexp_f64 v[73:74], v[53:54], v88
	v_fma_f64 v[53:54], v[45:46], s[6:7], v[82:83]
	v_fma_f64 v[81:82], v[49:50], v[84:85], s[22:23]
	v_ldexp_f64 v[83:84], v[61:62], v86
	v_ldexp_f64 v[55:56], v[55:56], v95
	v_fma_f64 v[67:68], v[51:52], v[67:68], s[22:23]
	v_fma_f64 v[57:58], v[57:58], v[63:64], 1.0
	v_fma_f64 v[63:64], v[43:44], v[69:70], s[30:31]
	v_lshlrev_b64 v[69:70], 3, v[1:2]
	v_add_nc_u32_e32 v1, s33, v1
	v_fma_f64 v[59:60], v[35:36], v[59:60], s[36:37]
	v_cndmask_b32_e64 v95, 0x7ff00000, v66, s1
	v_fma_f64 v[77:78], v[47:48], s[8:9], v[9:10]
	v_mul_f64 v[25:26], v[7:8], s[12:13]
	v_lshlrev_b64 v[37:38], 3, v[1:2]
	v_add_co_u32 v85, s3, s10, v69
	s_delay_alu instid0(VALU_DEP_1) | instskip(SKIP_1) | instid1(VALU_DEP_4)
	v_add_co_ci_u32_e64 v86, s3, s11, v70, s3
	v_add_nc_u32_e32 v1, s33, v1
	v_add_co_u32 v87, s3, s10, v37
	s_delay_alu instid0(VALU_DEP_1)
	v_add_co_ci_u32_e64 v88, s3, s11, v38, s3
	v_cmp_nlt_f64_e64 s3, 0x40900000, v[17:18]
	s_and_b32 s1, s2, s1
	v_cndmask_b32_e64 v18, 0, v95, s2
	v_cndmask_b32_e64 v17, 0, v65, s1
	v_lshlrev_b64 v[61:62], 3, v[1:2]
	v_add_nc_u32_e32 v1, s33, v1
	v_cmp_ngt_f64_e64 s2, 0xc090cc00, v[15:16]
	global_store_b64 v[75:76], v[17:18], off
	v_lshlrev_b64 v[17:18], 3, v[1:2]
	v_add_nc_u32_e32 v1, s33, v1
	v_cndmask_b32_e32 v0, 0x7ff00000, v74, vcc_lo
	v_fma_f64 v[37:38], v[53:54], s[16:17], s[14:15]
	s_and_b32 vcc_lo, s0, vcc_lo
	v_mul_f64 v[74:75], v[3:4], s[42:43]
	s_mov_b32 s43, 0x439bc16d
	v_fma_f64 v[66:67], v[51:52], v[67:68], s[20:21]
	v_fma_f64 v[68:69], v[49:50], v[81:82], s[20:21]
	v_add_co_u32 v81, s1, s10, v61
	s_delay_alu instid0(VALU_DEP_1)
	v_add_co_ci_u32_e64 v82, s1, s11, v62, s1
	v_fma_f64 v[59:60], v[35:36], v[59:60], s[30:31]
	v_cmp_nlt_f64_e64 s1, 0x40900000, v[15:16]
	v_cndmask_b32_e32 v15, 0, v73, vcc_lo
	v_add_co_u32 v95, vcc_lo, s10, v17
	v_cndmask_b32_e64 v16, 0, v0, s0
	v_fma_f64 v[63:64], v[43:44], v[63:64], s[28:29]
	v_fma_f64 v[61:62], v[47:48], s[6:7], v[77:78]
	v_cmp_ngt_f64_e64 s0, 0xc090cc00, v[27:28]
	global_store_b64 v[71:72], v[15:16], off
	v_rndne_f64_e32 v[71:72], v[25:26]
	v_fma_f64 v[15:16], v[3:4], s[58:59], s[48:49]
	v_cndmask_b32_e64 v70, 0x7ff00000, v56, s3
	v_ldexp_f64 v[56:57], v[57:58], v96
	v_add_co_ci_u32_e32 v96, vcc_lo, s11, v18, vcc_lo
	s_and_b32 vcc_lo, s4, s3
	v_fma_f64 v[17:18], v[3:4], s[60:61], s[46:47]
	v_cndmask_b32_e32 v58, 0, v55, vcc_lo
	v_cmp_nlt_f64_e32 vcc_lo, 0x40900000, v[27:28]
	s_mov_b32 s46, 0xe5400000
	s_mov_b32 s47, 0x42b2309c
	;; [unrolled: 1-line block ×6, first 2 shown]
	v_fma_f64 v[25:26], v[53:54], v[37:38], s[22:23]
	v_fma_f64 v[76:77], v[51:52], v[66:67], s[18:19]
	v_lshlrev_b64 v[65:66], 3, v[1:2]
	v_add_nc_u32_e32 v1, s33, v1
	v_fma_f64 v[67:68], v[49:50], v[68:69], s[18:19]
	v_fma_f64 v[37:38], v[35:36], v[59:60], s[28:29]
	v_cndmask_b32_e64 v59, 0, v70, s4
	s_delay_alu instid0(VALU_DEP_4)
	v_lshlrev_b64 v[27:28], 3, v[1:2]
	v_add_nc_u32_e32 v1, s33, v1
	v_cndmask_b32_e64 v84, 0x7ff00000, v84, s1
	s_and_b32 s1, s2, s1
	global_store_b64 v[79:80], v[58:59], off
	v_add_co_u32 v59, s3, s10, v65
	s_delay_alu instid0(VALU_DEP_1) | instskip(SKIP_1) | instid1(VALU_DEP_1)
	v_add_co_ci_u32_e64 v60, s3, s11, v66, s3
	v_add_co_u32 v65, s3, s10, v27
	v_add_co_ci_u32_e64 v66, s3, s11, v28, s3
	v_lshlrev_b64 v[27:28], 3, v[1:2]
	v_fma_f64 v[97:98], v[43:44], v[63:64], 1.0
	global_store_b64 v[89:90], v[74:75], off
	v_fma_f64 v[73:74], v[61:62], s[16:17], s[14:15]
	v_fma_f64 v[79:80], v[71:72], s[8:9], v[7:8]
	v_cndmask_b32_e32 v0, 0x7ff00000, v57, vcc_lo
	v_mul_f64 v[57:58], v[3:4], v[3:4]
	v_cndmask_b32_e64 v69, 0, v83, s1
	v_add_co_u32 v63, s1, s10, v27
	v_cndmask_b32_e64 v70, 0, v84, s2
	v_add_co_ci_u32_e64 v64, s1, s11, v28, s1
	v_fma_f64 v[25:26], v[53:54], v[25:26], s[20:21]
	v_mul_f64 v[27:28], v[17:18], s[12:13]
	v_mul_f64 v[83:84], v[15:16], s[12:13]
	s_mov_b32 s2, 0x85f9a0d8
	v_fma_f64 v[75:76], v[51:52], v[76:77], s[26:27]
	s_mov_b32 s3, 0x443dd0c8
	s_and_b32 vcc_lo, s0, vcc_lo
	global_store_b64 v[91:92], v[69:70], off
	v_cndmask_b32_e32 v69, 0, v56, vcc_lo
	v_add_nc_u32_e32 v1, s33, v1
	v_fma_f64 v[37:38], v[35:36], v[37:38], 1.0
	v_cndmask_b32_e64 v70, 0, v0, s0
	s_mov_b32 s0, 0x53bc0487
	s_mov_b32 s1, 0x4492a27d
	v_lshlrev_b64 v[31:32], 3, v[1:2]
	v_add_nc_u32_e32 v1, s33, v1
	v_cvt_i32_f64_e32 v0, v[33:34]
	v_mul_f64 v[33:34], v[3:4], s[42:43]
	global_store_b64 v[93:94], v[69:70], off
	v_fma_f64 v[67:68], v[49:50], v[67:68], s[26:27]
	v_lshlrev_b64 v[77:78], 3, v[1:2]
	v_add_co_u32 v69, vcc_lo, s10, v31
	v_add_nc_u32_e32 v1, s33, v1
	v_add_co_ci_u32_e32 v70, vcc_lo, s11, v32, vcc_lo
	v_fma_f64 v[43:44], v[43:44], v[97:98], 1.0
	v_add_co_u32 v31, vcc_lo, s10, v77
	v_fma_f64 v[91:92], v[61:62], v[73:74], s[22:23]
	v_fma_f64 v[73:74], v[71:72], s[6:7], v[79:80]
	v_mul_f64 v[55:56], v[57:58], s[2:3]
	v_mul_f64 v[57:58], v[57:58], s[0:1]
	v_add_co_ci_u32_e32 v32, vcc_lo, s11, v78, vcc_lo
	v_lshlrev_b64 v[89:90], 3, v[1:2]
	v_add_nc_u32_e32 v1, s33, v1
	s_mov_b32 s2, 0xd3d0c000
	v_fma_f64 v[79:80], v[53:54], v[25:26], s[18:19]
	v_rndne_f64_e32 v[77:78], v[27:28]
	s_mov_b32 s3, 0x437aa535
	v_lshlrev_b64 v[27:28], 3, v[1:2]
	v_fma_f64 v[93:94], v[51:52], v[75:76], s[34:35]
	v_rndne_f64_e32 v[75:76], v[83:84]
	v_add_nc_u32_e32 v1, s33, v1
	v_add_co_u32 v25, vcc_lo, s10, v89
	v_add_co_ci_u32_e32 v26, vcc_lo, s11, v90, vcc_lo
	v_fma_f64 v[35:36], v[35:36], v[37:38], 1.0
	s_delay_alu instid0(VALU_DEP_4)
	v_lshlrev_b64 v[37:38], 3, v[1:2]
	v_add_nc_u32_e32 v1, s33, v1
	v_cmp_ngt_f64_e64 s0, 0xc090cc00, v[19:20]
	v_cmp_nlt_f64_e64 s1, 0x40900000, v[21:22]
	s_mov_b32 s4, 0xb03ef78d
	s_mov_b32 s42, 0x2107b78
	s_mov_b32 s5, 0x4039973e
	s_mov_b32 s43, 0x4089a1f2
	v_ldexp_f64 v[83:84], v[43:44], v99
	v_fma_f64 v[43:44], v[49:50], v[67:68], s[34:35]
	global_store_b64 v[29:30], v[55:56], off
	v_add_co_u32 v29, vcc_lo, s10, v27
	v_add_co_ci_u32_e32 v30, vcc_lo, s11, v28, vcc_lo
	v_add_co_u32 v27, vcc_lo, s10, v37
	v_add_co_ci_u32_e32 v28, vcc_lo, s11, v38, vcc_lo
	v_lshlrev_b64 v[37:38], 3, v[1:2]
	v_add_nc_u32_e32 v1, s33, v1
	s_clause 0x1
	global_store_b64 v[85:86], v[57:58], off
	global_store_b64 v[87:88], v[33:34], off
	v_fma_f64 v[57:58], v[61:62], v[91:92], s[20:21]
	v_fma_f64 v[67:68], v[51:52], v[93:94], s[36:37]
	v_lshlrev_b64 v[55:56], 3, v[1:2]
	v_add_co_u32 v37, vcc_lo, s10, v37
	v_add_co_ci_u32_e32 v38, vcc_lo, s11, v38, vcc_lo
	v_fma_f64 v[85:86], v[73:74], s[16:17], s[14:15]
	s_delay_alu instid0(VALU_DEP_4)
	v_add_co_u32 v33, vcc_lo, s10, v55
	v_add_co_ci_u32_e32 v34, vcc_lo, s11, v56, vcc_lo
	v_fma_f64 v[79:80], v[53:54], v[79:80], s[26:27]
	v_cmp_nlt_f64_e32 vcc_lo, 0x40900000, v[19:20]
	v_fma_f64 v[89:90], v[77:78], s[8:9], v[17:18]
	v_fma_f64 v[87:88], v[75:76], s[8:9], v[15:16]
	v_ldexp_f64 v[35:36], v[35:36], v0
	v_mul_f64 v[19:20], v[3:4], s[2:3]
	v_add_nc_u32_e32 v1, s33, v1
	v_cmp_ngt_f64_e64 s2, 0xc090cc00, v[21:22]
	v_cvt_i32_f64_e32 v97, v[77:78]
	v_fma_f64 v[55:56], v[49:50], v[43:44], s[36:37]
	v_cvt_i32_f64_e32 v98, v[75:76]
	v_lshlrev_b64 v[21:22], 3, v[1:2]
	v_add_nc_u32_e32 v1, s33, v1
	s_delay_alu instid0(VALU_DEP_2) | instskip(NEXT) | instid1(VALU_DEP_1)
	v_add_co_u32 v43, s3, s10, v21
	v_add_co_ci_u32_e64 v44, s3, s11, v22, s3
	v_fma_f64 v[57:58], v[61:62], v[57:58], s[18:19]
	v_fma_f64 v[67:68], v[51:52], v[67:68], s[30:31]
	v_fma_f64 v[79:80], v[53:54], v[79:80], s[34:35]
	v_cndmask_b32_e32 v0, 0x7ff00000, v84, vcc_lo
	v_fma_f64 v[84:85], v[73:74], v[85:86], s[22:23]
	v_fma_f64 v[89:90], v[77:78], s[6:7], v[89:90]
	;; [unrolled: 1-line block ×3, first 2 shown]
	s_and_b32 vcc_lo, s0, vcc_lo
	global_store_b64 v[81:82], v[19:20], off
	v_cndmask_b32_e32 v21, 0, v83, vcc_lo
	v_lshlrev_b64 v[19:20], 3, v[1:2]
	v_fma_f64 v[81:82], v[49:50], v[55:56], s[30:31]
	v_fma_f64 v[55:56], v[3:4], s[42:43], s[4:5]
	v_cndmask_b32_e64 v36, 0x7ff00000, v36, s1
	v_cndmask_b32_e64 v22, 0, v0, s0
	s_and_b32 vcc_lo, s2, s1
	v_add_co_u32 v19, s3, s10, v19
	s_delay_alu instid0(VALU_DEP_1)
	v_add_co_ci_u32_e64 v20, s3, s11, v20, s3
	global_store_b64 v[95:96], v[21:22], off
	v_cndmask_b32_e64 v22, 0, v36, s2
	v_cndmask_b32_e32 v21, 0, v35, vcc_lo
	s_mov_b32 s0, 0x5d8bcc51
	s_mov_b32 s2, 0x9a415f46
	;; [unrolled: 1-line block ×4, first 2 shown]
	global_store_b64 v[59:60], v[21:22], off
	v_fma_f64 v[57:58], v[61:62], v[57:58], s[26:27]
	v_fma_f64 v[67:68], v[51:52], v[67:68], s[28:29]
	v_cvt_i32_f64_e32 v0, v[39:40]
	v_add_nc_u32_e32 v1, s33, v1
	s_mov_b32 s4, 0xd0e057c4
	s_mov_b32 s5, 0x403def00
	;; [unrolled: 1-line block ×4, first 2 shown]
	v_lshlrev_b64 v[35:36], 3, v[1:2]
	v_add_nc_u32_e32 v1, s33, v1
	v_cvt_i32_f64_e32 v88, v[47:48]
	v_fma_f64 v[79:80], v[53:54], v[79:80], s[36:37]
	v_fma_f64 v[83:84], v[73:74], v[84:85], s[20:21]
	;; [unrolled: 1-line block ×4, first 2 shown]
	v_cvt_i32_f64_e32 v85, v[41:42]
	v_lshlrev_b64 v[21:22], 3, v[1:2]
	v_add_co_u32 v35, vcc_lo, s10, v35
	v_fma_f64 v[59:60], v[49:50], v[81:82], s[28:29]
	v_mul_f64 v[81:82], v[55:56], s[12:13]
	v_add_co_ci_u32_e32 v36, vcc_lo, s11, v36, vcc_lo
	v_add_co_u32 v21, vcc_lo, s10, v21
	v_add_co_ci_u32_e32 v22, vcc_lo, s11, v22, vcc_lo
	v_cmp_nlt_f64_e32 vcc_lo, 0x40900000, v[11:12]
	v_add_nc_u32_e32 v1, s33, v1
	v_fma_f64 v[41:42], v[61:62], v[57:58], s[34:35]
	v_fma_f64 v[39:40], v[51:52], v[67:68], 1.0
	v_fma_f64 v[67:68], v[3:4], s[2:3], s[0:1]
	s_mov_b32 s0, 0x303c07f
	s_mov_b32 s1, 0x40304f08
	v_cmp_ngt_f64_e64 s2, 0xc090cc00, v[13:14]
	v_fma_f64 v[79:80], v[53:54], v[79:80], s[30:31]
	v_fma_f64 v[57:58], v[73:74], v[83:84], s[18:19]
	;; [unrolled: 1-line block ×4, first 2 shown]
	v_fma_f64 v[59:60], v[49:50], v[59:60], 1.0
	v_rndne_f64_e32 v[81:82], v[81:82]
	v_fma_f64 v[41:42], v[61:62], v[41:42], s[36:37]
	v_fma_f64 v[39:40], v[51:52], v[39:40], 1.0
	v_mul_f64 v[51:52], v[67:68], s[12:13]
	v_fma_f64 v[79:80], v[53:54], v[79:80], s[28:29]
	v_fma_f64 v[57:58], v[73:74], v[57:58], s[26:27]
	;; [unrolled: 1-line block ×4, first 2 shown]
	v_fma_f64 v[49:50], v[49:50], v[59:60], 1.0
	v_fma_f64 v[59:60], v[81:82], s[8:9], v[55:56]
	v_fma_f64 v[41:42], v[61:62], v[41:42], s[30:31]
	v_ldexp_f64 v[39:40], v[39:40], v0
	v_rndne_f64_e32 v[51:52], v[51:52]
	v_cvt_i32_f64_e32 v0, v[45:46]
	v_fma_f64 v[79:80], v[53:54], v[79:80], 1.0
	v_fma_f64 v[57:58], v[73:74], v[57:58], s[34:35]
	v_fma_f64 v[83:84], v[89:90], v[83:84], s[18:19]
	;; [unrolled: 1-line block ×3, first 2 shown]
	v_ldexp_f64 v[49:50], v[49:50], v85
	v_fma_f64 v[93:94], v[81:82], s[6:7], v[59:60]
	v_fma_f64 v[41:42], v[61:62], v[41:42], s[28:29]
	v_cndmask_b32_e32 v40, 0x7ff00000, v40, vcc_lo
	v_fma_f64 v[59:60], v[51:52], s[8:9], v[67:68]
	v_fma_f64 v[53:54], v[53:54], v[79:80], 1.0
	v_fma_f64 v[79:80], v[5:6], 2.0, s[0:1]
	v_fma_f64 v[95:96], v[73:74], v[57:58], s[36:37]
	v_fma_f64 v[83:84], v[89:90], v[83:84], s[26:27]
	;; [unrolled: 1-line block ×3, first 2 shown]
	v_cmp_ngt_f64_e64 s0, 0xc090cc00, v[11:12]
	v_fma_f64 v[57:58], v[3:4], s[42:43], s[4:5]
	s_mov_b32 s4, 0xe1719f8
	s_mov_b32 s5, 0xc0a47174
	v_cmp_nlt_f64_e64 s1, 0x40900000, v[13:14]
	v_fma_f64 v[11:12], v[93:94], s[16:17], s[14:15]
	s_mov_b32 s43, 0x3fdeb851
	v_fma_f64 v[47:48], v[61:62], v[41:42], 1.0
	v_fma_f64 v[45:46], v[51:52], s[6:7], v[59:60]
	v_ldexp_f64 v[53:54], v[53:54], v0
	v_fma_f64 v[59:60], v[3:4], s[4:5], v[79:80]
	v_fma_f64 v[13:14], v[73:74], v[95:96], s[30:31]
	s_mov_b32 s4, 0x4ddb5526
	s_mov_b32 s5, 0xc06420f0
	v_fma_f64 v[83:84], v[89:90], v[83:84], s[34:35]
	v_fma_f64 v[79:80], v[86:87], v[91:92], s[34:35]
	;; [unrolled: 1-line block ×3, first 2 shown]
	s_and_b32 vcc_lo, s0, vcc_lo
	v_cndmask_b32_e64 v40, 0, v40, s0
	v_cndmask_b32_e32 v39, 0, v39, vcc_lo
	s_mov_b32 s4, 0xb025cd19
	s_mov_b32 s5, 0x40301494
	v_cvt_i32_f64_e32 v0, v[71:72]
	s_and_b32 vcc_lo, s2, s1
	global_store_b64 v[65:66], v[39:40], off
	v_fma_f64 v[39:40], v[5:6], 2.0, s[4:5]
	v_cndmask_b32_e32 v49, 0, v49, vcc_lo
	v_cmp_nlt_f64_e32 vcc_lo, 0x40900000, v[23:24]
	v_cmp_ngt_f64_e64 s0, 0xc090cc00, v[23:24]
	v_fma_f64 v[11:12], v[93:94], v[11:12], s[22:23]
	v_cndmask_b32_e64 v50, 0x7ff00000, v50, s1
	s_mov_b32 s4, 0xa049b703
	s_mov_b32 s5, 0x403c8c1c
	v_fma_f64 v[91:92], v[61:62], v[47:48], 1.0
	v_mul_f64 v[47:48], v[57:58], s[12:13]
	v_fma_f64 v[71:72], v[45:46], s[16:17], s[14:15]
	v_cndmask_b32_e64 v50, 0, v50, s2
	s_mov_b32 s2, 0x57d1782d
	s_mov_b32 s3, 0xc0b2cac0
	global_store_b64 v[63:64], v[49:50], off
	v_mul_f64 v[61:62], v[59:60], s[12:13]
	v_fma_f64 v[13:14], v[73:74], v[13:14], s[28:29]
	v_fma_f64 v[77:78], v[89:90], v[83:84], s[36:37]
	;; [unrolled: 1-line block ×3, first 2 shown]
	v_mul_f64 v[23:24], v[41:42], s[12:13]
	v_cndmask_b32_e32 v54, 0x7ff00000, v54, vcc_lo
	s_and_b32 vcc_lo, s0, vcc_lo
	v_fma_f64 v[11:12], v[93:94], v[11:12], s[20:21]
	v_cndmask_b32_e32 v53, 0, v53, vcc_lo
	v_cmp_nlt_f64_e32 vcc_lo, 0x40900000, v[9:10]
	v_cndmask_b32_e64 v54, 0, v54, s0
	s_mov_b32 s0, 0x1124eb7
	s_mov_b32 s1, 0x4040ff3d
	v_rndne_f64_e32 v[65:66], v[47:48]
	v_fma_f64 v[83:84], v[45:46], v[71:72], s[22:23]
	v_fma_f64 v[47:48], v[3:4], s[52:53], v[39:40]
	global_store_b64 v[69:70], v[53:54], off
	v_rndne_f64_e32 v[71:72], v[61:62]
	v_fma_f64 v[13:14], v[73:74], v[13:14], 1.0
	v_fma_f64 v[39:40], v[89:90], v[77:78], s[30:31]
	v_fma_f64 v[77:78], v[86:87], v[79:80], s[30:31]
	v_rndne_f64_e32 v[61:62], v[23:24]
	v_fma_f64 v[11:12], v[93:94], v[11:12], s[18:19]
	v_fma_f64 v[23:24], v[45:46], v[83:84], s[20:21]
	v_mul_f64 v[49:50], v[47:48], s[12:13]
	v_fma_f64 v[83:84], v[73:74], v[13:14], 1.0
	v_fma_f64 v[73:74], v[71:72], s[8:9], v[59:60]
	v_fma_f64 v[13:14], v[65:66], s[8:9], v[57:58]
	;; [unrolled: 1-line block ×7, first 2 shown]
	v_rndne_f64_e32 v[63:64], v[49:50]
	v_fma_f64 v[77:78], v[71:72], s[6:7], v[73:74]
	v_fma_f64 v[79:80], v[65:66], s[6:7], v[13:14]
	v_fma_f64 v[39:40], v[89:90], v[39:40], 1.0
	v_fma_f64 v[13:14], v[86:87], v[75:76], 1.0
	v_fma_f64 v[75:76], v[61:62], s[6:7], v[95:96]
	v_cvt_i32_f64_e32 v96, v[81:82]
	v_fma_f64 v[11:12], v[93:94], v[11:12], s[34:35]
	v_fma_f64 v[23:24], v[45:46], v[23:24], s[26:27]
	;; [unrolled: 1-line block ×5, first 2 shown]
	v_fma_f64 v[39:40], v[89:90], v[39:40], 1.0
	v_fma_f64 v[85:86], v[86:87], v[13:14], 1.0
	v_fma_f64 v[13:14], v[75:76], s[16:17], s[14:15]
	v_fma_f64 v[11:12], v[93:94], v[11:12], s[36:37]
	;; [unrolled: 1-line block ×6, first 2 shown]
	v_ldexp_f64 v[69:70], v[91:92], v88
	v_ldexp_f64 v[91:92], v[83:84], v0
	v_fma_f64 v[13:14], v[75:76], v[13:14], s[22:23]
	v_ldexp_f64 v[85:86], v[85:86], v98
	v_fma_f64 v[11:12], v[93:94], v[11:12], s[30:31]
	v_fma_f64 v[23:24], v[45:46], v[23:24], s[36:37]
	;; [unrolled: 1-line block ×5, first 2 shown]
	v_cndmask_b32_e32 v0, 0x7ff00000, v70, vcc_lo
	v_cvt_i32_f64_e32 v70, v[51:52]
	v_fma_f64 v[13:14], v[75:76], v[13:14], s[20:21]
	v_fma_f64 v[11:12], v[93:94], v[11:12], s[28:29]
	;; [unrolled: 1-line block ×7, first 2 shown]
	v_fma_f64 v[11:12], v[93:94], v[11:12], 1.0
	v_fma_f64 v[23:24], v[45:46], v[23:24], s[28:29]
	v_fma_f64 v[81:82], v[73:74], v[81:82], s[20:21]
	;; [unrolled: 1-line block ×6, first 2 shown]
	s_mov_b32 s2, 0xefea0847
	s_mov_b32 s3, 0x40410400
	v_cmp_ngt_f64_e64 s0, 0xc090cc00, v[9:10]
	v_cmp_nlt_f64_e64 s1, 0x40900000, v[7:8]
	v_fma_f64 v[11:12], v[93:94], v[11:12], 1.0
	v_fma_f64 v[89:90], v[45:46], v[23:24], 1.0
	v_fma_f64 v[23:24], v[3:4], s[62:63], s[2:3]
	v_fma_f64 v[9:10], v[73:74], v[81:82], s[18:19]
	v_cmp_ngt_f64_e64 s2, 0xc090cc00, v[7:8]
	v_fma_f64 v[49:50], v[77:78], v[49:50], s[34:35]
	v_fma_f64 v[53:54], v[79:80], v[53:54], s[34:35]
	;; [unrolled: 1-line block ×3, first 2 shown]
	v_mul_f64 v[51:52], v[13:14], s[12:13]
	v_ldexp_f64 v[87:88], v[39:40], v97
	v_fma_f64 v[39:40], v[3:4], s[64:65], s[4:5]
	s_and_b32 vcc_lo, s0, vcc_lo
	v_cndmask_b32_e64 v98, 0x7ff00000, v92, s1
	v_cndmask_b32_e32 v7, 0, v69, vcc_lo
	v_cmp_nlt_f64_e32 vcc_lo, 0x40900000, v[17:18]
	v_cndmask_b32_e64 v8, 0, v0, s0
	v_cmp_ngt_f64_e64 s0, 0xc090cc00, v[17:18]
	s_mov_b32 s4, 0xcc02a272
	s_mov_b32 s64, 0xea4a8c15
	;; [unrolled: 1-line block ×3, first 2 shown]
	v_ldexp_f64 v[96:97], v[11:12], v96
	v_lshlrev_b64 v[11:12], 3, v[1:2]
	v_add_nc_u32_e32 v1, s33, v1
	global_store_b64 v[31:32], v[7:8], off
	s_mov_b32 s65, 0xc0c731f4
	v_lshlrev_b64 v[7:8], 3, v[1:2]
	v_fma_f64 v[83:84], v[45:46], v[89:90], 1.0
	v_mul_f64 v[89:90], v[23:24], s[12:13]
	v_fma_f64 v[9:10], v[73:74], v[9:10], s[26:27]
	s_and_b32 s1, s2, s1
	v_add_nc_u32_e32 v1, s33, v1
	v_cndmask_b32_e64 v17, 0, v91, s1
	v_cndmask_b32_e64 v18, 0, v98, s2
	v_cmp_nlt_f64_e64 s1, 0x40900000, v[55:56]
	v_cmp_ngt_f64_e64 s2, 0xc090cc00, v[55:56]
	global_store_b64 v[25:26], v[17:18], off
	v_fma_f64 v[49:50], v[77:78], v[49:50], s[36:37]
	v_fma_f64 v[92:93], v[79:80], v[53:54], s[36:37]
	v_fma_f64 v[94:95], v[75:76], v[81:82], s[36:37]
	v_rndne_f64_e32 v[53:54], v[51:52]
	v_add_co_u32 v81, s3, s10, v11
	s_delay_alu instid0(VALU_DEP_1) | instskip(SKIP_1) | instid1(VALU_DEP_1)
	v_add_co_ci_u32_e64 v82, s3, s11, v12, s3
	v_add_co_u32 v45, s3, s10, v7
	v_add_co_ci_u32_e64 v46, s3, s11, v8, s3
	v_cmp_nlt_f64_e64 s3, 0x40900000, v[15:16]
	v_fma_f64 v[7:8], v[3:4], s[64:65], s[4:5]
	v_cmp_ngt_f64_e64 s4, 0xc090cc00, v[15:16]
	v_cndmask_b32_e32 v0, 0x7ff00000, v88, vcc_lo
	v_lshlrev_b64 v[11:12], 3, v[1:2]
	v_add_nc_u32_e32 v1, s33, v1
	s_and_b32 vcc_lo, s0, vcc_lo
	s_mov_b32 s64, 0x4ffbc0d6
	v_cndmask_b32_e32 v55, 0, v87, vcc_lo
	v_cndmask_b32_e64 v56, 0, v0, s0
	v_lshlrev_b64 v[17:18], 3, v[1:2]
	v_ldexp_f64 v[31:32], v[83:84], v70
	v_rndne_f64_e32 v[83:84], v[89:90]
	v_fma_f64 v[9:10], v[73:74], v[9:10], s[34:35]
	v_mul_f64 v[69:70], v[39:40], s[12:13]
	v_add_co_u32 v51, s5, s10, v11
	v_cmp_ngt_f64_e64 s0, 0xc090cc00, v[67:68]
	v_add_co_ci_u32_e64 v52, s5, s11, v12, s5
	v_dual_mov_b32 v11, s46 :: v_dual_mov_b32 v12, s47
	s_mov_b32 s65, 0x403193a3
	global_store_b64 v[29:30], v[55:56], off
	v_fma_f64 v[15:16], v[77:78], v[49:50], s[30:31]
	v_fma_f64 v[88:89], v[79:80], v[92:93], s[30:31]
	v_add_co_u32 v49, vcc_lo, s10, v17
	v_fma_f64 v[90:91], v[75:76], v[94:95], s[30:31]
	v_fma_f64 v[25:26], v[53:54], s[8:9], v[13:14]
	v_add_co_ci_u32_e32 v50, vcc_lo, s11, v18, vcc_lo
	v_cmp_nlt_f64_e32 vcc_lo, 0x40900000, v[67:68]
	global_store_b64 v[27:28], v[11:12], off
	v_fma_f64 v[27:28], v[5:6], s[56:57], s[50:51]
	v_add_nc_u32_e32 v1, s33, v1
	v_cndmask_b32_e64 v97, 0x7ff00000, v97, s1
	s_and_b32 s1, s2, s1
	v_cndmask_b32_e64 v99, 0x7ff00000, v86, s3
	v_mul_f64 v[86:87], v[7:8], s[12:13]
	s_and_b32 s3, s4, s3
	v_lshlrev_b64 v[29:30], 3, v[1:2]
	v_add_nc_u32_e32 v1, s33, v1
	v_cndmask_b32_e64 v17, 0, v99, s4
	s_mov_b32 s57, 0x3ffca3d7
	s_mov_b32 s56, 0xa3d70a4
	;; [unrolled: 1-line block ×6, first 2 shown]
	v_fma_f64 v[92:93], v[83:84], s[8:9], v[23:24]
	v_fma_f64 v[9:10], v[73:74], v[9:10], s[36:37]
	v_rndne_f64_e32 v[55:56], v[69:70]
	v_fma_f64 v[94:95], v[77:78], v[15:16], s[28:29]
	v_cndmask_b32_e64 v16, 0, v85, s3
	v_fma_f64 v[69:70], v[79:80], v[88:89], s[28:29]
	v_fma_f64 v[88:89], v[75:76], v[90:91], s[28:29]
	;; [unrolled: 1-line block ×3, first 2 shown]
	global_store_b64 v[37:38], v[16:17], off
	v_fma_f64 v[15:16], 0x3ff80000, v[5:6], s[64:65]
	v_add_co_u32 v17, s3, s10, v29
	v_lshlrev_b64 v[37:38], 3, v[1:2]
	v_add_nc_u32_e32 v1, s33, v1
	v_add_co_ci_u32_e64 v18, s3, s11, v30, s3
	v_cndmask_b32_e64 v30, 0, v97, s2
	v_cndmask_b32_e64 v29, 0, v96, s1
	v_cndmask_b32_e32 v0, 0x7ff00000, v32, vcc_lo
	v_lshlrev_b64 v[25:26], 3, v[1:2]
	s_and_b32 vcc_lo, s0, vcc_lo
	s_mov_b32 s2, 0x7e90ff97
	global_store_b64 v[33:34], v[29:30], off
	v_add_co_u32 v29, s1, s10, v37
	s_delay_alu instid0(VALU_DEP_1)
	v_add_co_ci_u32_e64 v30, s1, s11, v38, s1
	v_cndmask_b32_e64 v38, 0, v0, s0
	v_cndmask_b32_e32 v37, 0, v31, vcc_lo
	s_mov_b32 s3, 0xc0e38f01
	v_add_co_u32 v31, vcc_lo, s10, v25
	v_rndne_f64_e32 v[67:68], v[86:87]
	v_fma_f64 v[85:86], v[83:84], s[6:7], v[92:93]
	v_fma_f64 v[92:93], v[73:74], v[9:10], s[30:31]
	v_add_co_ci_u32_e32 v32, vcc_lo, s11, v26, vcc_lo
	v_fma_f64 v[25:26], v[55:56], s[8:9], v[39:40]
	global_store_b64 v[43:44], v[37:38], off
	v_add_nc_u32_e32 v1, s33, v1
	v_fma_f64 v[94:95], v[77:78], v[94:95], 1.0
	v_cvt_i32_f64_e32 v0, v[65:66]
	v_fma_f64 v[96:97], v[79:80], v[69:70], 1.0
	v_fma_f64 v[69:70], v[3:4], s[48:49], v[27:28]
	v_fma_f64 v[27:28], v[75:76], v[88:89], 1.0
	v_lshlrev_b64 v[33:34], 3, v[1:2]
	v_cvt_i32_f64_e32 v89, v[71:72]
	v_fma_f64 v[43:44], v[3:4], s[2:3], v[15:16]
	v_add_nc_u32_e32 v1, s33, v1
	v_cmp_ngt_f64_e64 s0, 0xc090cc00, v[59:60]
	v_cmp_nlt_f64_e64 s1, 0x40900000, v[57:58]
	v_add_co_u32 v15, vcc_lo, s10, v33
	v_add_co_ci_u32_e32 v16, vcc_lo, s11, v34, vcc_lo
	v_fma_f64 v[33:34], v[90:91], s[16:17], s[14:15]
	v_lshlrev_b64 v[9:10], 3, v[1:2]
	v_cmp_ngt_f64_e64 s2, 0xc090cc00, v[57:58]
	v_add_nc_u32_e32 v1, s33, v1
	s_mov_b32 s48, 0x9a1fd157
	s_mov_b32 s49, 0xc0879699
	;; [unrolled: 1-line block ×3, first 2 shown]
	v_add_co_u32 v9, vcc_lo, s10, v9
	v_add_co_ci_u32_e32 v10, vcc_lo, s11, v10, vcc_lo
	v_cmp_nlt_f64_e32 vcc_lo, 0x40900000, v[59:60]
	s_mov_b32 s65, 0x42bb48eb
	v_fma_f64 v[37:38], v[85:86], s[16:17], s[14:15]
	v_fma_f64 v[65:66], v[73:74], v[92:93], s[28:29]
	;; [unrolled: 1-line block ×3, first 2 shown]
	v_fma_f64 v[71:72], v[77:78], v[94:95], 1.0
	v_fma_f64 v[77:78], v[67:68], s[8:9], v[7:8]
	v_fma_f64 v[79:80], v[79:80], v[96:97], 1.0
	v_mul_f64 v[87:88], v[69:70], s[12:13]
	v_fma_f64 v[25:26], v[75:76], v[27:28], 1.0
	v_mul_f64 v[27:28], v[43:44], s[12:13]
	v_fma_f64 v[33:34], v[90:91], v[33:34], s[22:23]
	v_fma_f64 v[37:38], v[85:86], v[37:38], s[22:23]
	v_fma_f64 v[75:76], v[73:74], v[65:66], 1.0
	v_fma_f64 v[94:95], v[67:68], s[6:7], v[77:78]
	v_ldexp_f64 v[77:78], v[71:72], v89
	v_rndne_f64_e32 v[65:66], v[87:88]
	v_fma_f64 v[87:88], v[92:93], s[16:17], s[14:15]
	v_ldexp_f64 v[79:80], v[79:80], v0
	v_cvt_i32_f64_e32 v0, v[61:62]
	v_rndne_f64_e32 v[71:72], v[27:28]
	v_fma_f64 v[27:28], v[90:91], v[33:34], s[20:21]
	v_fma_f64 v[33:34], v[85:86], v[37:38], s[20:21]
	v_fma_f64 v[37:38], v[73:74], v[75:76], 1.0
	v_fma_f64 v[73:74], v[94:95], s[16:17], s[14:15]
	v_cndmask_b32_e32 v89, 0x7ff00000, v78, vcc_lo
	v_fma_f64 v[59:60], v[65:66], s[8:9], v[69:70]
	v_fma_f64 v[61:62], v[92:93], v[87:88], s[22:23]
	v_cvt_i32_f64_e32 v78, v[63:64]
	v_cndmask_b32_e64 v75, 0x7ff00000, v80, s1
	v_fma_f64 v[57:58], v[71:72], s[8:9], v[43:44]
	s_and_b32 s1, s2, s1
	s_and_b32 vcc_lo, s0, vcc_lo
	v_fma_f64 v[27:28], v[90:91], v[27:28], s[18:19]
	v_fma_f64 v[33:34], v[85:86], v[33:34], s[18:19]
	;; [unrolled: 1-line block ×3, first 2 shown]
	v_ldexp_f64 v[73:74], v[25:26], v0
	v_fma_f64 v[59:60], v[65:66], s[6:7], v[59:60]
	v_fma_f64 v[61:62], v[92:93], v[61:62], s[20:21]
	v_cndmask_b32_e64 v26, 0, v75, s2
	v_cndmask_b32_e64 v25, 0, v79, s1
	v_fma_f64 v[57:58], v[71:72], s[6:7], v[57:58]
	v_ldexp_f64 v[78:79], v[37:38], v78
	v_cndmask_b32_e64 v38, 0, v89, s0
	v_cndmask_b32_e32 v37, 0, v77, vcc_lo
	s_mov_b32 s0, 0xb50d9366
	s_mov_b32 s1, 0x403285b7
	v_cmp_nlt_f64_e32 vcc_lo, 0x40900000, v[47:48]
	s_mov_b32 s2, 0xa9c70e47
	v_fma_f64 v[27:28], v[90:91], v[27:28], s[26:27]
	global_store_b64 v[19:20], v[37:38], off
	v_fma_f64 v[19:20], v[5:6], s[56:57], s[0:1]
	v_cmp_ngt_f64_e64 s0, 0xc090cc00, v[47:48]
	global_store_b64 v[35:36], v[25:26], off
	s_mov_b32 s3, 0x403d5f8c
	s_mov_b32 s57, 0xbfe0a3d7
	v_fma_f64 v[37:38], v[3:4], s[4:5], s[2:3]
	s_mov_b32 s4, 0x84a0e411
	s_mov_b32 s5, 0xc08a42f9
	v_cmp_ngt_f64_e64 s2, 0xc090cc00, v[41:42]
	v_fma_f64 v[33:34], v[85:86], v[33:34], s[26:27]
	v_fma_f64 v[63:64], v[94:95], v[63:64], s[20:21]
	;; [unrolled: 1-line block ×5, first 2 shown]
	v_cndmask_b32_e32 v0, 0x7ff00000, v79, vcc_lo
	v_fma_f64 v[27:28], v[90:91], v[27:28], s[34:35]
	s_and_b32 vcc_lo, s0, vcc_lo
	v_fma_f64 v[96:97], v[85:86], v[33:34], s[34:35]
	v_fma_f64 v[63:64], v[94:95], v[63:64], s[18:19]
	;; [unrolled: 1-line block ×6, first 2 shown]
	v_lshlrev_b64 v[27:28], 3, v[1:2]
	v_add_nc_u32_e32 v1, s33, v1
	s_delay_alu instid0(VALU_DEP_1) | instskip(NEXT) | instid1(VALU_DEP_3)
	v_lshlrev_b64 v[25:26], 3, v[1:2]
	v_add_co_u32 v33, s1, s10, v27
	s_delay_alu instid0(VALU_DEP_1) | instskip(SKIP_1) | instid1(VALU_DEP_4)
	v_add_co_ci_u32_e64 v34, s1, s11, v28, s1
	v_add_nc_u32_e32 v1, s33, v1
	v_add_co_u32 v27, s1, s10, v25
	s_delay_alu instid0(VALU_DEP_1)
	v_add_co_ci_u32_e64 v28, s1, s11, v26, s1
	v_fma_f64 v[35:36], v[85:86], v[96:97], s[36:37]
	v_cmp_nlt_f64_e64 s1, 0x40900000, v[41:42]
	v_fma_f64 v[41:42], v[3:4], s[4:5], v[19:20]
	v_cndmask_b32_e64 v20, 0, v0, s0
	v_cndmask_b32_e32 v19, 0, v78, vcc_lo
	v_lshlrev_b64 v[25:26], 3, v[1:2]
	v_add_nc_u32_e32 v1, s33, v1
	v_fma_f64 v[47:48], v[94:95], v[63:64], s[26:27]
	v_cvt_i32_f64_e32 v0, v[83:84]
	v_fma_f64 v[63:64], v[59:60], v[75:76], s[20:21]
	global_store_b64 v[21:22], v[19:20], off
	v_lshlrev_b64 v[19:20], 3, v[1:2]
	v_add_co_u32 v25, vcc_lo, s10, v25
	v_fma_f64 v[75:76], v[57:58], v[87:88], s[20:21]
	v_add_co_ci_u32_e32 v26, vcc_lo, s11, v26, vcc_lo
	s_delay_alu instid0(VALU_DEP_4)
	v_add_co_u32 v21, vcc_lo, s10, v19
	v_fma_f64 v[61:62], v[92:93], v[61:62], s[34:35]
	v_add_co_ci_u32_e32 v22, vcc_lo, s11, v20, vcc_lo
	v_fma_f64 v[79:80], v[90:91], v[98:99], s[30:31]
	s_mov_b32 s4, 0x6045baf5
	s_mov_b32 s5, 0xc069292c
	v_add_nc_u32_e32 v1, s33, v1
	v_fma_f64 v[35:36], v[85:86], v[35:36], s[30:31]
	v_cndmask_b32_e64 v87, 0x7ff00000, v74, s1
	s_and_b32 vcc_lo, s2, s1
	s_mov_b32 s0, 0xf1843c3a
	v_cndmask_b32_e32 v78, 0, v73, vcc_lo
	s_mov_b32 s1, 0x403cdad3
	v_cmp_nlt_f64_e32 vcc_lo, 0x40900000, v[23:24]
	v_fma_f64 v[19:20], v[94:95], v[47:48], s[34:35]
	v_fma_f64 v[47:48], v[59:60], v[63:64], s[18:19]
	v_mul_f64 v[63:64], v[37:38], s[12:13]
	v_fma_f64 v[74:75], v[57:58], v[75:76], s[18:19]
	v_fma_f64 v[61:62], v[92:93], v[61:62], s[36:37]
	;; [unrolled: 1-line block ×3, first 2 shown]
	v_cndmask_b32_e64 v79, 0, v87, s2
	v_mul_f64 v[87:88], v[41:42], s[12:13]
	s_mov_b32 s2, 0x137b0707
	s_mov_b32 s3, 0xc075b383
	global_store_b64 v[81:82], v[78:79], off
	v_fma_f64 v[35:36], v[85:86], v[35:36], s[28:29]
	v_fma_f64 v[96:97], v[94:95], v[19:20], s[36:37]
	v_fma_f64 v[47:48], v[59:60], v[47:48], s[26:27]
	v_rndne_f64_e32 v[19:20], v[63:64]
	v_fma_f64 v[63:64], v[57:58], v[74:75], s[26:27]
	v_fma_f64 v[61:62], v[92:93], v[61:62], s[30:31]
	v_fma_f64 v[73:74], v[90:91], v[76:77], 1.0
	v_rndne_f64_e32 v[75:76], v[87:88]
	v_fma_f64 v[87:88], v[85:86], v[35:36], 1.0
	v_fma_f64 v[35:36], v[3:4], s[2:3], s[0:1]
	s_mov_b32 s2, 0x53678621
	s_mov_b32 s3, 0x403da8bf
	v_cmp_ngt_f64_e64 s0, 0xc090cc00, v[23:24]
	v_cmp_nlt_f64_e64 s1, 0x40900000, v[13:14]
	v_fma_f64 v[77:78], v[94:95], v[96:97], s[30:31]
	v_fma_f64 v[47:48], v[59:60], v[47:48], s[34:35]
	;; [unrolled: 1-line block ×5, first 2 shown]
	v_fma_f64 v[73:74], v[90:91], v[73:74], 1.0
	v_fma_f64 v[89:90], v[75:76], s[8:9], v[41:42]
	v_fma_f64 v[85:86], v[85:86], v[87:88], 1.0
	v_mul_f64 v[87:88], v[35:36], s[12:13]
	v_fma_f64 v[96:97], v[94:95], v[77:78], s[28:29]
	v_fma_f64 v[47:48], v[59:60], v[47:48], s[36:37]
	;; [unrolled: 1-line block ×4, first 2 shown]
	v_fma_f64 v[61:62], v[92:93], v[61:62], 1.0
	v_fma_f64 v[77:78], v[75:76], s[6:7], v[89:90]
	v_ldexp_f64 v[85:86], v[85:86], v0
	v_rndne_f64_e32 v[63:64], v[87:88]
	v_cvt_i32_f64_e32 v0, v[53:54]
	v_fma_f64 v[83:84], v[94:95], v[96:97], 1.0
	v_fma_f64 v[47:48], v[59:60], v[47:48], s[30:31]
	v_fma_f64 v[87:88], v[81:82], s[16:17], s[14:15]
	v_fma_f64 v[79:80], v[57:58], v[79:80], s[30:31]
	v_fma_f64 v[61:62], v[92:93], v[61:62], 1.0
	v_fma_f64 v[89:90], v[77:78], s[16:17], s[14:15]
	v_cndmask_b32_e32 v86, 0x7ff00000, v86, vcc_lo
	s_and_b32 vcc_lo, s0, vcc_lo
	v_cndmask_b32_e32 v85, 0, v85, vcc_lo
	s_delay_alu instid0(VALU_DEP_2)
	v_cndmask_b32_e64 v86, 0, v86, s0
	v_cmp_ngt_f64_e64 s0, 0xc090cc00, v[39:40]
	v_fma_f64 v[83:84], v[94:95], v[83:84], 1.0
	v_fma_f64 v[93:94], v[63:64], s[8:9], v[35:36]
	v_fma_f64 v[91:92], v[59:60], v[47:48], s[28:29]
	;; [unrolled: 1-line block ×4, first 2 shown]
	s_mov_b32 s2, 0x572ebafe
	s_mov_b32 s3, 0x403bb79a
	v_fma_f64 v[79:80], v[57:58], v[79:80], s[28:29]
	s_mov_b32 s4, 0x9778572a
	s_mov_b32 s5, 0x4043e28b
	v_fma_f64 v[89:90], v[77:78], v[89:90], s[22:23]
	v_fma_f64 v[87:88], v[63:64], s[6:7], v[93:94]
	v_fma_f64 v[23:24], v[59:60], v[91:92], 1.0
	v_fma_f64 v[53:54], v[81:82], v[95:96], s[20:21]
	v_ldexp_f64 v[91:92], v[73:74], v0
	v_cvt_i32_f64_e32 v0, v[65:66]
	v_mul_f64 v[65:66], v[47:48], s[12:13]
	v_fma_f64 v[79:80], v[57:58], v[79:80], 1.0
	v_cvt_i32_f64_e32 v93, v[55:56]
	v_cvt_i32_f64_e32 v94, v[71:72]
	v_fma_f64 v[89:90], v[77:78], v[89:90], s[20:21]
	v_fma_f64 v[23:24], v[59:60], v[23:24], 1.0
	v_fma_f64 v[59:60], v[87:88], s[16:17], s[14:15]
	v_fma_f64 v[53:54], v[81:82], v[53:54], s[18:19]
	v_cndmask_b32_e64 v92, 0x7ff00000, v92, s1
	v_rndne_f64_e32 v[65:66], v[65:66]
	v_fma_f64 v[79:80], v[57:58], v[79:80], 1.0
	v_fma_f64 v[57:58], v[5:6], s[42:43], s[2:3]
	s_mov_b32 s2, 0x3f85510d
	s_mov_b32 s3, 0x40605ac3
	;; [unrolled: 1-line block ×3, first 2 shown]
	v_fma_f64 v[73:74], v[77:78], v[89:90], s[18:19]
	v_ldexp_f64 v[23:24], v[23:24], v0
	v_fma_f64 v[59:60], v[87:88], v[59:60], s[22:23]
	v_fma_f64 v[53:54], v[81:82], v[53:54], s[26:27]
	v_cvt_i32_f64_e32 v0, v[67:68]
	v_fma_f64 v[57:58], v[3:4], s[2:3], v[57:58]
	v_cmp_ngt_f64_e64 s2, 0xc090cc00, v[13:14]
	v_fma_f64 v[13:14], v[65:66], s[8:9], v[47:48]
	v_fma_f64 v[73:74], v[77:78], v[73:74], s[26:27]
	;; [unrolled: 1-line block ×4, first 2 shown]
	v_mul_f64 v[59:60], v[57:58], s[12:13]
	s_and_b32 s1, s2, s1
	s_delay_alu instid0(VALU_DEP_4)
	v_fma_f64 v[89:90], v[77:78], v[73:74], s[34:35]
	v_fma_f64 v[73:74], v[65:66], s[6:7], v[13:14]
	;; [unrolled: 1-line block ×3, first 2 shown]
	v_cndmask_b32_e64 v55, 0, v91, s1
	v_cmp_nlt_f64_e64 s1, 0x40900000, v[69:70]
	v_cndmask_b32_e64 v56, 0, v92, s2
	v_cmp_ngt_f64_e64 s2, 0xc090cc00, v[69:70]
	v_rndne_f64_e32 v[71:72], v[59:60]
	v_fma_f64 v[53:54], v[81:82], v[53:54], s[36:37]
	v_lshlrev_b64 v[59:60], 3, v[1:2]
	global_store_b64 v[45:46], v[55:56], off
	v_add_nc_u32_e32 v1, s33, v1
	global_store_b64 v[51:52], v[85:86], off
	v_ldexp_f64 v[69:70], v[61:62], v93
	v_ldexp_f64 v[91:92], v[79:80], v94
	v_add_co_u32 v67, s3, s10, v59
	v_fma_f64 v[55:56], v[77:78], v[89:90], s[36:37]
	v_lshlrev_b64 v[45:46], 3, v[1:2]
	v_add_nc_u32_e32 v1, s33, v1
	v_fma_f64 v[51:52], v[73:74], s[16:17], s[14:15]
	v_add_co_ci_u32_e64 v68, s3, s11, v60, s3
	v_ldexp_f64 v[93:94], v[83:84], v0
	v_add_co_u32 v59, s3, s10, v45
	s_delay_alu instid0(VALU_DEP_1)
	v_add_co_ci_u32_e64 v60, s3, s11, v46, s3
	v_lshlrev_b64 v[45:46], 3, v[1:2]
	v_add_nc_u32_e32 v1, s33, v1
	v_mul_f64 v[83:84], v[3:4], s[48:49]
	s_mov_b32 s48, 0x780346dc
	s_mov_b32 s49, 0xc0c0b557
	s_delay_alu instid0(VALU_DEP_2) | instskip(SKIP_4) | instid1(VALU_DEP_4)
	v_lshlrev_b64 v[89:90], 3, v[1:2]
	v_add_nc_u32_e32 v1, s33, v1
	v_add_co_u32 v61, vcc_lo, s10, v45
	v_add_co_ci_u32_e32 v62, vcc_lo, s11, v46, vcc_lo
	v_fma_f64 v[13:14], v[87:88], v[13:14], s[26:27]
	v_lshlrev_b64 v[45:46], 3, v[1:2]
	v_add_nc_u32_e32 v1, s33, v1
	v_cndmask_b32_e64 v24, 0x7ff00000, v24, s1
	s_and_b32 vcc_lo, s2, s1
	v_fma_f64 v[95:96], v[71:72], s[8:9], v[57:58]
	v_fma_f64 v[85:86], v[81:82], v[53:54], s[30:31]
	v_cndmask_b32_e32 v23, 0, v23, vcc_lo
	v_add_co_u32 v53, vcc_lo, s10, v89
	v_lshlrev_b64 v[79:80], 3, v[1:2]
	v_cndmask_b32_e64 v24, 0, v24, s2
	v_add_co_ci_u32_e32 v54, vcc_lo, s11, v90, vcc_lo
	v_add_nc_u32_e32 v1, s33, v1
	v_fma_f64 v[89:90], v[77:78], v[55:56], s[30:31]
	v_add_co_u32 v55, vcc_lo, s10, v45
	v_add_co_ci_u32_e32 v56, vcc_lo, s11, v46, vcc_lo
	global_store_b64 v[49:50], v[23:24], off
	v_add_f64 v[23:24], -v[5:6], s[4:5]
	v_add_co_u32 v49, vcc_lo, s10, v79
	v_add_co_ci_u32_e32 v50, vcc_lo, s11, v80, vcc_lo
	v_cmp_nlt_f64_e32 vcc_lo, 0x40900000, v[39:40]
	v_cmp_nlt_f64_e64 s1, 0x40900000, v[43:44]
	v_lshlrev_b64 v[39:40], 3, v[1:2]
	v_cmp_ngt_f64_e64 s2, 0xc090cc00, v[43:44]
	v_cmp_ngt_f64_e64 s4, 0xc090cc00, v[7:8]
	v_add_nc_u32_e32 v1, s33, v1
	s_mov_b32 s5, 0xbfe99999
	s_delay_alu instid0(VALU_DEP_4) | instskip(NEXT) | instid1(VALU_DEP_1)
	v_add_co_u32 v79, s3, s10, v39
	v_add_co_ci_u32_e64 v80, s3, s11, v40, s3
	v_fma_f64 v[13:14], v[87:88], v[13:14], s[34:35]
	v_cmp_nlt_f64_e64 s3, 0x40900000, v[7:8]
	v_fma_f64 v[7:8], v[73:74], v[51:52], s[22:23]
	v_fma_f64 v[51:52], v[71:72], s[6:7], v[95:96]
	v_fma_f64 v[39:40], v[81:82], v[85:86], s[28:29]
	v_cvt_i32_f64_e32 v95, v[75:76]
	v_cvt_i32_f64_e32 v71, v[71:72]
	v_fma_f64 v[85:86], v[3:4], s[48:49], v[23:24]
	v_fma_f64 v[23:24], v[77:78], v[89:90], s[28:29]
	s_mov_b32 s48, 0x49ba5e35
	s_mov_b32 s49, 0xc09bd58c
	v_cndmask_b32_e32 v0, 0x7ff00000, v70, vcc_lo
	v_cndmask_b32_e64 v45, 0x7ff00000, v92, s1
	s_and_b32 vcc_lo, s0, vcc_lo
	v_cndmask_b32_e32 v43, 0, v69, vcc_lo
	s_and_b32 vcc_lo, s2, s1
	v_cndmask_b32_e64 v44, 0, v0, s0
	v_cndmask_b32_e64 v46, 0, v45, s2
	v_cndmask_b32_e32 v45, 0, v91, vcc_lo
	v_lshlrev_b64 v[69:70], 3, v[1:2]
	v_add_nc_u32_e32 v1, s33, v1
	v_cvt_i32_f64_e32 v0, v[19:20]
	v_fma_f64 v[13:14], v[87:88], v[13:14], s[36:37]
	global_store_b64 v[17:18], v[45:46], off
	v_mul_f64 v[45:46], v[83:84], s[12:13]
	v_fma_f64 v[7:8], v[73:74], v[7:8], s[20:21]
	global_store_b64 v[29:30], v[43:44], off
	v_fma_f64 v[43:44], v[51:52], s[16:17], s[14:15]
	v_lshlrev_b64 v[17:18], 3, v[1:2]
	v_add_co_u32 v69, vcc_lo, s10, v69
	v_add_co_ci_u32_e32 v70, vcc_lo, s11, v70, vcc_lo
	v_cndmask_b32_e64 v94, 0x7ff00000, v94, s3
	v_fma_f64 v[39:40], v[81:82], v[39:40], 1.0
	v_add_co_u32 v17, vcc_lo, s10, v17
	v_add_co_ci_u32_e32 v18, vcc_lo, s11, v18, vcc_lo
	s_and_b32 vcc_lo, s4, s3
	v_add_nc_u32_e32 v1, s33, v1
	v_cmp_ngt_f64_e64 s0, 0xc090cc00, v[37:38]
	v_cmp_nlt_f64_e64 s1, 0x40900000, v[41:42]
	v_mul_f64 v[89:90], v[85:86], s[12:13]
	v_fma_f64 v[91:92], v[77:78], v[23:24], 1.0
	v_cndmask_b32_e64 v24, 0, v94, s4
	v_cndmask_b32_e32 v23, 0, v93, vcc_lo
	v_lshlrev_b64 v[29:30], 3, v[1:2]
	v_add_nc_u32_e32 v1, s33, v1
	v_cmp_ngt_f64_e64 s2, 0xc090cc00, v[41:42]
	s_mov_b32 s4, s62
	global_store_b64 v[31:32], v[23:24], off
	v_lshlrev_b64 v[23:24], 3, v[1:2]
	v_add_nc_u32_e32 v1, s33, v1
	v_add_co_u32 v29, vcc_lo, s10, v29
	v_add_co_ci_u32_e32 v30, vcc_lo, s11, v30, vcc_lo
	s_delay_alu instid0(VALU_DEP_4)
	v_add_co_u32 v23, vcc_lo, s10, v23
	v_fma_f64 v[13:14], v[87:88], v[13:14], s[30:31]
	v_rndne_f64_e32 v[93:94], v[45:46]
	v_fma_f64 v[45:46], v[73:74], v[7:8], s[18:19]
	v_lshlrev_b64 v[7:8], 3, v[1:2]
	v_fma_f64 v[43:44], v[51:52], v[43:44], s[22:23]
	v_add_nc_u32_e32 v1, s33, v1
	v_add_co_ci_u32_e32 v24, vcc_lo, s11, v24, vcc_lo
	s_delay_alu instid0(VALU_DEP_4)
	v_add_co_u32 v31, vcc_lo, s10, v7
	v_fma_f64 v[39:40], v[81:82], v[39:40], 1.0
	v_mov_b32_e32 v81, 0x60480000
	v_mov_b32_e32 v82, 0x42c9ebac
	v_lshlrev_b64 v[19:20], 3, v[1:2]
	v_add_nc_u32_e32 v1, s33, v1
	v_add_co_ci_u32_e32 v32, vcc_lo, s11, v8, vcc_lo
	global_store_b64 v[15:16], v[81:82], off
	v_rndne_f64_e32 v[75:76], v[89:90]
	v_add_co_u32 v7, vcc_lo, s10, v19
	v_add_co_ci_u32_e32 v8, vcc_lo, s11, v20, vcc_lo
	v_lshlrev_b64 v[19:20], 3, v[1:2]
	v_add_nc_u32_e32 v1, s33, v1
	v_fma_f64 v[77:78], v[77:78], v[91:92], 1.0
	s_delay_alu instid0(VALU_DEP_2) | instskip(NEXT) | instid1(VALU_DEP_4)
	v_lshlrev_b64 v[15:16], 3, v[1:2]
	v_add_co_u32 v19, vcc_lo, s10, v19
	v_add_co_ci_u32_e32 v20, vcc_lo, s11, v20, vcc_lo
	v_add_nc_u32_e32 v1, s33, v1
	s_delay_alu instid0(VALU_DEP_4)
	v_add_co_u32 v15, vcc_lo, s10, v15
	v_fma_f64 v[13:14], v[87:88], v[13:14], s[28:29]
	v_fma_f64 v[81:82], v[93:94], s[8:9], v[83:84]
	;; [unrolled: 1-line block ×4, first 2 shown]
	v_add_co_ci_u32_e32 v16, vcc_lo, s11, v16, vcc_lo
	v_cmp_nlt_f64_e32 vcc_lo, 0x40900000, v[37:38]
	v_cvt_i32_f64_e32 v97, v[93:94]
	v_ldexp_f64 v[39:40], v[39:40], v0
	v_fma_f64 v[89:90], v[75:76], s[8:9], v[85:86]
	v_ldexp_f64 v[77:78], v[77:78], v95
	v_cvt_i32_f64_e32 v95, v[63:64]
	v_fma_f64 v[13:14], v[87:88], v[13:14], 1.0
	v_fma_f64 v[81:82], v[93:94], s[6:7], v[81:82]
	v_fma_f64 v[45:46], v[73:74], v[45:46], s[34:35]
	;; [unrolled: 1-line block ×3, first 2 shown]
	v_cndmask_b32_e32 v0, 0x7ff00000, v40, vcc_lo
	s_and_b32 vcc_lo, s0, vcc_lo
	v_fma_f64 v[89:90], v[75:76], s[6:7], v[89:90]
	v_cndmask_b32_e64 v78, 0x7ff00000, v78, s1
	s_and_b32 s1, s2, s1
	s_delay_alu instid0(SALU_CYCLE_1) | instskip(NEXT) | instid1(VALU_DEP_2)
	v_cndmask_b32_e64 v63, 0, v77, s1
	v_cndmask_b32_e64 v64, 0, v78, s2
	s_mov_b32 s2, 0xbf4e5f09
	s_mov_b32 s3, 0x4042e0fa
	v_fma_f64 v[87:88], v[87:88], v[13:14], 1.0
	v_fma_f64 v[13:14], v[81:82], s[16:17], s[14:15]
	v_fma_f64 v[37:38], v[73:74], v[45:46], s[36:37]
	;; [unrolled: 1-line block ×4, first 2 shown]
	v_ldexp_f64 v[87:88], v[87:88], v95
	v_fma_f64 v[45:46], v[81:82], v[13:14], s[22:23]
	v_fma_f64 v[37:38], v[73:74], v[37:38], s[30:31]
	v_fma_f64 v[42:43], v[51:52], v[43:44], s[34:35]
	v_dual_mov_b32 v13, s64 :: v_dual_mov_b32 v14, s65
	v_cndmask_b32_e64 v44, 0, v0, s0
	v_cmp_ngt_f64_e64 s0, 0xc090cc00, v[35:36]
	s_mov_b32 s65, 0x42ab48eb
	global_store_b64 v[9:10], v[13:14], off
	v_lshlrev_b64 v[9:10], 3, v[1:2]
	v_add_nc_u32_e32 v1, s33, v1
	global_store_b64 v[33:34], v[63:64], off
	v_lshlrev_b64 v[63:64], 3, v[1:2]
	v_add_nc_u32_e32 v1, s33, v1
	v_fma_f64 v[40:41], v[89:90], v[40:41], s[22:23]
	v_add_co_u32 v33, s1, s10, v9
	s_delay_alu instid0(VALU_DEP_1) | instskip(NEXT) | instid1(VALU_DEP_4)
	v_add_co_ci_u32_e64 v34, s1, s11, v10, s1
	v_lshlrev_b64 v[9:10], 3, v[1:2]
	v_add_nc_u32_e32 v1, s33, v1
	v_fma_f64 v[77:78], v[81:82], v[45:46], s[20:21]
	v_fma_f64 v[91:92], v[73:74], v[37:38], s[28:29]
	;; [unrolled: 1-line block ×3, first 2 shown]
	v_cndmask_b32_e32 v43, 0, v39, vcc_lo
	v_add_co_u32 v37, vcc_lo, s10, v63
	v_add_co_ci_u32_e32 v38, vcc_lo, s11, v64, vcc_lo
	global_store_b64 v[27:28], v[43:44], off
	v_lshlrev_b64 v[27:28], 3, v[1:2]
	v_add_nc_u32_e32 v1, s33, v1
	v_add_co_u32 v39, vcc_lo, s10, v9
	v_mov_b32_e32 v45, 0x47100000
	v_mov_b32_e32 v46, 0x42be0369
	v_fma_f64 v[63:64], v[89:90], v[40:41], s[20:21]
	v_add_co_ci_u32_e32 v40, vcc_lo, s11, v10, vcc_lo
	v_lshlrev_b64 v[9:10], 3, v[1:2]
	v_add_nc_u32_e32 v1, s33, v1
	v_add_co_u32 v41, vcc_lo, s10, v27
	global_store_b64 v[25:26], v[45:46], off
	v_add_co_ci_u32_e32 v42, vcc_lo, s11, v28, vcc_lo
	v_lshlrev_b64 v[25:26], 3, v[1:2]
	v_add_co_u32 v45, vcc_lo, s10, v9
	v_add_co_ci_u32_e32 v46, vcc_lo, s11, v10, vcc_lo
	v_cmp_nlt_f64_e32 vcc_lo, 0x40900000, v[35:36]
	s_delay_alu instid0(VALU_DEP_4) | instskip(NEXT) | instid1(VALU_DEP_1)
	v_add_co_u32 v43, s1, s10, v25
	v_add_co_ci_u32_e64 v44, s1, s11, v26, s1
	v_fma_f64 v[9:10], v[81:82], v[77:78], s[18:19]
	v_fma_f64 v[27:28], v[73:74], v[91:92], 1.0
	v_fma_f64 v[35:36], v[51:52], v[95:96], s[30:31]
	v_fma_f64 v[25:26], v[5:6], s[4:5], s[2:3]
	s_mov_b32 s2, 0x6a627469
	s_mov_b32 s3, 0x402a3ea6
	v_add_nc_u32_e32 v1, s33, v1
	v_fma_f64 v[77:78], v[5:6], 2.0, s[2:3]
	s_mov_b32 s2, 0xabc94706
	s_mov_b32 s3, 0xc0a1bb03
	s_mov_b32 s4, 0x48ba83f5
	s_mov_b32 s5, 0xc072dee1
	v_fma_f64 v[63:64], v[89:90], v[63:64], s[18:19]
	v_cndmask_b32_e32 v0, 0x7ff00000, v88, vcc_lo
	s_and_b32 vcc_lo, s0, vcc_lo
	v_fma_f64 v[9:10], v[81:82], v[9:10], s[26:27]
	v_fma_f64 v[27:28], v[73:74], v[27:28], 1.0
	v_fma_f64 v[35:36], v[51:52], v[35:36], s[28:29]
	v_cndmask_b32_e32 v73, 0, v87, vcc_lo
	v_mul_f64 v[87:88], v[25:26], s[12:13]
	v_cndmask_b32_e64 v74, 0, v0, s0
	s_mov_b32 s0, 0x55475a32
	s_mov_b32 s1, 0xc0ac6c83
	v_cvt_i32_f64_e32 v0, v[65:66]
	v_fma_f64 v[77:78], v[3:4], s[0:1], v[77:78]
	s_mov_b32 s0, 0x2c244b39
	s_mov_b32 s1, 0x40303d85
	v_cmp_nlt_f64_e32 vcc_lo, 0x40900000, v[57:58]
	v_fma_f64 v[63:64], v[89:90], v[63:64], s[26:27]
	v_fma_f64 v[91:92], v[81:82], v[9:10], s[34:35]
	v_mov_b32_e32 v9, s70
	v_fma_f64 v[35:36], v[51:52], v[35:36], 1.0
	v_mov_b32_e32 v10, s71
	v_rndne_f64_e32 v[87:88], v[87:88]
	s_clause 0x1
	global_store_b64 v[21:22], v[9:10], off
	global_store_b64 v[67:68], v[73:74], off
	v_fma_f64 v[67:68], v[5:6], 2.0, s[0:1]
	s_mov_b32 s0, 0xc990016a
	s_mov_b32 s1, 0x403b6b98
	v_cvt_i32_f64_e32 v73, v[75:76]
	v_ldexp_f64 v[27:28], v[27:28], v0
	v_fma_f64 v[63:64], v[89:90], v[63:64], s[34:35]
	v_fma_f64 v[65:66], v[81:82], v[91:92], s[36:37]
	v_fma_f64 v[35:36], v[51:52], v[35:36], 1.0
	v_mul_f64 v[51:52], v[77:78], s[12:13]
	v_fma_f64 v[21:22], v[87:88], s[8:9], v[25:26]
	v_fma_f64 v[67:68], v[3:4], s[62:63], v[67:68]
	s_mov_b32 s63, 0x3ff99999
	v_fma_f64 v[63:64], v[89:90], v[63:64], s[36:37]
	v_fma_f64 v[65:66], v[81:82], v[65:66], s[30:31]
	v_ldexp_f64 v[35:36], v[35:36], v71
	v_rndne_f64_e32 v[91:92], v[51:52]
	v_fma_f64 v[95:96], v[87:88], s[6:7], v[21:22]
	v_fma_f64 v[71:72], v[5:6], 0.5, s[0:1]
	v_cmp_ngt_f64_e64 s0, 0xc090cc00, v[57:58]
	v_cmp_nlt_f64_e64 s1, 0x40900000, v[85:86]
	v_mul_f64 v[57:58], v[67:68], s[12:13]
	v_fma_f64 v[21:22], v[89:90], v[63:64], s[30:31]
	v_fma_f64 v[51:52], v[81:82], v[65:66], s[28:29]
	v_cndmask_b32_e32 v36, 0x7ff00000, v36, vcc_lo
	v_fma_f64 v[63:64], v[91:92], s[8:9], v[77:78]
	v_fma_f64 v[65:66], v[95:96], s[16:17], s[14:15]
	;; [unrolled: 1-line block ×3, first 2 shown]
	s_and_b32 vcc_lo, s0, vcc_lo
	v_cndmask_b32_e64 v36, 0, v36, s0
	v_cndmask_b32_e32 v35, 0, v35, vcc_lo
	s_mov_b32 s2, 0x60708320
	s_mov_b32 s3, 0x403e56cd
	v_cmp_ngt_f64_e64 s0, 0xc090cc00, v[47:48]
	global_store_b64 v[59:60], v[35:36], off
	v_fma_f64 v[21:22], v[89:90], v[21:22], s[28:29]
	v_fma_f64 v[51:52], v[81:82], v[51:52], 1.0
	v_fma_f64 v[93:94], v[91:92], s[6:7], v[63:64]
	v_fma_f64 v[63:64], v[95:96], v[65:66], s[22:23]
	s_delay_alu instid0(VALU_DEP_4) | instskip(NEXT) | instid1(VALU_DEP_4)
	v_fma_f64 v[21:22], v[89:90], v[21:22], 1.0
	v_fma_f64 v[51:52], v[81:82], v[51:52], 1.0
	v_rndne_f64_e32 v[81:82], v[57:58]
	v_fma_f64 v[65:66], v[93:94], s[16:17], s[14:15]
	v_fma_f64 v[63:64], v[95:96], v[63:64], s[20:21]
	v_fma_f64 v[21:22], v[89:90], v[21:22], 1.0
	v_ldexp_f64 v[75:76], v[51:52], v97
	v_lshlrev_b64 v[51:52], 3, v[1:2]
	v_add_nc_u32_e32 v1, s33, v1
	v_fma_f64 v[65:66], v[93:94], v[65:66], s[22:23]
	v_fma_f64 v[63:64], v[95:96], v[63:64], s[18:19]
	v_cvt_i32_f64_e32 v97, v[91:92]
	s_delay_alu instid0(VALU_DEP_4) | instskip(SKIP_3) | instid1(VALU_DEP_4)
	v_lshlrev_b64 v[35:36], 3, v[1:2]
	v_add_nc_u32_e32 v1, s33, v1
	v_add_co_u32 v57, vcc_lo, s10, v51
	v_add_co_ci_u32_e32 v58, vcc_lo, s11, v52, vcc_lo
	v_add_co_u32 v59, vcc_lo, s10, v35
	v_add_co_ci_u32_e32 v60, vcc_lo, s11, v36, vcc_lo
	v_lshlrev_b64 v[35:36], 3, v[1:2]
	v_ldexp_f64 v[73:74], v[21:22], v73
	v_mov_b32_e32 v21, 0x3b4c0000
	v_dual_mov_b32 v22, 0x42d0b071 :: v_dual_add_nc_u32 v1, s33, v1
	s_delay_alu instid0(VALU_DEP_4)
	v_add_co_u32 v51, vcc_lo, s10, v35
	global_store_b64 v[61:62], v[21:22], off
	v_mul_f64 v[61:62], v[71:72], s[12:13]
	v_add_co_ci_u32_e32 v52, vcc_lo, s11, v36, vcc_lo
	v_fma_f64 v[21:22], v[3:4], s[4:5], s[2:3]
	v_fma_f64 v[35:36], v[81:82], s[8:9], v[67:68]
	v_cmp_nlt_f64_e32 vcc_lo, 0x40900000, v[47:48]
	v_cmp_ngt_f64_e64 s2, 0xc090cc00, v[85:86]
	v_cmp_nlt_f64_e64 s3, 0x40900000, v[83:84]
	v_cmp_ngt_f64_e64 s4, 0xc090cc00, v[83:84]
	s_clause 0x2
	global_store_b64 v[53:54], v[13:14], off
	global_store_b64 v[55:56], v[13:14], off
	;; [unrolled: 1-line block ×3, first 2 shown]
	v_lshlrev_b64 v[49:50], 3, v[1:2]
	v_add_nc_u32_e32 v1, s33, v1
	v_fma_f64 v[65:66], v[93:94], v[65:66], s[20:21]
	v_fma_f64 v[63:64], v[95:96], v[63:64], s[26:27]
	v_rndne_f64_e32 v[83:84], v[61:62]
	v_fma_f64 v[35:36], v[81:82], s[6:7], v[35:36]
	v_cndmask_b32_e32 v0, 0x7ff00000, v28, vcc_lo
	v_cndmask_b32_e64 v28, 0x7ff00000, v74, s1
	s_and_b32 s1, s2, s1
	s_and_b32 vcc_lo, s0, vcc_lo
	v_cndmask_b32_e64 v61, 0, v73, s1
	v_cndmask_b32_e32 v27, 0, v27, vcc_lo
	v_cndmask_b32_e64 v62, 0, v28, s2
	v_cndmask_b32_e64 v28, 0, v0, s0
	v_cvt_i32_f64_e32 v0, v[87:88]
	v_cndmask_b32_e64 v76, 0x7ff00000, v76, s3
	v_fma_f64 v[47:48], v[93:94], v[65:66], s[18:19]
	v_fma_f64 v[63:64], v[95:96], v[63:64], s[34:35]
	v_mul_f64 v[65:66], v[21:22], s[12:13]
	s_clause 0x1
	global_store_b64 v[79:80], v[61:62], off
	global_store_b64 v[69:70], v[27:28], off
	v_lshlrev_b64 v[61:62], 3, v[1:2]
	v_add_nc_u32_e32 v1, s33, v1
	v_cndmask_b32_e64 v76, 0, v76, s4
	s_delay_alu instid0(VALU_DEP_2)
	v_lshlrev_b64 v[27:28], 3, v[1:2]
	v_add_nc_u32_e32 v1, s33, v1
	v_fma_f64 v[53:54], v[83:84], s[8:9], v[71:72]
	v_fma_f64 v[55:56], v[35:36], s[16:17], s[14:15]
	;; [unrolled: 1-line block ×4, first 2 shown]
	v_rndne_f64_e32 v[47:48], v[65:66]
	v_add_co_u32 v65, vcc_lo, s10, v61
	v_add_co_ci_u32_e32 v66, vcc_lo, s11, v62, vcc_lo
	v_fma_f64 v[89:90], v[83:84], s[6:7], v[53:54]
	v_add_co_u32 v53, s1, s10, v49
	s_delay_alu instid0(VALU_DEP_1) | instskip(SKIP_3) | instid1(SALU_CYCLE_1)
	v_add_co_ci_u32_e64 v54, s1, s11, v50, s1
	v_fma_f64 v[55:56], v[35:36], v[55:56], s[22:23]
	s_mov_b32 s0, 0x39ffd60f
	s_mov_b32 s1, 0x403b03cc
	v_fma_f64 v[69:70], v[5:6], s[68:69], s[0:1]
	s_mov_b32 s0, 0xf66a551
	s_mov_b32 s1, 0xc0947174
	v_fma_f64 v[73:74], v[93:94], v[73:74], s[34:35]
	v_fma_f64 v[85:86], v[95:96], v[63:64], s[30:31]
	v_fma_f64 v[49:50], v[47:48], s[8:9], v[21:22]
	v_add_co_u32 v63, vcc_lo, s10, v27
	v_add_co_ci_u32_e32 v64, vcc_lo, s11, v28, vcc_lo
	s_and_b32 vcc_lo, s4, s3
	s_mov_b32 s2, 0xb3b09c15
	s_mov_b32 s3, 0x4037dbd7
	v_cndmask_b32_e32 v75, 0, v75, vcc_lo
	v_cmp_nlt_f64_e32 vcc_lo, 0x40900000, v[77:78]
	s_mov_b32 s4, 0xc743f6d0
	s_mov_b32 s5, 0x403f4b69
	v_fma_f64 v[79:80], v[89:90], s[16:17], s[14:15]
	v_fma_f64 v[27:28], v[93:94], v[73:74], s[36:37]
	;; [unrolled: 1-line block ×6, first 2 shown]
	v_cmp_ngt_f64_e64 s0, 0xc090cc00, v[77:78]
	v_cmp_nlt_f64_e64 s1, 0x40900000, v[25:26]
	v_fma_f64 v[27:28], v[93:94], v[27:28], s[30:31]
	v_fma_f64 v[55:56], v[95:96], v[61:62], 1.0
	v_fma_f64 v[61:62], v[89:90], v[79:80], s[22:23]
	v_fma_f64 v[69:70], v[85:86], s[16:17], s[14:15]
	;; [unrolled: 1-line block ×3, first 2 shown]
	v_mul_f64 v[79:80], v[73:74], s[12:13]
	v_fma_f64 v[27:28], v[93:94], v[27:28], s[28:29]
	v_fma_f64 v[55:56], v[95:96], v[55:56], 1.0
	v_fma_f64 v[87:88], v[89:90], v[61:62], s[20:21]
	v_fma_f64 v[69:70], v[85:86], v[69:70], s[22:23]
	v_fma_f64 v[49:50], v[35:36], v[49:50], s[26:27]
	v_rndne_f64_e32 v[61:62], v[79:80]
	v_fma_f64 v[27:28], v[93:94], v[27:28], 1.0
	v_ldexp_f64 v[55:56], v[55:56], v0
	v_fma_f64 v[79:80], v[89:90], v[87:88], s[18:19]
	v_fma_f64 v[69:70], v[85:86], v[69:70], s[20:21]
	;; [unrolled: 1-line block ×4, first 2 shown]
	v_fma_f64 v[27:28], v[93:94], v[27:28], 1.0
	v_cndmask_b32_e64 v56, 0x7ff00000, v56, s1
	v_fma_f64 v[79:80], v[89:90], v[79:80], s[26:27]
	v_fma_f64 v[91:92], v[85:86], v[69:70], s[18:19]
	;; [unrolled: 1-line block ×4, first 2 shown]
	v_cvt_i32_f64_e32 v93, v[83:84]
	v_fma_f64 v[79:80], v[89:90], v[79:80], s[34:35]
	v_fma_f64 v[87:88], v[85:86], v[91:92], s[26:27]
	;; [unrolled: 1-line block ×3, first 2 shown]
	v_ldexp_f64 v[91:92], v[27:28], v97
	v_fma_f64 v[27:28], v[69:70], s[16:17], s[14:15]
	v_fma_f64 v[79:80], v[89:90], v[79:80], s[36:37]
	;; [unrolled: 1-line block ×4, first 2 shown]
	v_cndmask_b32_e32 v0, 0x7ff00000, v92, vcc_lo
	v_fma_f64 v[27:28], v[69:70], v[27:28], s[22:23]
	v_cvt_i32_f64_e32 v92, v[81:82]
	s_and_b32 vcc_lo, s0, vcc_lo
	v_fma_f64 v[79:80], v[89:90], v[79:80], s[30:31]
	v_fma_f64 v[87:88], v[85:86], v[87:88], s[36:37]
	v_fma_f64 v[49:50], v[35:36], v[49:50], 1.0
	v_fma_f64 v[27:28], v[69:70], v[27:28], s[20:21]
	s_delay_alu instid0(VALU_DEP_4) | instskip(NEXT) | instid1(VALU_DEP_4)
	v_fma_f64 v[79:80], v[89:90], v[79:80], s[28:29]
	v_fma_f64 v[87:88], v[85:86], v[87:88], s[30:31]
	s_delay_alu instid0(VALU_DEP_4)
	v_fma_f64 v[49:50], v[35:36], v[49:50], 1.0
	v_fma_f64 v[35:36], v[5:6], s[50:51], s[2:3]
	v_fma_f64 v[77:78], v[69:70], v[27:28], s[18:19]
	;; [unrolled: 1-line block ×3, first 2 shown]
	s_mov_b32 s4, 0x6b8f9b13
	s_mov_b32 s5, 0xc099c023
	v_cmp_ngt_f64_e64 s2, 0xc090cc00, v[25:26]
	s_mov_b32 s3, 0x42a33562
	s_mov_b32 s49, 0x3ff2e147
	;; [unrolled: 1-line block ×4, first 2 shown]
	v_fma_f64 v[79:80], v[89:90], v[79:80], 1.0
	v_fma_f64 v[87:88], v[85:86], v[87:88], s[28:29]
	v_fma_f64 v[25:26], v[3:4], s[4:5], v[35:36]
	;; [unrolled: 1-line block ×3, first 2 shown]
	v_mul_f64 v[77:78], v[27:28], s[12:13]
	s_mov_b32 s4, 0x4f029c9
	s_mov_b32 s5, 0x4035f4b1
	s_and_b32 s1, s2, s1
	v_cndmask_b32_e64 v56, 0, v56, s2
	v_cndmask_b32_e64 v55, 0, v55, s1
	s_mov_b32 s2, 0x19000000
	v_cmp_nlt_f64_e64 s1, 0x40900000, v[71:72]
	global_store_b64 v[17:18], v[55:56], off
	v_cndmask_b32_e64 v18, 0, v0, s0
	v_cndmask_b32_e32 v17, 0, v91, vcc_lo
	v_mul_f64 v[55:56], v[75:76], s[2:3]
	v_ldexp_f64 v[91:92], v[49:50], v92
	v_mul_f64 v[49:50], v[3:4], s[66:67]
	s_mov_b32 s3, 0x42833562
	global_store_b64 v[29:30], v[17:18], off
	v_fma_f64 v[29:30], v[5:6], s[48:49], s[4:5]
	v_cvt_i32_f64_e32 v0, v[47:48]
	v_cmp_ngt_f64_e64 s0, 0xc090cc00, v[67:68]
	s_mov_b32 s4, 0x79f30b25
	s_mov_b32 s5, 0x40401720
	;; [unrolled: 1-line block ×3, first 2 shown]
	v_fma_f64 v[89:90], v[89:90], v[79:80], 1.0
	v_fma_f64 v[79:80], v[85:86], v[87:88], 1.0
	v_lshlrev_b64 v[87:88], 3, v[1:2]
	v_mul_f64 v[81:82], v[25:26], s[12:13]
	v_fma_f64 v[83:84], v[69:70], v[35:36], s[34:35]
	v_rndne_f64_e32 v[77:78], v[77:78]
	v_fma_f64 v[35:36], v[3:4], s[74:75], s[72:73]
	v_add_nc_u32_e32 v1, s33, v1
	v_add_co_u32 v87, vcc_lo, s10, v87
	v_add_co_ci_u32_e32 v88, vcc_lo, s11, v88, vcc_lo
	s_delay_alu instid0(VALU_DEP_3)
	v_lshlrev_b64 v[17:18], 3, v[1:2]
	v_add_nc_u32_e32 v1, s33, v1
	s_mov_b32 s72, 0x5e39713b
	s_mov_b32 s73, 0x40703281
	;; [unrolled: 1-line block ×4, first 2 shown]
	v_fma_f64 v[85:86], v[85:86], v[79:80], 1.0
	v_rndne_f64_e32 v[79:80], v[81:82]
	v_ldexp_f64 v[81:82], v[89:90], v93
	v_add_co_u32 v89, vcc_lo, s10, v17
	v_add_co_ci_u32_e32 v90, vcc_lo, s11, v18, vcc_lo
	v_mov_b32_e32 v17, 0xe5400000
	v_mov_b32_e32 v18, 0x42d2309c
	v_fma_f64 v[83:84], v[69:70], v[83:84], s[36:37]
	global_store_b64 v[23:24], v[17:18], off
	v_lshlrev_b64 v[23:24], 3, v[1:2]
	global_store_b64 v[31:32], v[55:56], off
	v_mul_f64 v[55:56], v[75:76], s[2:3]
	s_mov_b32 s2, 0xde00d1b7
	s_mov_b32 s3, 0x406c1e02
	v_mul_f64 v[31:32], v[35:36], s[12:13]
	v_add_co_u32 v93, vcc_lo, s10, v23
	v_add_co_ci_u32_e32 v94, vcc_lo, s11, v24, vcc_lo
	v_fma_f64 v[23:24], v[77:78], s[8:9], v[27:28]
	v_fma_f64 v[47:48], v[3:4], s[2:3], v[29:30]
	v_cmp_nlt_f64_e32 vcc_lo, 0x40900000, v[67:68]
	v_mul_f64 v[67:68], v[49:50], s[12:13]
	v_cmp_ngt_f64_e64 s2, 0xc090cc00, v[71:72]
	v_add_nc_u32_e32 v1, s33, v1
	v_ldexp_f64 v[29:30], v[85:86], v0
	v_fma_f64 v[71:72], v[79:80], s[8:9], v[25:26]
	v_cndmask_b32_e64 v0, 0x7ff00000, v82, s1
	v_fma_f64 v[82:83], v[69:70], v[83:84], s[30:31]
	s_clause 0x1
	global_store_b64 v[7:8], v[55:56], off
	global_store_b64 v[19:20], v[11:12], off
	v_rndne_f64_e32 v[75:76], v[31:32]
	v_fma_f64 v[31:32], v[3:4], s[72:73], s[4:5]
	v_cmp_ngt_f64_e64 s4, 0xc090cc00, v[49:50]
	s_mov_b32 s73, 0x42a2309c
	s_mov_b32 s72, s46
	v_fma_f64 v[85:86], v[77:78], s[6:7], v[23:24]
	v_mul_f64 v[23:24], v[47:48], s[12:13]
	v_cndmask_b32_e32 v18, 0x7ff00000, v92, vcc_lo
	v_rndne_f64_e32 v[95:96], v[67:68]
	s_and_b32 vcc_lo, s0, vcc_lo
	v_cndmask_b32_e64 v68, 0, v0, s2
	v_cndmask_b32_e32 v7, 0, v91, vcc_lo
	v_cndmask_b32_e64 v8, 0, v18, s0
	s_and_b32 vcc_lo, s2, s1
	v_cmp_ngt_f64_e64 s0, 0xc090cc00, v[21:22]
	v_cndmask_b32_e32 v67, 0, v81, vcc_lo
	v_cmp_nlt_f64_e32 vcc_lo, 0x40900000, v[21:22]
	s_clause 0x1
	global_store_b64 v[15:16], v[7:8], off
	global_store_b64 v[33:34], v[11:12], off
	v_lshlrev_b64 v[18:19], 3, v[1:2]
	v_fma_f64 v[91:92], v[79:80], s[6:7], v[71:72]
	global_store_b64 v[37:38], v[67:68], off
	v_add_nc_u32_e32 v1, s33, v1
	s_mov_b32 s2, 0xd6e3a704
	s_mov_b32 s3, 0x40428a49
	v_add_co_u32 v97, s1, s10, v18
	s_delay_alu instid0(VALU_DEP_2) | instskip(SKIP_3) | instid1(VALU_DEP_4)
	v_lshlrev_b64 v[7:8], 3, v[1:2]
	v_fma_f64 v[55:56], v[69:70], v[82:83], s[28:29]
	v_add_co_ci_u32_e64 v98, s1, s11, v19, s1
	v_add_nc_u32_e32 v1, s33, v1
	v_add_co_u32 v99, s1, s10, v7
	s_delay_alu instid0(VALU_DEP_1)
	v_add_co_ci_u32_e64 v100, s1, s11, v8, s1
	s_mov_b32 s1, 0x42c2309c
	v_fma_f64 v[15:16], v[75:76], s[8:9], v[35:36]
	v_mul_f64 v[71:72], v[31:32], s[12:13]
	v_fma_f64 v[20:21], v[85:86], s[16:17], s[14:15]
	v_rndne_f64_e32 v[33:34], v[23:24]
	v_fma_f64 v[37:38], v[95:96], s[8:9], v[49:50]
	v_cndmask_b32_e32 v0, 0x7ff00000, v30, vcc_lo
	s_and_b32 vcc_lo, s0, vcc_lo
	v_cndmask_b32_e32 v22, 0, v29, vcc_lo
	v_fma_f64 v[7:8], v[91:92], s[16:17], s[14:15]
	s_delay_alu instid0(VALU_DEP_3)
	v_cndmask_b32_e64 v23, 0, v0, s0
	s_mov_b32 s0, s46
	v_cvt_i32_f64_e32 v0, v[61:62]
	v_fma_f64 v[18:19], v[69:70], v[55:56], 1.0
	v_fma_f64 v[101:102], v[75:76], s[6:7], v[15:16]
	v_rndne_f64_e32 v[55:56], v[71:72]
	v_fma_f64 v[15:16], v[85:86], v[20:21], s[22:23]
	v_fma_f64 v[29:30], v[33:34], s[8:9], v[47:48]
	v_mov_b32_e32 v21, s1
	v_fma_f64 v[81:82], v[95:96], s[6:7], v[37:38]
	v_mov_b32_e32 v20, s0
	v_cmp_ngt_f64_e64 s0, 0xc090cc00, v[73:74]
	global_store_b64 v[39:40], v[20:21], off
	v_fma_f64 v[7:8], v[91:92], v[7:8], s[22:23]
	v_fma_f64 v[37:38], v[69:70], v[18:19], 1.0
	v_dual_mov_b32 v18, s76 :: v_dual_mov_b32 v19, s77
	s_mov_b32 s77, 0x426d1a94
	s_clause 0x2
	global_store_b64 v[41:42], v[18:19], off
	global_store_b64 v[45:46], v[22:23], off
	;; [unrolled: 1-line block ×3, first 2 shown]
	v_fma_f64 v[39:40], v[101:102], s[16:17], s[14:15]
	v_fma_f64 v[22:23], v[55:56], s[8:9], v[31:32]
	v_lshlrev_b64 v[43:44], 3, v[1:2]
	v_add_nc_u32_e32 v1, s33, v1
	v_fma_f64 v[15:16], v[85:86], v[15:16], s[20:21]
	v_fma_f64 v[83:84], v[33:34], s[6:7], v[29:30]
	;; [unrolled: 1-line block ×3, first 2 shown]
	v_add_co_u32 v67, vcc_lo, s10, v43
	v_add_co_ci_u32_e32 v68, vcc_lo, s11, v44, vcc_lo
	v_fma_f64 v[7:8], v[91:92], v[7:8], s[20:21]
	v_ldexp_f64 v[41:42], v[37:38], v0
	v_fma_f64 v[39:40], v[101:102], v[39:40], s[22:23]
	v_fma_f64 v[69:70], v[55:56], s[6:7], v[22:23]
	;; [unrolled: 1-line block ×5, first 2 shown]
	v_dual_mov_b32 v29, s64 :: v_dual_mov_b32 v30, s65
	s_mov_b32 s65, 0x42cb48eb
	s_clause 0x1
	global_store_b64 v[57:58], v[29:30], off
	global_store_b64 v[59:60], v[29:30], off
	v_lshlrev_b64 v[29:30], 3, v[1:2]
	v_add_nc_u32_e32 v1, s33, v1
	global_store_b64 v[51:52], v[13:14], off
	v_fma_f64 v[7:8], v[91:92], v[7:8], s[18:19]
	v_lshlrev_b64 v[43:44], 3, v[1:2]
	v_add_co_u32 v61, vcc_lo, s10, v29
	v_add_co_ci_u32_e32 v62, vcc_lo, s11, v30, vcc_lo
	v_mov_b32_e32 v29, 0x91300000
	v_dual_mov_b32 v30, 0x42cfd512 :: v_dual_add_nc_u32 v1, s33, v1
	global_store_b64 v[53:54], v[29:30], off
	v_fma_f64 v[39:40], v[101:102], v[39:40], s[20:21]
	v_fma_f64 v[29:30], v[69:70], s[16:17], s[14:15]
	;; [unrolled: 1-line block ×4, first 2 shown]
	v_add_co_u32 v37, vcc_lo, s10, v43
	v_add_co_ci_u32_e32 v38, vcc_lo, s11, v44, vcc_lo
	v_fma_f64 v[22:23], v[81:82], v[22:23], s[20:21]
	v_cmp_nlt_f64_e32 vcc_lo, 0x40900000, v[73:74]
	v_mov_b32_e32 v73, 0xdc00000
	v_mov_b32_e32 v74, 0x42b97742
	global_store_b64 v[65:66], v[73:74], off
	v_fma_f64 v[7:8], v[91:92], v[7:8], s[26:27]
	v_mov_b32_e32 v74, 0x42997742
	v_fma_f64 v[39:40], v[101:102], v[39:40], s[18:19]
	v_fma_f64 v[51:52], v[69:70], v[29:30], s[22:23]
	;; [unrolled: 1-line block ×5, first 2 shown]
	v_cndmask_b32_e32 v0, 0x7ff00000, v42, vcc_lo
	v_fma_f64 v[42:43], v[5:6], s[44:45], s[2:3]
	s_mov_b32 s2, 0x69b5a640
	s_and_b32 vcc_lo, s0, vcc_lo
	s_mov_b32 s3, 0xc068176c
	v_cndmask_b32_e64 v72, 0, v0, s0
	s_mov_b32 s0, 0xbec1714f
	s_mov_b32 s1, 0x4031d742
	v_fma_f64 v[57:58], v[91:92], v[7:8], s[34:35]
	v_cndmask_b32_e32 v71, 0, v41, vcc_lo
	v_mov_b32_e32 v7, 0x79800000
	v_mov_b32_e32 v8, 0x42a5d3ef
	;; [unrolled: 1-line block ×4, first 2 shown]
	v_cvt_i32_f64_e32 v0, v[77:78]
	s_mov_b32 s45, 0x3fdc28f5
	s_clause 0x3
	global_store_b64 v[63:64], v[7:8], off
	global_store_b64 v[87:88], v[13:14], off
	;; [unrolled: 1-line block ×4, first 2 shown]
	v_mov_b32_e32 v74, 0x42a97742
	v_cvt_i32_f64_e32 v8, v[79:80]
	global_store_b64 v[97:98], v[73:74], off
	v_fma_f64 v[39:40], v[101:102], v[39:40], s[26:27]
	global_store_b64 v[99:100], v[71:72], off
	v_fma_f64 v[15:16], v[85:86], v[15:16], s[36:37]
	v_fma_f64 v[29:30], v[3:4], s[2:3], v[42:43]
	;; [unrolled: 1-line block ×6, first 2 shown]
	s_mov_b32 s0, 0x20ecdf9
	s_mov_b32 s1, 0x403f0f3c
	v_fma_f64 v[53:54], v[91:92], v[57:58], s[36:37]
	s_mov_b32 s2, 0xcb6848bf
	s_mov_b32 s3, 0xc0b192c1
	v_fma_f64 v[57:58], v[101:102], v[39:40], s[34:35]
	v_fma_f64 v[39:40], v[3:4], s[42:43], s[0:1]
	s_mov_b32 s0, 0x72dae8ef
	s_mov_b32 s1, 0x40384e89
	;; [unrolled: 1-line block ×3, first 2 shown]
	v_fma_f64 v[15:16], v[85:86], v[15:16], s[30:31]
	v_mul_f64 v[23:24], v[29:30], s[12:13]
	v_fma_f64 v[63:64], v[83:84], v[41:42], s[26:27]
	v_fma_f64 v[43:44], v[69:70], v[43:44], s[18:19]
	;; [unrolled: 1-line block ×4, first 2 shown]
	s_mov_b32 s79, 0xc0b54ede
	v_fma_f64 v[51:52], v[91:92], v[53:54], s[30:31]
	v_fma_f64 v[15:16], v[85:86], v[15:16], s[28:29]
	v_rndne_f64_e32 v[59:60], v[23:24]
	v_fma_f64 v[23:24], v[101:102], v[57:58], s[36:37]
	v_fma_f64 v[53:54], v[83:84], v[63:64], s[34:35]
	v_mul_f64 v[57:58], v[39:40], s[12:13]
	v_fma_f64 v[43:44], v[69:70], v[43:44], s[26:27]
	v_fma_f64 v[65:66], v[81:82], v[45:46], s[36:37]
	v_mul_f64 v[73:74], v[41:42], s[12:13]
	v_lshlrev_b64 v[63:64], 3, v[1:2]
	v_add_nc_u32_e32 v1, s33, v1
	s_delay_alu instid0(VALU_DEP_2) | instskip(NEXT) | instid1(VALU_DEP_3)
	v_add_co_u32 v71, vcc_lo, s10, v63
	v_add_co_ci_u32_e32 v72, vcc_lo, s11, v64, vcc_lo
	v_fma_f64 v[63:64], v[91:92], v[51:52], s[28:29]
	v_cmp_nlt_f64_e32 vcc_lo, 0x40900000, v[25:26]
	v_fma_f64 v[15:16], v[85:86], v[15:16], 1.0
	v_fma_f64 v[87:88], v[59:60], s[8:9], v[29:30]
	v_fma_f64 v[23:24], v[101:102], v[23:24], s[30:31]
	;; [unrolled: 1-line block ×3, first 2 shown]
	v_rndne_f64_e32 v[45:46], v[57:58]
	v_fma_f64 v[43:44], v[69:70], v[43:44], s[34:35]
	v_fma_f64 v[57:58], v[81:82], v[65:66], s[30:31]
	v_rndne_f64_e32 v[51:52], v[73:74]
	v_fma_f64 v[63:64], v[91:92], v[63:64], 1.0
	v_fma_f64 v[73:74], v[85:86], v[15:16], 1.0
	v_fma_f64 v[65:66], v[59:60], s[6:7], v[87:88]
	v_fma_f64 v[23:24], v[101:102], v[23:24], s[28:29]
	v_fma_f64 v[53:54], v[83:84], v[53:54], s[30:31]
	v_fma_f64 v[15:16], v[45:46], s[8:9], v[39:40]
	v_fma_f64 v[43:44], v[69:70], v[43:44], s[36:37]
	v_fma_f64 v[57:58], v[81:82], v[57:58], s[28:29]
	v_fma_f64 v[77:78], v[51:52], s[8:9], v[41:42]
	v_fma_f64 v[63:64], v[91:92], v[63:64], 1.0
	v_cvt_i32_f64_e32 v91, v[75:76]
	v_cvt_i32_f64_e32 v92, v[95:96]
	v_ldexp_f64 v[73:74], v[73:74], v0
	v_fma_f64 v[79:80], v[65:66], s[16:17], s[14:15]
	v_fma_f64 v[23:24], v[101:102], v[23:24], 1.0
	v_fma_f64 v[85:86], v[83:84], v[53:54], s[28:29]
	v_fma_f64 v[53:54], v[45:46], s[6:7], v[15:16]
	;; [unrolled: 1-line block ×3, first 2 shown]
	v_fma_f64 v[87:88], v[81:82], v[57:58], 1.0
	v_fma_f64 v[57:58], v[51:52], s[6:7], v[77:78]
	v_fma_f64 v[15:16], v[3:4], s[2:3], s[0:1]
	s_mov_b32 s0, 0xc882bb31
	s_mov_b32 s1, 0x4024367d
	;; [unrolled: 1-line block ×4, first 2 shown]
	v_ldexp_f64 v[63:64], v[63:64], v8
	v_cvt_i32_f64_e32 v8, v[33:34]
	v_fma_f64 v[77:78], v[65:66], v[79:80], s[22:23]
	v_fma_f64 v[79:80], v[101:102], v[23:24], 1.0
	v_fma_f64 v[75:76], v[83:84], v[85:86], 1.0
	v_fma_f64 v[23:24], v[53:54], s[16:17], s[14:15]
	v_fma_f64 v[43:44], v[69:70], v[43:44], s[28:29]
	v_fma_f64 v[81:82], v[81:82], v[87:88], 1.0
	v_fma_f64 v[85:86], v[57:58], s[16:17], s[14:15]
	v_fma_f64 v[87:88], v[5:6], s[74:75], s[0:1]
	s_mov_b32 s0, 0x1e3a7daa
	s_mov_b32 s1, 0xc0a45d53
	;; [unrolled: 1-line block ×3, first 2 shown]
	v_cndmask_b32_e32 v0, 0x7ff00000, v64, vcc_lo
	v_fma_f64 v[77:78], v[65:66], v[77:78], s[20:21]
	v_ldexp_f64 v[79:80], v[79:80], v91
	v_fma_f64 v[83:84], v[83:84], v[75:76], 1.0
	v_mul_f64 v[75:76], v[15:16], s[12:13]
	v_fma_f64 v[89:90], v[53:54], v[23:24], s[22:23]
	v_fma_f64 v[43:44], v[69:70], v[43:44], 1.0
	v_fma_f64 v[85:86], v[57:58], v[85:86], s[22:23]
	v_fma_f64 v[23:24], v[3:4], s[0:1], v[87:88]
	v_cmp_ngt_f64_e64 s0, 0xc090cc00, v[25:26]
	v_mul_f64 v[25:26], v[3:4], s[2:3]
	s_mov_b32 s2, 0x156da575
	s_mov_b32 s3, 0x40203727
	v_ldexp_f64 v[81:82], v[81:82], v92
	v_cmp_nlt_f64_e64 s1, 0x40900000, v[27:28]
	v_fma_f64 v[77:78], v[65:66], v[77:78], s[18:19]
	v_rndne_f64_e32 v[75:76], v[75:76]
	v_fma_f64 v[33:34], v[53:54], v[89:90], s[20:21]
	v_fma_f64 v[69:70], v[69:70], v[43:44], 1.0
	v_fma_f64 v[43:44], v[5:6], s[60:61], s[2:3]
	v_fma_f64 v[85:86], v[57:58], v[85:86], s[20:21]
	v_cmp_ngt_f64_e64 s2, 0xc090cc00, v[27:28]
	v_mul_f64 v[27:28], v[23:24], s[12:13]
	v_cmp_nlt_f64_e64 s3, 0x40900000, v[49:50]
	v_mul_f64 v[87:88], v[25:26], s[12:13]
	s_mov_b32 s60, 0x7f23cc9
	s_mov_b32 s61, 0xc0a709b3
	s_and_b32 vcc_lo, s0, vcc_lo
	v_cndmask_b32_e64 v64, 0, v0, s0
	v_cndmask_b32_e32 v63, 0, v63, vcc_lo
	v_cndmask_b32_e64 v74, 0x7ff00000, v74, s1
	v_cmp_nlt_f64_e32 vcc_lo, 0x40900000, v[35:36]
	v_cmp_ngt_f64_e64 s0, 0xc090cc00, v[35:36]
	global_store_b64 v[67:68], v[63:64], off
	v_fma_f64 v[77:78], v[65:66], v[77:78], s[26:27]
	v_fma_f64 v[89:90], v[75:76], s[8:9], v[15:16]
	;; [unrolled: 1-line block ×4, first 2 shown]
	s_mov_b32 s60, 0x70a3d70a
	s_and_b32 s1, s2, s1
	v_rndne_f64_e32 v[49:50], v[27:28]
	v_cndmask_b32_e64 v93, 0x7ff00000, v82, s3
	v_ldexp_f64 v[82:83], v[83:84], v8
	v_fma_f64 v[84:85], v[57:58], v[85:86], s[18:19]
	v_cndmask_b32_e64 v73, 0, v73, s1
	s_and_b32 s1, s4, s3
	v_rndne_f64_e32 v[43:44], v[87:88]
	v_cndmask_b32_e64 v74, 0, v74, s2
	v_cmp_ngt_f64_e64 s2, 0xc090cc00, v[47:48]
	v_cndmask_b32_e32 v0, 0x7ff00000, v80, vcc_lo
	s_and_b32 vcc_lo, s0, vcc_lo
	s_mov_b32 s61, 0xbfef0a3d
	global_store_b64 v[61:62], v[73:74], off
	s_mov_b32 s3, 0x3fb99999
	v_fma_f64 v[27:28], v[65:66], v[77:78], s[34:35]
	v_fma_f64 v[77:78], v[75:76], s[6:7], v[89:90]
	;; [unrolled: 1-line block ×3, first 2 shown]
	v_mul_f64 v[63:64], v[33:34], s[12:13]
	v_fma_f64 v[35:36], v[49:50], s[8:9], v[23:24]
	v_fma_f64 v[67:68], v[57:58], v[84:85], s[26:27]
	v_cndmask_b32_e64 v84, 0, v81, s1
	v_cmp_nlt_f64_e64 s1, 0x40900000, v[47:48]
	v_fma_f64 v[80:81], v[43:44], s[8:9], v[25:26]
	v_cndmask_b32_e64 v85, 0, v93, s4
	s_mov_b32 s4, 0x22eae693
	s_mov_b32 s5, 0x4042cbe0
	v_cvt_i32_f64_e32 v99, v[43:44]
	v_fma_f64 v[61:62], v[5:6], s[60:61], s[4:5]
	v_mul_f64 v[90:91], v[84:85], s[76:77]
	s_mov_b32 s61, 0x401e6666
	s_mov_b32 s60, 0x66666666
	;; [unrolled: 1-line block ×5, first 2 shown]
	v_fma_f64 v[27:28], v[65:66], v[27:28], s[36:37]
	v_fma_f64 v[88:89], v[77:78], s[16:17], s[14:15]
	v_fma_f64 v[86:87], v[53:54], v[86:87], s[34:35]
	v_rndne_f64_e32 v[47:48], v[63:64]
	v_fma_f64 v[67:68], v[57:58], v[67:68], s[34:35]
	v_cndmask_b32_e64 v8, 0x7ff00000, v83, s1
	v_cvt_i32_f64_e32 v83, v[55:56]
	v_fma_f64 v[55:56], v[49:50], s[6:7], v[35:36]
	v_cndmask_b32_e32 v35, 0, v79, vcc_lo
	v_fma_f64 v[63:64], v[43:44], s[6:7], v[80:81]
	s_and_b32 vcc_lo, s2, s1
	v_cndmask_b32_e64 v36, 0, v0, s0
	v_cndmask_b32_e32 v82, 0, v82, vcc_lo
	s_mov_b32 s0, 0x84988095
	s_mov_b32 s1, 0x403d3d0b
	v_fma_f64 v[27:28], v[65:66], v[27:28], s[30:31]
	v_fma_f64 v[79:80], v[77:78], v[88:89], s[22:23]
	;; [unrolled: 1-line block ×5, first 2 shown]
	v_ldexp_f64 v[69:70], v[69:70], v83
	v_fma_f64 v[88:89], v[55:56], s[16:17], s[14:15]
	v_cndmask_b32_e64 v83, 0, v8, s2
	s_mov_b32 s2, s62
	v_cvt_i32_f64_e32 v8, v[59:60]
	global_store_b64 v[37:38], v[82:83], off
	v_lshlrev_b64 v[37:38], 3, v[1:2]
	global_store_b64 v[71:72], v[35:36], off
	v_fma_f64 v[81:82], v[5:6], s[2:3], s[0:1]
	s_mov_b32 s0, 0xcac4b4d0
	s_mov_b32 s1, 0xc0737fe8
	v_mul_f64 v[71:72], v[84:85], s[70:71]
	v_add_co_u32 v35, vcc_lo, s10, v37
	v_add_co_ci_u32_e32 v36, vcc_lo, s11, v38, vcc_lo
	v_mad_u64_u32 v[37:38], null, s33, 51, v[1:2]
	v_mov_b32_e32 v38, v2
	global_store_b64 v[35:36], v[90:91], off
	v_fma_f64 v[35:36], v[3:4], s[0:1], v[61:62]
	v_fma_f64 v[27:28], v[65:66], v[27:28], s[28:29]
	;; [unrolled: 1-line block ×3, first 2 shown]
	s_mov_b32 s2, 0xc0053e2d
	v_lshlrev_b64 v[92:93], 3, v[37:38]
	v_fma_f64 v[86:87], v[53:54], v[86:87], s[30:31]
	v_fma_f64 v[79:80], v[77:78], v[79:80], s[20:21]
	;; [unrolled: 1-line block ×3, first 2 shown]
	v_add_nc_u32_e32 v1, s82, v37
	v_cmp_ngt_f64_e64 s0, 0xc090cc00, v[31:32]
	s_mov_b32 s3, 0xc0b4d618
	s_mov_b32 s71, 0x42d6bcc4
	v_fma_f64 v[61:62], v[57:58], v[67:68], s[30:31]
	v_mul_f64 v[67:68], v[84:85], s[72:73]
	v_fma_f64 v[83:84], v[55:56], v[88:89], s[22:23]
	v_add_co_u32 v88, vcc_lo, s10, v92
	v_add_co_ci_u32_e32 v89, vcc_lo, s11, v93, vcc_lo
	v_cmp_nlt_f64_e32 vcc_lo, 0x40900000, v[31:32]
	v_lshlrev_b64 v[31:32], 3, v[1:2]
	v_fma_f64 v[37:38], v[3:4], s[2:3], v[81:82]
	s_mov_b32 s2, 0x8d576bf8
	s_mov_b32 s3, 0xc03c7aca
	global_store_b64 v[88:89], v[71:72], off
	v_add_co_u32 v31, s1, s10, v31
	s_delay_alu instid0(VALU_DEP_1)
	v_add_co_ci_u32_e64 v32, s1, s11, v32, s1
	v_mul_f64 v[59:60], v[35:36], s[12:13]
	v_fma_f64 v[27:28], v[65:66], v[27:28], 1.0
	v_fma_f64 v[81:82], v[63:64], v[90:91], s[22:23]
	v_fma_f64 v[79:80], v[77:78], v[79:80], s[18:19]
	;; [unrolled: 1-line block ×3, first 2 shown]
	global_store_b64 v[31:32], v[67:68], off
	v_fma_f64 v[31:32], v[73:74], s[16:17], s[14:15]
	v_fma_f64 v[83:84], v[55:56], v[83:84], s[20:21]
	v_cndmask_b32_e32 v0, 0x7ff00000, v70, vcc_lo
	v_mad_u64_u32 v[70:71], null, 0xffffffcc, s33, v[1:2]
	v_mov_b32_e32 v71, v2
	v_mul_f64 v[92:93], v[37:38], s[12:13]
	s_delay_alu instid0(VALU_DEP_4)
	v_cndmask_b32_e64 v91, 0, v0, s0
	s_and_b32 vcc_lo, s0, vcc_lo
	v_cvt_i32_f64_e32 v0, v[51:52]
	v_cndmask_b32_e32 v90, 0, v69, vcc_lo
	v_lshlrev_b64 v[71:72], 3, v[70:71]
	v_add_nc_u32_e32 v1, s33, v70
	v_cmp_nlt_f64_e32 vcc_lo, 0x40900000, v[29:30]
	s_delay_alu instid0(VALU_DEP_3)
	v_add_co_u32 v88, s1, s10, v71
	v_fma_f64 v[70:71], v[53:54], v[86:87], s[28:29]
	v_fma_f64 v[85:86], v[5:6], s[60:61], s[2:3]
	v_lshlrev_b64 v[67:68], 3, v[1:2]
	v_add_co_ci_u32_e64 v89, s1, s11, v72, s1
	v_fma_f64 v[65:66], v[65:66], v[27:28], 1.0
	v_fma_f64 v[81:82], v[63:64], v[81:82], s[20:21]
	v_rndne_f64_e32 v[59:60], v[59:60]
	v_add_co_u32 v67, s1, s10, v67
	s_delay_alu instid0(VALU_DEP_1)
	v_add_co_ci_u32_e64 v68, s1, s11, v68, s1
	s_mov_b32 s0, 0x5b2d4d40
	s_mov_b32 s1, 0x409bc16b
	v_fma_f64 v[61:62], v[57:58], v[61:62], 1.0
	v_fma_f64 v[31:32], v[73:74], v[31:32], s[22:23]
	v_add_nc_u32_e32 v1, s33, v1
	global_store_b64 v[88:89], v[90:91], off
	v_cmp_ngt_f64_e64 s2, 0xc090cc00, v[39:40]
	s_mov_b32 s61, 0x3ffe6666
	v_fma_f64 v[69:70], v[53:54], v[70:71], 1.0
	v_fma_f64 v[27:28], v[3:4], s[0:1], v[85:86]
	s_mov_b32 s0, 0xbaef54b7
	s_mov_b32 s1, 0x40344ec8
	v_fma_f64 v[71:72], v[77:78], v[79:80], s[26:27]
	v_fma_f64 v[85:86], v[5:6], s[4:5], s[0:1]
	;; [unrolled: 1-line block ×3, first 2 shown]
	v_ldexp_f64 v[83:84], v[65:66], v8
	v_rndne_f64_e32 v[65:66], v[92:93]
	v_fma_f64 v[81:82], v[63:64], v[81:82], s[18:19]
	v_cmp_ngt_f64_e64 s0, 0xc090cc00, v[29:30]
	v_fma_f64 v[57:58], v[57:58], v[61:62], 1.0
	v_fma_f64 v[61:62], v[59:60], s[8:9], v[35:36]
	v_fma_f64 v[92:93], v[53:54], v[69:70], 1.0
	v_mul_f64 v[53:54], v[27:28], s[12:13]
	v_fma_f64 v[69:70], v[73:74], v[31:32], s[20:21]
	v_fma_f64 v[94:95], v[77:78], v[71:72], s[34:35]
	;; [unrolled: 1-line block ×4, first 2 shown]
	v_cndmask_b32_e32 v8, 0x7ff00000, v84, vcc_lo
	v_fma_f64 v[29:30], v[65:66], s[8:9], v[37:38]
	v_fma_f64 v[51:52], v[63:64], v[81:82], s[26:27]
	s_and_b32 vcc_lo, s0, vcc_lo
	s_mov_b32 s78, 0xbcba3012
	v_cndmask_b32_e64 v84, 0, v8, s0
	v_cndmask_b32_e32 v83, 0, v83, vcc_lo
	v_cmp_ngt_f64_e64 s0, 0xc090cc00, v[41:42]
	v_fma_f64 v[71:72], v[59:60], s[6:7], v[61:62]
	s_mov_b32 s79, 0x4034be39
	global_store_b64 v[67:68], v[83:84], off
	v_lshlrev_b64 v[67:68], 3, v[1:2]
	v_add_nc_u32_e32 v1, s33, v1
	s_delay_alu instid0(VALU_DEP_2) | instskip(NEXT) | instid1(VALU_DEP_3)
	v_add_co_u32 v83, vcc_lo, s10, v67
	v_add_co_ci_u32_e32 v84, vcc_lo, s11, v68, vcc_lo
	v_cmp_nlt_f64_e32 vcc_lo, 0x40900000, v[41:42]
	v_mov_b32_e32 v41, 0xe37e0000
	v_mov_b32_e32 v42, 0x42d32ae7
	global_store_b64 v[83:84], v[41:42], off
	v_lshlrev_b64 v[41:42], 3, v[1:2]
	v_add_nc_u32_e32 v1, s33, v1
	v_rndne_f64_e32 v[53:54], v[53:54]
	v_fma_f64 v[61:62], v[73:74], v[69:70], s[18:19]
	v_fma_f64 v[81:82], v[77:78], v[94:95], s[36:37]
	v_cvt_i32_f64_e32 v94, v[45:46]
	v_ldexp_f64 v[45:46], v[57:58], v0
	v_mul_f64 v[57:58], v[31:32], s[12:13]
	v_fma_f64 v[79:80], v[55:56], v[79:80], s[34:35]
	v_fma_f64 v[69:70], v[65:66], s[6:7], v[29:30]
	;; [unrolled: 1-line block ×3, first 2 shown]
	v_add_co_u32 v41, s1, s10, v41
	s_delay_alu instid0(VALU_DEP_1)
	v_add_co_ci_u32_e64 v42, s1, s11, v42, s1
	v_fma_f64 v[85:86], v[71:72], s[16:17], s[14:15]
	v_cmp_nlt_f64_e64 s1, 0x40900000, v[39:40]
	v_fma_f64 v[51:52], v[53:54], s[8:9], v[27:28]
	v_fma_f64 v[61:62], v[73:74], v[61:62], s[26:27]
	;; [unrolled: 1-line block ×3, first 2 shown]
	v_ldexp_f64 v[89:90], v[92:93], v94
	v_cndmask_b32_e32 v0, 0x7ff00000, v46, vcc_lo
	v_rndne_f64_e32 v[57:58], v[57:58]
	v_fma_f64 v[79:80], v[55:56], v[79:80], s[36:37]
	v_fma_f64 v[87:88], v[69:70], s[16:17], s[14:15]
	;; [unrolled: 1-line block ×3, first 2 shown]
	s_and_b32 vcc_lo, s0, vcc_lo
	v_cndmask_b32_e64 v40, 0, v0, s0
	v_cndmask_b32_e32 v39, 0, v45, vcc_lo
	v_cvt_i32_f64_e32 v0, v[75:76]
	v_fma_f64 v[75:76], 0x3ff80000, v[5:6], s[78:79]
	s_mov_b32 s78, 0xd0a67621
	s_mov_b32 s79, 0xc0b0e7a9
	global_store_b64 v[41:42], v[39:40], off
	v_lshlrev_b64 v[41:42], 3, v[1:2]
	v_mov_b32_e32 v39, 0x2a740000
	v_dual_mov_b32 v40, 0x42b6bf18 :: v_dual_add_nc_u32 v1, s33, v1
	s_delay_alu instid0(VALU_DEP_3) | instskip(NEXT) | instid1(VALU_DEP_4)
	v_add_co_u32 v41, vcc_lo, s10, v41
	v_add_co_ci_u32_e32 v42, vcc_lo, s11, v42, vcc_lo
	global_store_b64 v[41:42], v[39:40], off
	v_fma_f64 v[67:68], v[53:54], s[6:7], v[51:52]
	v_fma_f64 v[51:52], v[71:72], v[85:86], s[22:23]
	;; [unrolled: 1-line block ×4, first 2 shown]
	v_cndmask_b32_e64 v8, 0x7ff00000, v90, s1
	v_fma_f64 v[83:84], v[57:58], s[8:9], v[31:32]
	v_fma_f64 v[79:80], v[55:56], v[79:80], s[30:31]
	;; [unrolled: 1-line block ×7, first 2 shown]
	v_fma_f64 v[81:82], v[77:78], v[81:82], 1.0
	v_fma_f64 v[61:62], v[57:58], s[6:7], v[83:84]
	v_fma_f64 v[79:80], v[55:56], v[79:80], s[28:29]
	;; [unrolled: 1-line block ×7, first 2 shown]
	v_lshlrev_b64 v[51:52], 3, v[1:2]
	v_fma_f64 v[77:78], v[77:78], v[81:82], 1.0
	v_cndmask_b32_e64 v82, 0, v8, s2
	v_fma_f64 v[39:40], v[61:62], s[16:17], s[14:15]
	v_fma_f64 v[79:80], v[55:56], v[79:80], 1.0
	v_fma_f64 v[41:42], v[69:70], v[83:84], s[18:19]
	v_add_co_u32 v51, vcc_lo, s10, v51
	v_add_co_ci_u32_e32 v52, vcc_lo, s11, v52, vcc_lo
	s_and_b32 vcc_lo, s2, s1
	s_mov_b32 s0, 0xc1369695
	v_cndmask_b32_e32 v81, 0, v89, vcc_lo
	v_fma_f64 v[89:90], v[63:64], v[29:30], 1.0
	s_mov_b32 s2, 0xd9ec7000
	s_mov_b32 s1, 0x403c19dc
	;; [unrolled: 1-line block ×3, first 2 shown]
	global_store_b64 v[51:52], v[81:82], off
	v_fma_f64 v[51:52], v[3:4], s[78:79], v[75:76]
	v_fma_f64 v[29:30], v[3:4], s[2:3], s[0:1]
	v_add_nc_u32_e32 v1, s33, v1
	s_mov_b32 s2, 0x8c1a5516
	v_cmp_ngt_f64_e64 s0, 0xc090cc00, v[15:16]
	s_mov_b32 s3, 0x402d6e6c
	s_mov_b32 s78, 0xbcd35a86
	v_lshlrev_b64 v[83:84], 3, v[1:2]
	v_add_nc_u32_e32 v1, s33, v1
	v_fma_f64 v[93:94], v[5:6], 2.0, s[2:3]
	s_mov_b32 s2, 0xdd2f1aa0
	s_mov_b32 s3, 0xc0988824
	;; [unrolled: 1-line block ×3, first 2 shown]
	v_lshlrev_b64 v[81:82], 3, v[1:2]
	v_add_nc_u32_e32 v1, s33, v1
	v_add_co_u32 v83, vcc_lo, s10, v83
	v_fma_f64 v[45:46], v[67:68], v[45:46], s[20:21]
	v_fma_f64 v[75:76], v[71:72], v[85:86], s[26:27]
	;; [unrolled: 1-line block ×3, first 2 shown]
	v_add_co_ci_u32_e32 v84, vcc_lo, s11, v84, vcc_lo
	v_ldexp_f64 v[77:78], v[77:78], v0
	v_fma_f64 v[39:40], v[61:62], v[39:40], s[22:23]
	v_cvt_i32_f64_e32 v0, v[49:50]
	v_fma_f64 v[49:50], v[55:56], v[79:80], 1.0
	v_add_co_u32 v55, vcc_lo, s10, v81
	v_lshlrev_b64 v[87:88], 3, v[1:2]
	v_add_co_ci_u32_e32 v56, vcc_lo, s11, v82, vcc_lo
	v_fma_f64 v[41:42], v[69:70], v[41:42], s[26:27]
	v_fma_f64 v[81:82], v[5:6], s[62:63], s[80:81]
	v_fma_f64 v[63:64], v[63:64], v[89:90], 1.0
	v_add_co_u32 v79, vcc_lo, s10, v87
	v_add_co_ci_u32_e32 v80, vcc_lo, s11, v88, vcc_lo
	v_cmp_nlt_f64_e32 vcc_lo, 0x40900000, v[15:16]
	v_mul_f64 v[87:88], v[51:52], s[12:13]
	v_mul_f64 v[91:92], v[29:30], s[12:13]
	v_mov_b32_e32 v15, 0xa2000000
	v_dual_mov_b32 v16, 0x426d1a94 :: v_dual_add_nc_u32 v1, s33, v1
	s_mov_b32 s80, 0xe545699
	s_mov_b32 s81, 0x4033c577
	;; [unrolled: 1-line block ×4, first 2 shown]
	v_fma_f64 v[89:90], v[67:68], v[45:46], s[18:19]
	v_fma_f64 v[75:76], v[71:72], v[75:76], s[34:35]
	v_fma_f64 v[85:86], v[73:74], v[85:86], 1.0
	v_fma_f64 v[95:96], v[61:62], v[39:40], s[20:21]
	v_ldexp_f64 v[49:50], v[49:50], v0
	v_cvt_i32_f64_e32 v0, v[47:48]
	v_fma_f64 v[97:98], v[69:70], v[41:42], s[34:35]
	v_fma_f64 v[45:46], v[3:4], s[2:3], v[81:82]
	s_mov_b32 s2, 0x122fad6d
	s_mov_b32 s3, 0xc0b0419a
	v_ldexp_f64 v[63:64], v[63:64], v99
	v_fma_f64 v[39:40], v[3:4], s[2:3], v[93:94]
	v_cmp_ngt_f64_e64 s2, 0xc090cc00, v[25:26]
	v_cndmask_b32_e32 v8, 0x7ff00000, v78, vcc_lo
	s_and_b32 vcc_lo, s0, vcc_lo
	v_rndne_f64_e32 v[41:42], v[87:88]
	v_rndne_f64_e32 v[47:48], v[91:92]
	v_cndmask_b32_e32 v43, 0, v77, vcc_lo
	v_cndmask_b32_e64 v44, 0, v8, s0
	v_cmp_nlt_f64_e32 vcc_lo, 0x40900000, v[23:24]
	v_cmp_ngt_f64_e64 s0, 0xc090cc00, v[23:24]
	v_lshlrev_b64 v[23:24], 3, v[1:2]
	v_add_nc_u32_e32 v1, s33, v1
	global_store_b64 v[83:84], v[43:44], off
	v_mov_b32_e32 v83, 0x7ae00000
	v_mov_b32_e32 v84, 0x42a85fdc
	global_store_b64 v[55:56], v[15:16], off
	v_lshlrev_b64 v[55:56], 3, v[1:2]
	v_add_nc_u32_e32 v1, s33, v1
	v_add_co_u32 v23, s1, s10, v23
	v_fma_f64 v[81:82], v[67:68], v[89:90], s[26:27]
	v_fma_f64 v[75:76], v[71:72], v[75:76], s[36:37]
	v_fma_f64 v[73:74], v[73:74], v[85:86], 1.0
	global_store_b64 v[79:80], v[83:84], off
	v_lshlrev_b64 v[79:80], 3, v[1:2]
	v_fma_f64 v[77:78], v[61:62], v[95:96], s[18:19]
	v_add_co_ci_u32_e64 v24, s1, s11, v24, s1
	v_add_co_u32 v91, s1, s10, v55
	s_delay_alu instid0(VALU_DEP_1)
	v_add_co_ci_u32_e64 v92, s1, s11, v56, s1
	v_add_co_u32 v79, s1, s10, v79
	v_fma_f64 v[85:86], v[69:70], v[97:98], s[36:37]
	v_mul_f64 v[43:44], v[45:46], s[12:13]
	v_add_co_ci_u32_e64 v80, s1, s11, v80, s1
	v_mul_f64 v[93:94], v[39:40], s[12:13]
	v_add_nc_u32_e32 v1, s33, v1
	v_cvt_i32_f64_e32 v16, v[53:54]
	v_fma_f64 v[83:84], v[41:42], s[8:9], v[51:52]
	v_cndmask_b32_e32 v8, 0x7ff00000, v50, vcc_lo
	s_and_b32 vcc_lo, s0, vcc_lo
	v_cndmask_b32_e32 v49, 0, v49, vcc_lo
	v_cmp_nlt_f64_e32 vcc_lo, 0x40900000, v[33:34]
	s_delay_alu instid0(VALU_DEP_3)
	v_cndmask_b32_e64 v50, 0, v8, s0
	s_mov_b32 s0, 0xa7d4c5c0
	s_mov_b32 s1, 0x40412866
	global_store_b64 v[23:24], v[49:50], off
	v_mov_b32_e32 v23, 0x8d000000
	v_fma_f64 v[81:82], v[67:68], v[81:82], s[34:35]
	v_fma_f64 v[87:88], v[71:72], v[75:76], s[30:31]
	v_ldexp_f64 v[89:90], v[73:74], v0
	v_fma_f64 v[73:74], v[47:48], s[8:9], v[29:30]
	v_mov_b32_e32 v24, 0x429ed99d
	v_fma_f64 v[95:96], v[61:62], v[77:78], s[26:27]
	s_clause 0x1
	global_store_b64 v[91:92], v[13:14], off
	global_store_b64 v[79:80], v[23:24], off
	v_mov_b32_e32 v23, 0x42b05ef3
	v_fma_f64 v[85:86], v[69:70], v[85:86], s[30:31]
	v_rndne_f64_e32 v[55:56], v[43:44]
	v_fma_f64 v[43:44], v[5:6], s[56:57], s[0:1]
	v_cmp_ngt_f64_e64 s0, 0xc090cc00, v[33:34]
	v_cmp_nlt_f64_e64 s1, 0x40900000, v[25:26]
	v_lshlrev_b64 v[25:26], 3, v[1:2]
	v_add_nc_u32_e32 v1, s33, v1
	s_mov_b32 s57, 0xc027a3d7
	v_fma_f64 v[75:76], v[41:42], s[6:7], v[83:84]
	s_delay_alu instid0(VALU_DEP_2)
	v_lshlrev_b64 v[79:80], 3, v[1:2]
	v_add_nc_u32_e32 v1, s33, v1
	v_fma_f64 v[49:50], v[67:68], v[81:82], s[36:37]
	v_fma_f64 v[81:82], v[71:72], v[87:88], s[28:29]
	v_cndmask_b32_e32 v0, 0x7ff00000, v90, vcc_lo
	v_fma_f64 v[77:78], v[47:48], s[6:7], v[73:74]
	v_rndne_f64_e32 v[73:74], v[93:94]
	v_fma_f64 v[33:34], v[61:62], v[95:96], s[34:35]
	v_add_co_u32 v87, s3, s10, v25
	s_delay_alu instid0(VALU_DEP_1) | instskip(SKIP_2) | instid1(VALU_DEP_1)
	v_add_co_ci_u32_e64 v88, s3, s11, v26, s3
	v_lshlrev_b64 v[90:91], 3, v[1:2]
	v_add_co_u32 v79, s3, s10, v79
	v_add_co_ci_u32_e64 v80, s3, s11, v80, s3
	v_fma_f64 v[83:84], v[69:70], v[85:86], s[28:29]
	v_fma_f64 v[85:86], v[55:56], s[8:9], v[45:46]
	s_and_b32 vcc_lo, s0, vcc_lo
	v_fma_f64 v[25:26], v[3:4], s[78:79], v[43:44]
	global_store_b64 v[87:88], v[22:23], off
	v_cndmask_b32_e64 v8, 0x7ff00000, v64, s1
	v_add_nc_u32_e32 v1, s33, v1
	v_fma_f64 v[22:23], v[75:76], s[16:17], s[14:15]
	s_delay_alu instid0(VALU_DEP_3) | instskip(NEXT) | instid1(VALU_DEP_3)
	v_cndmask_b32_e64 v64, 0, v8, s2
	v_lshlrev_b64 v[93:94], 3, v[1:2]
	v_cvt_i32_f64_e32 v8, v[65:66]
	v_fma_f64 v[43:44], v[67:68], v[49:50], s[30:31]
	v_fma_f64 v[49:50], v[71:72], v[81:82], 1.0
	v_cndmask_b32_e64 v82, 0, v0, s0
	v_cndmask_b32_e32 v81, 0, v89, vcc_lo
	v_add_co_u32 v87, vcc_lo, s10, v90
	v_add_co_ci_u32_e32 v88, vcc_lo, s11, v91, vcc_lo
	v_fma_f64 v[89:90], v[77:78], s[16:17], s[14:15]
	global_store_b64 v[79:80], v[81:82], off
	v_fma_f64 v[81:82], v[5:6], s[4:5], s[80:81]
	v_fma_f64 v[91:92], v[73:74], s[8:9], v[39:40]
	;; [unrolled: 1-line block ×3, first 2 shown]
	s_and_b32 vcc_lo, s2, s1
	global_store_b64 v[87:88], v[20:21], off
	v_cndmask_b32_e32 v63, 0, v63, vcc_lo
	v_fma_f64 v[83:84], v[69:70], v[83:84], 1.0
	v_fma_f64 v[79:80], v[55:56], s[6:7], v[85:86]
	s_mov_b32 s0, 0x902de01
	v_add_co_u32 v85, vcc_lo, s10, v93
	v_mul_f64 v[20:21], v[63:64], s[62:63]
	v_mul_f64 v[63:64], v[63:64], s[76:77]
	s_mov_b32 s1, 0xc0d234d2
	v_mad_u64_u32 v[87:88], null, s33, 15, v[1:2]
	v_add_co_ci_u32_e32 v86, vcc_lo, s11, v94, vcc_lo
	v_fma_f64 v[22:23], v[75:76], v[22:23], s[22:23]
	v_mul_f64 v[93:94], v[25:26], s[12:13]
	v_mov_b32_e32 v88, v2
	v_cvt_i32_f64_e32 v0, v[59:60]
	v_cmp_ngt_f64_e64 s2, 0xc090cc00, v[37:38]
	s_mov_b32 s4, 0xb2b777d1
	s_mov_b32 s5, 0xc08de0e4
	v_mad_u64_u32 v[59:60], null, s33, -14, v[87:88]
	v_mov_b32_e32 v60, v2
	v_fma_f64 v[65:66], v[67:68], v[43:44], s[28:29]
	v_fma_f64 v[49:50], v[71:72], v[49:50], 1.0
	v_lshlrev_b64 v[87:88], 3, v[87:88]
	s_mov_b32 s76, 0x821d7c12
	s_mov_b32 s77, 0x403520f4
	v_add_nc_u32_e32 v1, s33, v59
	v_lshlrev_b64 v[59:60], 3, v[59:60]
	s_mov_b32 s63, 0x42c5d3ef
	v_fma_f64 v[89:90], v[77:78], v[89:90], s[22:23]
	v_fma_f64 v[43:44], v[3:4], s[0:1], v[81:82]
	;; [unrolled: 1-line block ×4, first 2 shown]
	v_add_co_u32 v81, vcc_lo, s10, v87
	v_add_co_ci_u32_e32 v82, vcc_lo, s11, v88, vcc_lo
	v_fma_f64 v[69:70], v[69:70], v[83:84], 1.0
	v_fma_f64 v[83:84], v[79:80], s[16:17], s[14:15]
	v_cmp_ngt_f64_e64 s0, 0xc090cc00, v[35:36]
	v_cmp_nlt_f64_e64 s1, 0x40900000, v[37:38]
	global_store_b64 v[85:86], v[20:21], off
	v_lshlrev_b64 v[20:21], 3, v[1:2]
	v_add_nc_u32_e32 v1, s33, v1
	v_add_co_u32 v85, vcc_lo, s10, v59
	v_add_co_ci_u32_e32 v86, vcc_lo, s11, v60, vcc_lo
	s_delay_alu instid0(VALU_DEP_3)
	v_lshlrev_b64 v[59:60], 3, v[1:2]
	v_add_nc_u32_e32 v1, s33, v1
	v_add_co_u32 v20, vcc_lo, s10, v20
	global_store_b64 v[81:82], v[63:64], off
	v_add_co_ci_u32_e32 v21, vcc_lo, s11, v21, vcc_lo
	v_lshlrev_b64 v[63:64], 3, v[1:2]
	v_add_co_u32 v81, vcc_lo, s10, v59
	v_add_co_ci_u32_e32 v82, vcc_lo, s11, v60, vcc_lo
	v_fma_f64 v[87:88], v[75:76], v[22:23], s[20:21]
	s_delay_alu instid0(VALU_DEP_4)
	v_add_co_u32 v91, vcc_lo, s10, v63
	v_fma_f64 v[59:60], v[67:68], v[65:66], 1.0
	v_rndne_f64_e32 v[23:24], v[93:94]
	v_add_co_ci_u32_e32 v92, vcc_lo, s11, v64, vcc_lo
	v_fma_f64 v[63:64], v[77:78], v[89:90], s[20:21]
	v_mul_f64 v[65:66], v[43:44], s[12:13]
	v_fma_f64 v[89:90], v[71:72], s[16:17], s[14:15]
	v_fma_f64 v[33:34], v[61:62], v[33:34], s[28:29]
	v_cmp_nlt_f64_e32 vcc_lo, 0x40900000, v[35:36]
	v_ldexp_f64 v[49:50], v[49:50], v0
	v_add_f64 v[37:38], v[5:6], v[5:6]
	v_add_nc_u32_e32 v1, s33, v1
	v_ldexp_f64 v[69:70], v[69:70], v8
	v_fma_f64 v[83:84], v[79:80], v[83:84], s[22:23]
	s_delay_alu instid0(VALU_DEP_3)
	v_lshlrev_b64 v[53:54], 3, v[1:2]
	v_add_nc_u32_e32 v1, s33, v1
	v_fma_f64 v[87:88], v[75:76], v[87:88], s[18:19]
	v_fma_f64 v[67:68], v[67:68], v[59:60], 1.0
	v_fma_f64 v[35:36], v[23:24], s[8:9], v[25:26]
	v_fma_f64 v[93:94], v[77:78], v[63:64], s[18:19]
	v_rndne_f64_e32 v[59:60], v[65:66]
	v_fma_f64 v[65:66], v[71:72], v[89:90], s[22:23]
	v_fma_f64 v[33:34], v[61:62], v[33:34], 1.0
	v_cndmask_b32_e32 v0, 0x7ff00000, v50, vcc_lo
	s_and_b32 vcc_lo, s0, vcc_lo
	v_cndmask_b32_e32 v49, 0, v49, vcc_lo
	v_fma_f64 v[83:84], v[79:80], v[83:84], s[20:21]
	s_delay_alu instid0(VALU_DEP_3)
	v_cndmask_b32_e64 v50, 0, v0, s0
	v_cndmask_b32_e64 v8, 0x7ff00000, v70, s1
	v_cvt_i32_f64_e32 v0, v[57:58]
	global_store_b64 v[85:86], v[49:50], off
	v_add_co_u32 v49, vcc_lo, s10, v53
	v_add_co_ci_u32_e32 v50, vcc_lo, s11, v54, vcc_lo
	s_and_b32 vcc_lo, s2, s1
	s_mov_b32 s0, 0xe9b53ae0
	s_mov_b32 s1, 0xc01e8abe
	v_fma_f64 v[87:88], v[75:76], v[87:88], s[26:27]
	v_fma_f64 v[63:64], v[23:24], s[6:7], v[35:36]
	;; [unrolled: 1-line block ×3, first 2 shown]
	v_lshlrev_b64 v[37:38], 3, v[1:2]
	v_fma_f64 v[89:90], v[77:78], v[93:94], s[26:27]
	v_add_nc_u32_e32 v1, s33, v1
	v_fma_f64 v[93:94], v[71:72], v[65:66], s[20:21]
	v_fma_f64 v[33:34], v[61:62], v[33:34], 1.0
	v_fma_f64 v[61:62], v[59:60], s[8:9], v[43:44]
	v_cndmask_b32_e64 v66, 0, v8, s2
	v_cndmask_b32_e32 v65, 0, v69, vcc_lo
	v_lshlrev_b64 v[53:54], 3, v[1:2]
	v_add_nc_u32_e32 v1, s33, v1
	v_fma_f64 v[83:84], v[79:80], v[83:84], s[18:19]
	v_add_co_u32 v37, vcc_lo, s10, v37
	global_store_b64 v[20:21], v[65:66], off
	v_lshlrev_b64 v[69:70], 3, v[1:2]
	v_add_co_ci_u32_e32 v38, vcc_lo, s11, v38, vcc_lo
	v_add_co_u32 v53, vcc_lo, s10, v53
	s_mov_b32 s4, 0x10492360
	v_add_co_ci_u32_e32 v54, vcc_lo, s11, v54, vcc_lo
	s_mov_b32 s5, 0xc020dcae
	s_clause 0x2
	global_store_b64 v[81:82], v[9:10], off
	global_store_b64 v[91:92], v[11:12], off
	;; [unrolled: 1-line block ×3, first 2 shown]
	v_cmp_ngt_f64_e64 s2, 0xc090cc00, v[31:32]
	v_dual_mov_b32 v18, 0x4292309c :: v_dual_add_nc_u32 v1, s33, v1
	v_fma_f64 v[57:58], v[75:76], v[87:88], s[34:35]
	v_add_co_u32 v87, vcc_lo, s10, v69
	v_add_co_ci_u32_e32 v88, vcc_lo, s11, v70, vcc_lo
	v_fma_f64 v[20:21], v[63:64], s[16:17], s[14:15]
	v_fma_f64 v[69:70], 0x40120000, v[5:6], s[4:5]
	;; [unrolled: 1-line block ×3, first 2 shown]
	v_ldexp_f64 v[89:90], v[67:68], v16
	v_mul_f64 v[67:68], v[35:36], s[12:13]
	v_cmp_nlt_f64_e32 vcc_lo, 0x40900000, v[27:28]
	v_fma_f64 v[65:66], v[59:60], s[6:7], v[61:62]
	v_fma_f64 v[61:62], v[71:72], v[93:94], s[18:19]
	v_ldexp_f64 v[93:94], v[33:34], v0
	s_mov_b32 s5, 0x408f7377
	s_mov_b32 s4, 0x7af64064
	v_fma_f64 v[83:84], v[79:80], v[83:84], s[26:27]
	v_mov_b32_e32 v16, 0x42ad1a94
	global_store_b64 v[37:38], v[15:16], off
	v_fma_f64 v[57:58], v[75:76], v[57:58], s[36:37]
	v_fma_f64 v[20:21], v[63:64], v[20:21], s[22:23]
	;; [unrolled: 1-line block ×4, first 2 shown]
	s_mov_b32 s58, 0x85114c59
	s_mov_b32 s59, 0x40301e3b
	v_cndmask_b32_e32 v0, 0x7ff00000, v90, vcc_lo
	v_fma_f64 v[81:82], v[65:66], s[16:17], s[14:15]
	v_fma_f64 v[95:96], v[71:72], v[61:62], s[26:27]
	v_rndne_f64_e32 v[61:62], v[67:68]
	v_fma_f64 v[67:68], v[5:6], 4.0, s[0:1]
	v_cmp_ngt_f64_e64 s0, 0xc090cc00, v[27:28]
	v_fma_f64 v[69:70], v[79:80], v[83:84], s[34:35]
	v_cmp_nlt_f64_e64 s1, 0x40900000, v[31:32]
	v_fma_f64 v[57:58], v[75:76], v[57:58], s[30:31]
	v_fma_f64 v[20:21], v[63:64], v[20:21], s[20:21]
	v_mul_f64 v[91:92], v[33:34], s[12:13]
	v_fma_f64 v[83:84], v[77:78], v[85:86], s[30:31]
	v_fma_f64 v[81:82], v[65:66], v[81:82], s[22:23]
	;; [unrolled: 1-line block ×5, first 2 shown]
	s_and_b32 vcc_lo, s0, vcc_lo
	v_fma_f64 v[69:70], v[79:80], v[69:70], s[36:37]
	v_cndmask_b32_e64 v38, 0, v0, s0
	v_cndmask_b32_e32 v37, 0, v89, vcc_lo
	v_cndmask_b32_e64 v8, 0x7ff00000, v94, s1
	s_and_b32 vcc_lo, s2, s1
	s_mov_b32 s0, 0x8e7ddca5
	s_mov_b32 s1, 0x405fdb8f
	v_cvt_i32_f64_e32 v0, v[41:42]
	v_cndmask_b32_e64 v90, 0, v8, s2
	v_cndmask_b32_e32 v89, 0, v93, vcc_lo
	s_mov_b32 s5, 0xc08f7377
	v_fma_f64 v[57:58], v[75:76], v[57:58], s[28:29]
	v_fma_f64 v[95:96], v[63:64], v[20:21], s[18:19]
	v_fma_f64 v[19:20], v[5:6], 2.0, s[58:59]
	v_fma_f64 v[31:32], v[77:78], v[83:84], s[28:29]
	v_rndne_f64_e32 v[67:68], v[91:92]
	v_dual_mov_b32 v21, s72 :: v_dual_mov_b32 v22, s73
	v_fma_f64 v[81:82], v[65:66], v[81:82], s[20:21]
	v_fma_f64 v[83:84], v[71:72], v[85:86], s[36:37]
	s_mov_b32 s58, 0x9ae924f2
	s_mov_b32 s59, 0xc0a79699
	global_store_b64 v[53:54], v[21:22], off
	v_fma_f64 v[85:86], v[79:80], v[69:70], s[30:31]
	v_fma_f64 v[69:70], v[61:62], s[6:7], v[27:28]
	global_store_b64 v[87:88], v[17:18], off
	v_lshlrev_b64 v[27:28], 3, v[1:2]
	v_add_nc_u32_e32 v1, s33, v1
	v_cvt_i32_f64_e32 v18, v[73:74]
	s_delay_alu instid0(VALU_DEP_3) | instskip(NEXT) | instid1(VALU_DEP_1)
	v_add_co_u32 v27, s3, s10, v27
	v_add_co_ci_u32_e64 v28, s3, s11, v28, s3
	s_delay_alu instid0(VALU_DEP_4) | instskip(SKIP_3) | instid1(VALU_DEP_1)
	v_lshlrev_b64 v[16:17], 3, v[1:2]
	v_add_nc_u32_e32 v1, s33, v1
	global_store_b64 v[27:28], v[37:38], off
	v_add_co_u32 v16, s3, s10, v16
	v_add_co_ci_u32_e64 v17, s3, s11, v17, s3
	v_fma_f64 v[53:54], v[75:76], v[57:58], 1.0
	v_mul_f64 v[57:58], v[49:50], s[12:13]
	s_mov_b32 s2, 0xf8104776
	global_store_b64 v[16:17], v[89:90], off
	v_fma_f64 v[87:88], v[63:64], v[95:96], s[26:27]
	v_fma_f64 v[37:38], v[3:4], s[58:59], v[19:20]
	v_fma_f64 v[31:32], v[77:78], v[31:32], 1.0
	v_fma_f64 v[27:28], v[67:68], s[8:9], v[33:34]
	v_lshlrev_b64 v[16:17], 3, v[1:2]
	v_add_nc_u32_e32 v1, s33, v1
	v_fma_f64 v[81:82], v[65:66], v[81:82], s[18:19]
	v_fma_f64 v[83:84], v[71:72], v[83:84], s[30:31]
	s_mov_b32 s3, 0x4040b70d
	s_delay_alu instid0(VALU_DEP_3)
	v_lshlrev_b64 v[89:90], 3, v[1:2]
	v_fma_f64 v[85:86], v[79:80], v[85:86], s[28:29]
	v_fma_f64 v[91:92], v[69:70], s[16:17], s[14:15]
	v_add_co_u32 v16, vcc_lo, s10, v16
	v_add_co_ci_u32_e32 v17, vcc_lo, s11, v17, vcc_lo
	v_add_nc_u32_e32 v1, s33, v1
	v_fma_f64 v[41:42], v[75:76], v[53:54], 1.0
	v_rndne_f64_e32 v[75:76], v[57:58]
	v_fma_f64 v[53:54], v[63:64], v[87:88], s[34:35]
	v_add_co_u32 v87, vcc_lo, s10, v89
	v_add_co_ci_u32_e32 v88, vcc_lo, s11, v90, vcc_lo
	v_fma_f64 v[31:32], v[77:78], v[31:32], 1.0
	v_fma_f64 v[89:90], v[65:66], v[81:82], s[26:27]
	v_fma_f64 v[57:58], v[71:72], v[83:84], s[28:29]
	;; [unrolled: 1-line block ×3, first 2 shown]
	v_mul_f64 v[77:78], v[37:38], s[12:13]
	v_fma_f64 v[81:82], v[67:68], s[6:7], v[27:28]
	v_fma_f64 v[85:86], v[79:80], v[85:86], 1.0
	v_fma_f64 v[27:28], v[69:70], v[91:92], s[22:23]
	s_mov_b32 s0, 0x9db22d0e
	s_mov_b32 s1, 0xc0d18efb
	v_cmp_nlt_f64_e32 vcc_lo, 0x40900000, v[51:52]
	s_mov_b32 s57, 0xc006a3d7
	v_ldexp_f64 v[91:92], v[41:42], v0
	v_fma_f64 v[93:94], v[75:76], s[8:9], v[49:50]
	v_cvt_i32_f64_e32 v0, v[55:56]
	v_fma_f64 v[53:54], v[63:64], v[53:54], s[36:37]
	v_fma_f64 v[89:90], v[65:66], v[89:90], s[34:35]
	v_fma_f64 v[95:96], v[71:72], v[57:58], 1.0
	v_fma_f64 v[41:42], v[3:4], s[0:1], v[83:84]
	v_rndne_f64_e32 v[57:58], v[77:78]
	v_cmp_ngt_f64_e64 s0, 0xc090cc00, v[51:52]
	v_fma_f64 v[77:78], v[79:80], v[85:86], 1.0
	v_fma_f64 v[27:28], v[69:70], v[27:28], s[20:21]
	v_fma_f64 v[79:80], v[81:82], s[16:17], s[14:15]
	v_cndmask_b32_e32 v8, 0x7ff00000, v92, vcc_lo
	v_fma_f64 v[83:84], v[75:76], s[6:7], v[93:94]
	v_fma_f64 v[53:54], v[63:64], v[53:54], s[30:31]
	;; [unrolled: 1-line block ×3, first 2 shown]
	v_fma_f64 v[55:56], v[71:72], v[95:96], 1.0
	v_mul_f64 v[71:72], v[41:42], s[12:13]
	v_fma_f64 v[51:52], v[57:58], s[8:9], v[37:38]
	s_and_b32 vcc_lo, s0, vcc_lo
	v_ldexp_f64 v[73:74], v[77:78], v0
	v_fma_f64 v[27:28], v[69:70], v[27:28], s[18:19]
	v_fma_f64 v[79:80], v[81:82], v[79:80], s[22:23]
	v_cvt_i32_f64_e32 v0, v[47:48]
	v_fma_f64 v[89:90], v[83:84], s[16:17], s[14:15]
	v_fma_f64 v[92:93], v[63:64], v[53:54], s[28:29]
	v_rndne_f64_e32 v[53:54], v[71:72]
	v_fma_f64 v[71:72], v[65:66], v[85:86], s[30:31]
	v_fma_f64 v[77:78], v[57:58], s[6:7], v[51:52]
	v_cndmask_b32_e64 v52, 0, v8, s0
	v_fma_f64 v[27:28], v[69:70], v[27:28], s[26:27]
	v_fma_f64 v[47:48], v[81:82], v[79:80], s[20:21]
	;; [unrolled: 1-line block ×3, first 2 shown]
	v_cndmask_b32_e32 v51, 0, v91, vcc_lo
	v_ldexp_f64 v[85:86], v[55:56], v18
	v_cmp_nlt_f64_e32 vcc_lo, 0x40900000, v[45:46]
	v_cmp_ngt_f64_e64 s0, 0xc090cc00, v[45:46]
	v_lshlrev_b64 v[45:46], 3, v[1:2]
	global_store_b64 v[16:17], v[51:52], off
	s_mov_b32 s2, 0x77af6406
	s_mov_b32 s3, 0xc0b0b557
	v_mov_b32_e32 v17, s64
	v_add_nc_u32_e32 v1, s33, v1
	v_add_co_u32 v45, s1, s10, v45
	s_delay_alu instid0(VALU_DEP_1)
	v_add_co_ci_u32_e64 v46, s1, s11, v46, s1
	v_cmp_nlt_f64_e64 s1, 0x40900000, v[39:40]
	v_mov_b32_e32 v18, s65
	v_cvt_i32_f64_e32 v16, v[23:24]
	s_mov_b32 s65, 0x429b48eb
	s_mov_b32 s43, 0x3ffeb851
	v_fma_f64 v[55:56], v[83:84], v[89:90], s[22:23]
	v_fma_f64 v[89:90], v[63:64], v[92:93], 1.0
	v_ldexp_f64 v[93:94], v[31:32], v0
	v_fma_f64 v[51:52], v[53:54], s[8:9], v[41:42]
	v_fma_f64 v[71:72], v[65:66], v[71:72], s[28:29]
	v_fma_f64 v[91:92], v[77:78], s[16:17], s[14:15]
	v_fma_f64 v[27:28], v[69:70], v[27:28], s[34:35]
	v_fma_f64 v[47:48], v[81:82], v[47:48], s[18:19]
	v_fma_f64 v[31:32], v[3:4], s[2:3], v[79:80]
	v_cmp_ngt_f64_e64 s2, 0xc090cc00, v[39:40]
	v_fma_f64 v[39:40], v[5:6], s[48:49], s[76:77]
	v_cndmask_b32_e32 v8, 0x7ff00000, v74, vcc_lo
	s_and_b32 vcc_lo, s0, vcc_lo
	s_mov_b32 s76, 0x8216c615
	v_cndmask_b32_e32 v23, 0, v73, vcc_lo
	v_lshlrev_b64 v[73:74], 3, v[1:2]
	v_cndmask_b32_e64 v24, 0, v8, s0
	v_cmp_nlt_f64_e32 vcc_lo, 0x40900000, v[29:30]
	v_cmp_ngt_f64_e64 s0, 0xc090cc00, v[29:30]
	s_mov_b32 s77, 0xc095269c
	v_add_nc_u32_e32 v1, s82, v1
	s_clause 0x1
	global_store_b64 v[87:88], v[23:24], off
	global_store_b64 v[45:46], v[17:18], off
	v_cndmask_b32_e64 v0, 0x7ff00000, v86, s1
	v_cvt_i32_f64_e32 v8, v[59:60]
	v_lshlrev_b64 v[23:24], 3, v[1:2]
	v_add_nc_u32_e32 v1, s33, v1
	s_mov_b32 s49, 0x3ffee147
	v_fma_f64 v[79:80], v[83:84], v[55:56], s[20:21]
	v_fma_f64 v[63:64], v[63:64], v[89:90], 1.0
	v_fma_f64 v[55:56], v[53:54], s[6:7], v[51:52]
	v_fma_f64 v[51:52], v[65:66], v[71:72], 1.0
	v_fma_f64 v[45:46], v[77:78], v[91:92], s[22:23]
	v_fma_f64 v[86:87], v[69:70], v[27:28], s[36:37]
	v_fma_f64 v[47:48], v[81:82], v[47:48], s[26:27]
	v_mul_f64 v[88:89], v[31:32], s[12:13]
	s_and_b32 s1, s2, s1
	v_cndmask_b32_e64 v72, 0, v0, s2
	v_cndmask_b32_e64 v71, 0, v85, s1
	v_add_co_u32 v29, s1, s10, v73
	s_delay_alu instid0(VALU_DEP_1)
	v_add_co_ci_u32_e64 v30, s1, s11, v74, s1
	v_fma_f64 v[27:28], v[3:4], s[76:77], v[39:40]
	v_lshlrev_b64 v[39:40], 3, v[1:2]
	v_add_co_u32 v73, s1, s10, v23
	global_store_b64 v[29:30], v[71:72], off
	v_add_nc_u32_e32 v1, s33, v1
	v_add_co_ci_u32_e64 v74, s1, s11, v24, s1
	v_add_co_u32 v39, s1, s10, v39
	v_dual_mov_b32 v23, s70 :: v_dual_mov_b32 v24, s71
	v_add_co_ci_u32_e64 v40, s1, s11, v40, s1
	v_fma_f64 v[79:80], v[83:84], v[79:80], s[18:19]
	v_lshlrev_b64 v[71:72], 3, v[1:2]
	v_add_nc_u32_e32 v1, s33, v1
	s_clause 0x1
	global_store_b64 v[73:74], v[23:24], off
	global_store_b64 v[39:40], v[23:24], off
	v_cndmask_b32_e32 v0, 0x7ff00000, v94, vcc_lo
	s_and_b32 vcc_lo, s0, vcc_lo
	v_ldexp_f64 v[90:91], v[63:64], v16
	s_mov_b32 s2, 0x712a0ec7
	s_mov_b32 s3, 0xc0853abd
	;; [unrolled: 1-line block ×3, first 2 shown]
	v_fma_f64 v[29:30], v[55:56], s[16:17], s[14:15]
	v_fma_f64 v[39:40], v[65:66], v[51:52], 1.0
	v_fma_f64 v[51:52], v[77:78], v[45:46], s[20:21]
	v_cndmask_b32_e32 v65, 0, v93, vcc_lo
	v_fma_f64 v[59:60], v[69:70], v[86:87], s[30:31]
	v_lshlrev_b64 v[85:86], 3, v[1:2]
	v_add_co_u32 v71, vcc_lo, s10, v71
	v_add_co_ci_u32_e32 v72, vcc_lo, s11, v72, vcc_lo
	v_fma_f64 v[47:48], v[81:82], v[47:48], s[34:35]
	s_delay_alu instid0(VALU_DEP_4)
	v_add_co_u32 v85, vcc_lo, s10, v85
	v_rndne_f64_e32 v[63:64], v[88:89]
	v_mul_f64 v[73:74], v[27:28], s[12:13]
	v_mul_f64 v[45:46], v[3:4], s[4:5]
	v_add_co_ci_u32_e32 v86, vcc_lo, s11, v86, vcc_lo
	v_cndmask_b32_e64 v66, 0, v0, s0
	v_cmp_nlt_f64_e32 vcc_lo, 0x40900000, v[25:26]
	v_cmp_ngt_f64_e64 s0, 0xc090cc00, v[25:26]
	v_add_nc_u32_e32 v1, s33, v1
	s_clause 0x1
	global_store_b64 v[71:72], v[65:66], off
	global_store_b64 v[85:86], v[9:10], off
	s_mov_b32 s70, 0x147ae148
	v_cvt_i32_f64_e32 v16, v[75:76]
	v_lshlrev_b64 v[87:88], 3, v[1:2]
	v_add_nc_u32_e32 v1, s33, v1
	v_fma_f64 v[79:80], v[83:84], v[79:80], s[26:27]
	s_mov_b32 s4, 0x9924ff9
	s_mov_b32 s5, 0x403a6d53
	s_delay_alu instid0(VALU_DEP_2)
	v_lshlrev_b64 v[65:66], 3, v[1:2]
	v_add_nc_u32_e32 v1, s33, v1
	v_fma_f64 v[25:26], v[55:56], v[29:30], s[22:23]
	v_add_co_u32 v29, s1, s10, v87
	v_fma_f64 v[51:52], v[77:78], v[51:52], s[18:19]
	v_add_co_ci_u32_e64 v30, s1, s11, v88, s1
	v_ldexp_f64 v[71:72], v[39:40], v8
	v_fma_f64 v[39:40], v[69:70], v[59:60], s[28:29]
	v_add_co_u32 v59, s1, s10, v65
	s_delay_alu instid0(VALU_DEP_1)
	v_add_co_ci_u32_e64 v60, s1, s11, v66, s1
	v_fma_f64 v[85:86], v[81:82], v[47:48], s[36:37]
	v_fma_f64 v[87:88], v[63:64], s[8:9], v[31:32]
	v_rndne_f64_e32 v[65:66], v[73:74]
	v_fma_f64 v[47:48], v[3:4], s[2:3], s[54:55]
	v_mul_f64 v[73:74], v[45:46], s[12:13]
	s_clause 0x1
	global_store_b64 v[29:30], v[13:14], off
	global_store_b64 v[59:60], v[21:22], off
	v_lshlrev_b64 v[59:60], 3, v[1:2]
	v_cndmask_b32_e32 v0, 0x7ff00000, v91, vcc_lo
	s_and_b32 vcc_lo, s0, vcc_lo
	v_add_nc_u32_e32 v1, s33, v1
	v_cndmask_b32_e32 v29, 0, v90, vcc_lo
	v_cmp_nlt_f64_e32 vcc_lo, 0x40900000, v[43:44]
	v_cndmask_b32_e64 v30, 0, v0, s0
	v_cmp_ngt_f64_e64 s0, 0xc090cc00, v[43:44]
	v_add_co_u32 v59, s1, s10, v59
	v_fma_f64 v[91:92], v[83:84], v[79:80], s[34:35]
	v_add_co_ci_u32_e64 v60, s1, s11, v60, s1
	v_cvt_i32_f64_e32 v8, v[67:68]
	v_cmp_ngt_f64_e64 s2, 0xc090cc00, v[49:50]
	s_mov_b32 s54, 0xa3d70a3d
	global_store_b64 v[59:60], v[29:30], off
	s_mov_b32 s55, 0xbff63d70
	v_cmp_nlt_f64_e64 s3, 0x40900000, v[37:38]
	v_fma_f64 v[25:26], v[55:56], v[25:26], s[20:21]
	v_fma_f64 v[51:52], v[77:78], v[51:52], s[26:27]
	v_fma_f64 v[43:44], v[69:70], v[39:40], 1.0
	v_fma_f64 v[85:86], v[81:82], v[85:86], s[30:31]
	v_fma_f64 v[79:80], v[63:64], s[6:7], v[87:88]
	;; [unrolled: 1-line block ×3, first 2 shown]
	v_mul_f64 v[89:90], v[47:48], s[12:13]
	v_rndne_f64_e32 v[39:40], v[73:74]
	v_cndmask_b32_e32 v0, 0x7ff00000, v72, vcc_lo
	s_and_b32 vcc_lo, s0, vcc_lo
	v_cndmask_b32_e32 v29, 0, v71, vcc_lo
	v_fma_f64 v[72:73], v[83:84], v[91:92], s[36:37]
	v_lshlrev_b64 v[91:92], 3, v[1:2]
	v_cndmask_b32_e64 v30, 0, v0, s0
	v_cvt_i32_f64_e32 v0, v[61:62]
	s_mov_b32 s0, 0x63073655
	s_mov_b32 s1, 0x403d6f9f
	v_add_nc_u32_e32 v1, s33, v1
	v_fma_f64 v[25:26], v[55:56], v[25:26], s[18:19]
	v_fma_f64 v[51:52], v[77:78], v[51:52], s[34:35]
	v_fma_f64 v[43:44], v[69:70], v[43:44], 1.0
	v_fma_f64 v[61:62], v[81:82], v[85:86], s[28:29]
	v_fma_f64 v[85:86], v[79:80], s[16:17], s[14:15]
	;; [unrolled: 1-line block ×3, first 2 shown]
	v_rndne_f64_e32 v[59:60], v[89:90]
	v_fma_f64 v[87:88], v[39:40], s[8:9], v[45:46]
	v_add_co_u32 v89, vcc_lo, s10, v91
	v_add_co_ci_u32_e32 v90, vcc_lo, s11, v92, vcc_lo
	v_fma_f64 v[91:92], v[5:6], s[70:71], s[0:1]
	s_mov_b32 s0, 0x4399b2c4
	s_mov_b32 s1, 0xc0619cd2
	global_store_b64 v[89:90], v[29:30], off
	v_cmp_nlt_f64_e32 vcc_lo, 0x40900000, v[35:36]
	s_mov_b32 s71, 0x3ffd47ae
	v_fma_f64 v[73:74], v[83:84], v[72:73], s[30:31]
	v_fma_f64 v[25:26], v[55:56], v[25:26], s[26:27]
	;; [unrolled: 1-line block ×3, first 2 shown]
	v_ldexp_f64 v[29:30], v[43:44], v0
	v_fma_f64 v[61:62], v[81:82], v[61:62], 1.0
	v_fma_f64 v[85:86], v[79:80], v[85:86], s[22:23]
	v_fma_f64 v[89:90], v[69:70], s[16:17], s[14:15]
	v_fma_f64 v[93:94], v[59:60], s[8:9], v[47:48]
	v_fma_f64 v[71:72], v[39:40], s[6:7], v[87:88]
	v_fma_f64 v[43:44], v[3:4], s[0:1], v[91:92]
	v_cmp_ngt_f64_e64 s0, 0xc090cc00, v[35:36]
	v_fma_f64 v[87:88], v[83:84], v[73:74], s[28:29]
	v_fma_f64 v[25:26], v[55:56], v[25:26], s[34:35]
	;; [unrolled: 1-line block ×3, first 2 shown]
	v_cndmask_b32_e32 v0, 0x7ff00000, v30, vcc_lo
	v_fma_f64 v[61:62], v[81:82], v[61:62], 1.0
	v_fma_f64 v[81:82], v[79:80], v[85:86], s[20:21]
	v_fma_f64 v[85:86], v[69:70], v[89:90], s[22:23]
	;; [unrolled: 1-line block ×4, first 2 shown]
	v_mul_f64 v[35:36], v[43:44], s[12:13]
	v_cndmask_b32_e64 v30, 0, v0, s0
	s_and_b32 vcc_lo, s0, vcc_lo
	s_mov_b32 s0, 0x652a2644
	s_mov_b32 s1, 0x402c3763
	v_cndmask_b32_e32 v29, 0, v29, vcc_lo
	v_cvt_i32_f64_e32 v0, v[57:58]
	v_fma_f64 v[87:88], v[83:84], v[87:88], 1.0
	v_fma_f64 v[25:26], v[55:56], v[25:26], s[36:37]
	v_fma_f64 v[91:92], v[77:78], v[51:52], s[28:29]
	;; [unrolled: 1-line block ×6, first 2 shown]
	v_rndne_f64_e32 v[51:52], v[35:36]
	v_fma_f64 v[35:36], v[83:84], v[87:88], 1.0
	v_ldexp_f64 v[87:88], v[61:62], v8
	v_lshlrev_b64 v[83:84], 3, v[1:2]
	v_add_nc_u32_e32 v1, s33, v1
	s_delay_alu instid0(VALU_DEP_2) | instskip(SKIP_1) | instid1(VALU_DEP_4)
	v_add_co_u32 v83, vcc_lo, s10, v83
	v_fma_f64 v[25:26], v[55:56], v[25:26], s[30:31]
	v_add_co_ci_u32_e32 v84, vcc_lo, s11, v84, vcc_lo
	v_fma_f64 v[75:76], v[77:78], v[91:92], 1.0
	v_fma_f64 v[61:62], v[79:80], v[67:68], s[26:27]
	v_fma_f64 v[67:68], v[69:70], v[81:82], s[18:19]
	;; [unrolled: 1-line block ×5, first 2 shown]
	v_ldexp_f64 v[91:92], v[35:36], v16
	v_fma_f64 v[35:36], v[5:6], s[74:75], s[0:1]
	s_mov_b32 s0, 0x590c0ad0
	s_mov_b32 s1, 0x40681ddd
	;; [unrolled: 1-line block ×4, first 2 shown]
	v_fma_f64 v[93:94], v[55:56], v[25:26], s[28:29]
	v_fma_f64 v[75:76], v[77:78], v[75:76], 1.0
	v_mul_f64 v[77:78], 0x416f20c0, v[29:30]
	v_fma_f64 v[57:58], v[79:80], v[61:62], s[34:35]
	v_fma_f64 v[67:68], v[69:70], v[67:68], s[26:27]
	;; [unrolled: 1-line block ×6, first 2 shown]
	v_cmp_nlt_f64_e64 s1, 0x40900000, v[49:50]
	v_cmp_ngt_f64_e64 s0, 0xc090cc00, v[33:34]
	v_fma_f64 v[35:36], v[55:56], v[93:94], 1.0
	v_ldexp_f64 v[49:50], v[75:76], v0
	global_store_b64 v[83:84], v[77:78], off
	v_lshlrev_b64 v[77:78], 3, v[1:2]
	v_cvt_i32_f64_e32 v0, v[53:54]
	v_add_nc_u32_e32 v1, s33, v1
	s_delay_alu instid0(VALU_DEP_3) | instskip(NEXT) | instid1(VALU_DEP_4)
	v_add_co_u32 v77, vcc_lo, s10, v77
	v_add_co_ci_u32_e32 v78, vcc_lo, s11, v78, vcc_lo
	v_cmp_nlt_f64_e32 vcc_lo, 0x40900000, v[33:34]
	v_fma_f64 v[75:76], v[71:72], v[85:86], s[26:27]
	v_fma_f64 v[85:86], v[5:6], s[74:75], s[4:5]
	s_mov_b32 s4, 0x8be57bf0
	s_mov_b32 s5, 0x40432f07
	v_fma_f64 v[33:34], v[79:80], v[57:58], s[36:37]
	v_fma_f64 v[57:58], v[69:70], v[67:68], s[34:35]
	;; [unrolled: 1-line block ×4, first 2 shown]
	s_mov_b32 s75, 0x3ffe8f5c
	v_mul_f64 v[83:84], v[25:26], s[12:13]
	v_cndmask_b32_e64 v16, 0x7ff00000, v92, s1
	s_delay_alu instid0(VALU_DEP_1)
	v_cndmask_b32_e64 v90, 0, v16, s2
	v_cvt_i32_f64_e32 v16, v[59:60]
	v_fma_f64 v[55:56], v[55:56], v[35:36], 1.0
	v_fma_f64 v[35:36], v[5:6], s[54:55], s[4:5]
	s_mov_b32 s4, 0x87c07e35
	s_mov_b32 s5, 0xc016243b
	v_cndmask_b32_e64 v50, 0x7ff00000, v50, s3
	s_mov_b32 s55, 0x4072beac
	s_mov_b32 s54, 0x94b380cb
	v_cndmask_b32_e32 v8, 0x7ff00000, v88, vcc_lo
	v_mul_f64 v[88:89], 0x414f20c0, v[29:30]
	v_fma_f64 v[29:30], v[3:4], s[4:5], v[85:86]
	s_mov_b32 s4, 0x395c4220
	s_mov_b32 s5, 0xc07fc3fb
	v_fma_f64 v[53:54], v[79:80], v[33:34], s[30:31]
	v_fma_f64 v[57:58], v[69:70], v[57:58], s[36:37]
	;; [unrolled: 1-line block ×5, first 2 shown]
	s_and_b32 vcc_lo, s0, vcc_lo
	v_rndne_f64_e32 v[33:34], v[83:84]
	v_fma_f64 v[35:36], v[3:4], s[4:5], v[35:36]
	v_cmp_ngt_f64_e64 s4, 0xc090cc00, v[37:38]
	v_cndmask_b32_e32 v37, 0, v87, vcc_lo
	v_cndmask_b32_e64 v38, 0, v8, s0
	v_cmp_ngt_f64_e64 s0, 0xc090cc00, v[41:42]
	global_store_b64 v[77:78], v[88:89], off
	v_ldexp_f64 v[77:78], v[55:56], v0
	v_lshlrev_b64 v[55:56], 3, v[1:2]
	v_add_nc_u32_e32 v1, s33, v1
	v_fma_f64 v[53:54], v[79:80], v[53:54], s[28:29]
	v_fma_f64 v[57:58], v[69:70], v[57:58], s[30:31]
	v_fma_f64 v[67:68], v[73:74], v[67:68], s[34:35]
	v_fma_f64 v[75:76], v[71:72], v[75:76], s[36:37]
	v_add_co_u32 v55, vcc_lo, s10, v55
	v_add_co_ci_u32_e32 v56, vcc_lo, s11, v56, vcc_lo
	v_fma_f64 v[81:82], v[61:62], v[81:82], s[20:21]
	v_fma_f64 v[83:84], v[33:34], s[8:9], v[25:26]
	v_mul_f64 v[85:86], v[29:30], s[12:13]
	global_store_b64 v[55:56], v[37:38], off
	v_lshlrev_b64 v[37:38], 3, v[1:2]
	v_add_nc_u32_e32 v1, s33, v1
	s_and_b32 vcc_lo, s2, s1
	v_cndmask_b32_e32 v89, 0, v91, vcc_lo
	s_delay_alu instid0(VALU_DEP_2)
	v_lshlrev_b64 v[55:56], 3, v[1:2]
	v_mul_f64 v[87:88], v[35:36], s[12:13]
	v_add_co_u32 v37, vcc_lo, s10, v37
	v_add_co_ci_u32_e32 v38, vcc_lo, s11, v38, vcc_lo
	s_and_b32 vcc_lo, s4, s3
	s_mov_b32 s2, 0xa9c205c9
	v_cndmask_b32_e32 v49, 0, v49, vcc_lo
	v_add_co_u32 v91, vcc_lo, s10, v55
	v_add_co_ci_u32_e32 v92, vcc_lo, s11, v56, vcc_lo
	v_cmp_nlt_f64_e32 vcc_lo, 0x40900000, v[41:42]
	s_mov_b32 s3, 0x4037376a
	global_store_b64 v[37:38], v[89:90], off
	v_fma_f64 v[41:42], v[3:4], s[54:55], s[2:3]
	v_cndmask_b32_e64 v50, 0, v50, s4
	v_add_nc_u32_e32 v1, s33, v1
	s_mov_b32 s2, 0x7bb2fec5
	v_fma_f64 v[93:94], v[79:80], v[53:54], 1.0
	v_fma_f64 v[95:96], v[69:70], v[57:58], s[28:29]
	v_fma_f64 v[67:68], v[73:74], v[67:68], s[36:37]
	v_fma_f64 v[75:76], v[71:72], v[75:76], s[30:31]
	global_store_b64 v[91:92], v[49:50], off
	v_lshlrev_b64 v[49:50], 3, v[1:2]
	v_add_nc_u32_e32 v1, s33, v1
	s_mov_b32 s4, 0x95810625
	v_fma_f64 v[81:82], v[61:62], v[81:82], s[18:19]
	v_fma_f64 v[53:54], v[33:34], s[6:7], v[83:84]
	v_rndne_f64_e32 v[55:56], v[85:86]
	s_mov_b32 s3, 0x40581d72
	s_mov_b32 s5, 0xc0224b43
	;; [unrolled: 1-line block ×3, first 2 shown]
	v_rndne_f64_e32 v[57:58], v[87:88]
	v_cndmask_b32_e32 v0, 0x7ff00000, v78, vcc_lo
	s_and_b32 vcc_lo, s0, vcc_lo
	v_cndmask_b32_e32 v37, 0, v77, vcc_lo
	v_mul_f64 v[87:88], v[41:42], s[12:13]
	s_delay_alu instid0(VALU_DEP_3)
	v_cndmask_b32_e64 v38, 0, v0, s0
	v_cvt_i32_f64_e32 v0, v[63:64]
	v_fma_f64 v[77:78], v[79:80], v[93:94], 1.0
	v_fma_f64 v[63:64], v[69:70], v[95:96], 1.0
	s_mov_b32 s0, 0xe113abae
	s_mov_b32 s1, 0x404bd570
	v_fma_f64 v[67:68], v[73:74], v[67:68], s[30:31]
	v_fma_f64 v[75:76], v[71:72], v[75:76], s[28:29]
	;; [unrolled: 1-line block ×3, first 2 shown]
	v_add_co_u32 v49, vcc_lo, s10, v49
	v_fma_f64 v[79:80], v[61:62], v[81:82], s[26:27]
	v_fma_f64 v[81:82], v[53:54], s[16:17], s[14:15]
	v_fma_f64 v[83:84], v[55:56], s[8:9], v[29:30]
	v_add_co_ci_u32_e32 v50, vcc_lo, s11, v50, vcc_lo
	s_mov_b32 s0, 0xa75cd0bb
	s_mov_b32 s1, 0xc0c24c71
	global_store_b64 v[49:50], v[37:38], off
	v_lshlrev_b64 v[37:38], 3, v[1:2]
	v_fma_f64 v[85:86], v[57:58], s[8:9], v[35:36]
	v_add_nc_u32_e32 v1, s33, v1
	s_delay_alu instid0(VALU_DEP_3) | instskip(NEXT) | instid1(VALU_DEP_2)
	v_add_co_u32 v37, vcc_lo, s10, v37
	v_lshlrev_b64 v[91:92], 3, v[1:2]
	v_add_nc_u32_e32 v1, s33, v1
	v_add_co_ci_u32_e32 v38, vcc_lo, s11, v38, vcc_lo
	v_ldexp_f64 v[77:78], v[77:78], v0
	v_fma_f64 v[93:94], v[69:70], v[63:64], 1.0
	v_cvt_i32_f64_e32 v0, v[65:66]
	v_rndne_f64_e32 v[65:66], v[87:88]
	v_lshlrev_b64 v[87:88], 3, v[1:2]
	v_add_nc_u32_e32 v1, s33, v1
	v_fma_f64 v[67:68], v[73:74], v[67:68], s[28:29]
	v_fma_f64 v[75:76], v[71:72], v[75:76], 1.0
	v_fma_f64 v[49:50], v[3:4], s[0:1], v[89:90]
	v_fma_f64 v[79:80], v[61:62], v[79:80], s[34:35]
	;; [unrolled: 1-line block ×5, first 2 shown]
	s_mov_b32 s2, 0x2617c1be
	s_mov_b32 s3, 0xc0d70c37
	v_cmp_ngt_f64_e64 s0, 0xc090cc00, v[31:32]
	v_cmp_nlt_f64_e64 s1, 0x40900000, v[27:28]
	v_cmp_ngt_f64_e64 s4, 0xc090cc00, v[47:48]
	v_fma_f64 v[63:64], v[57:58], s[6:7], v[85:86]
	v_add_co_u32 v85, vcc_lo, s10, v91
	v_add_co_ci_u32_e32 v86, vcc_lo, s11, v92, vcc_lo
	s_clause 0x1
	global_store_b64 v[37:38], v[23:24], off
	global_store_b64 v[85:86], v[23:24], off
	v_lshlrev_b64 v[37:38], 3, v[1:2]
	v_add_co_u32 v85, vcc_lo, s10, v87
	v_add_co_ci_u32_e32 v86, vcc_lo, s11, v88, vcc_lo
	v_add_nc_u32_e32 v1, s33, v1
	s_delay_alu instid0(VALU_DEP_4)
	v_add_co_u32 v87, vcc_lo, s10, v37
	v_add_co_ci_u32_e32 v88, vcc_lo, s11, v38, vcc_lo
	v_cmp_nlt_f64_e32 vcc_lo, 0x40900000, v[31:32]
	global_store_b64 v[85:86], v[11:12], off
	v_ldexp_f64 v[89:90], v[93:94], v0
	v_cvt_i32_f64_e32 v0, v[39:40]
	global_store_b64 v[87:88], v[21:22], off
	v_fma_f64 v[31:32], v[73:74], v[67:68], 1.0
	v_fma_f64 v[37:38], v[71:72], v[75:76], 1.0
	v_mul_f64 v[91:92], v[49:50], s[12:13]
	v_fma_f64 v[67:68], v[61:62], v[79:80], s[36:37]
	v_fma_f64 v[71:72], v[53:54], v[81:82], s[20:21]
	;; [unrolled: 1-line block ×5, first 2 shown]
	v_cmp_ngt_f64_e64 s2, 0xc090cc00, v[27:28]
	v_cndmask_b32_e32 v8, 0x7ff00000, v78, vcc_lo
	v_fma_f64 v[78:79], v[63:64], s[16:17], s[14:15]
	s_and_b32 vcc_lo, s0, vcc_lo
	v_cndmask_b32_e32 v27, 0, v77, vcc_lo
	s_delay_alu instid0(VALU_DEP_3)
	v_cndmask_b32_e64 v28, 0, v8, s0
	v_cmp_nlt_f64_e32 vcc_lo, 0x40900000, v[45:46]
	v_fma_f64 v[73:74], v[73:74], v[31:32], 1.0
	v_ldexp_f64 v[82:83], v[37:38], v0
	v_rndne_f64_e32 v[31:32], v[91:92]
	v_fma_f64 v[59:60], v[61:62], v[67:68], s[30:31]
	v_fma_f64 v[67:68], v[53:54], v[71:72], s[18:19]
	;; [unrolled: 1-line block ×4, first 2 shown]
	v_mul_f64 v[80:81], v[39:40], s[12:13]
	v_mul_f64 v[37:38], v[3:4], s[52:53]
	v_cndmask_b32_e64 v0, 0x7ff00000, v90, s1
	v_lshlrev_b64 v[90:91], 3, v[1:2]
	v_cmp_ngt_f64_e64 s0, 0xc090cc00, v[45:46]
	s_mov_b32 s52, 0xe22d8722
	s_mov_b32 s53, 0x403db5e0
	v_add_nc_u32_e32 v1, s82, v1
	s_and_b32 s1, s2, s1
	v_add_co_u32 v45, s3, s10, v90
	s_delay_alu instid0(VALU_DEP_1)
	v_add_co_ci_u32_e64 v46, s3, s11, v91, s3
	v_cmp_nlt_f64_e64 s3, 0x40900000, v[47:48]
	global_store_b64 v[45:46], v[27:28], off
	v_fma_f64 v[27:28], v[5:6], s[44:45], s[52:53]
	v_lshlrev_b64 v[45:46], 3, v[1:2]
	v_add_nc_u32_e32 v1, s82, v1
	s_mov_b32 s44, 0x290fc3c2
	s_mov_b32 s45, 0x402e3161
	v_fma_f64 v[78:79], v[63:64], v[78:79], s[22:23]
	v_ldexp_f64 v[73:74], v[73:74], v16
	v_cndmask_b32_e32 v8, 0x7ff00000, v83, vcc_lo
	v_fma_f64 v[86:87], v[31:32], s[8:9], v[49:50]
	v_fma_f64 v[11:12], v[61:62], v[59:60], s[28:29]
	;; [unrolled: 1-line block ×5, first 2 shown]
	v_rndne_f64_e32 v[67:68], v[80:81]
	v_mul_f64 v[80:81], v[37:38], s[12:13]
	s_and_b32 vcc_lo, s0, vcc_lo
	v_fma_f64 v[78:79], v[63:64], v[78:79], s[20:21]
	v_cndmask_b32_e64 v16, 0x7ff00000, v74, s3
	v_fma_f64 v[47:48], v[31:32], s[6:7], v[86:87]
	v_fma_f64 v[90:91], v[61:62], v[11:12], 1.0
	v_fma_f64 v[59:60], v[53:54], v[59:60], s[34:35]
	v_fma_f64 v[74:75], v[69:70], v[75:76], s[18:19]
	v_cndmask_b32_e64 v86, 0, v8, s0
	v_cvt_i32_f64_e32 v8, v[51:52]
	v_rndne_f64_e32 v[11:12], v[80:81]
	v_cndmask_b32_e64 v80, 0, v89, s1
	v_add_co_u32 v45, s1, s10, v45
	v_cndmask_b32_e64 v81, 0, v0, s2
	v_add_co_ci_u32_e64 v46, s1, s11, v46, s1
	s_mov_b32 s0, 0x652bd3c3
	s_mov_b32 s1, 0xc0e5cfd1
	global_store_b64 v[45:46], v[80:81], off
	v_fma_f64 v[45:46], v[3:4], s[0:1], v[27:28]
	v_cndmask_b32_e64 v80, 0, v16, s4
	v_cmp_ngt_f64_e64 s0, 0xc090cc00, v[43:44]
	v_fma_f64 v[76:77], v[63:64], v[78:79], s[18:19]
	v_fma_f64 v[78:79], v[71:72], v[84:85], s[22:23]
	;; [unrolled: 1-line block ×3, first 2 shown]
	v_cndmask_b32_e32 v85, 0, v82, vcc_lo
	v_lshlrev_b64 v[81:82], 3, v[1:2]
	v_add_nc_u32_e32 v1, s33, v1
	s_and_b32 vcc_lo, s4, s3
	s_mov_b32 s2, 0x524b266f
	v_mul_f64 v[87:88], v[85:86], s[64:65]
	v_fma_f64 v[61:62], v[61:62], v[90:91], 1.0
	v_fma_f64 v[51:52], v[53:54], v[59:60], s[36:37]
	v_fma_f64 v[59:60], v[69:70], v[74:75], s[26:27]
	;; [unrolled: 1-line block ×3, first 2 shown]
	s_mov_b32 s3, 0x403bb53e
	v_cmp_ngt_f64_e64 s4, 0xc090cc00, v[35:36]
	v_fma_f64 v[89:90], v[63:64], v[76:77], s[26:27]
	v_fma_f64 v[77:78], v[71:72], v[78:79], s[20:21]
	;; [unrolled: 1-line block ×4, first 2 shown]
	v_cndmask_b32_e32 v79, 0, v73, vcc_lo
	v_add_co_u32 v27, vcc_lo, s10, v81
	v_lshlrev_b64 v[73:74], 3, v[1:2]
	v_add_co_ci_u32_e32 v28, vcc_lo, s11, v82, vcc_lo
	v_ldexp_f64 v[61:62], v[61:62], v8
	global_store_b64 v[27:28], v[79:80], off
	v_add_co_u32 v27, vcc_lo, s10, v73
	v_add_co_ci_u32_e32 v28, vcc_lo, s11, v74, vcc_lo
	v_mul_f64 v[73:74], v[85:86], s[72:73]
	v_mad_u64_u32 v[79:80], null, s33, 21, v[1:2]
	global_store_b64 v[27:28], v[87:88], off
	v_fma_f64 v[27:28], v[53:54], v[51:52], s[30:31]
	v_fma_f64 v[51:52], v[69:70], v[59:60], s[34:35]
	;; [unrolled: 1-line block ×3, first 2 shown]
	v_mov_b32_e32 v80, v2
	s_delay_alu instid0(VALU_DEP_1) | instskip(SKIP_2) | instid1(VALU_DEP_3)
	v_lshlrev_b64 v[0:1], 3, v[79:80]
	v_mad_u64_u32 v[91:92], null, s33, 34, v[79:80]
	v_mov_b32_e32 v92, v2
	v_add_co_u32 v0, vcc_lo, s10, v0
	v_fma_f64 v[59:60], v[63:64], v[89:90], s[34:35]
	v_fma_f64 v[77:78], v[71:72], v[77:78], s[18:19]
	;; [unrolled: 1-line block ×4, first 2 shown]
	v_mul_f64 v[83:84], v[45:46], s[12:13]
	v_add_co_ci_u32_e32 v1, vcc_lo, s11, v1, vcc_lo
	global_store_b64 v[0:1], v[73:74], off
	v_lshlrev_b64 v[0:1], 3, v[91:92]
	v_mul_f64 v[73:74], v[85:86], s[46:47]
	v_fma_f64 v[79:80], v[53:54], v[27:28], s[28:29]
	v_fma_f64 v[51:52], v[69:70], v[51:52], s[36:37]
	;; [unrolled: 1-line block ×3, first 2 shown]
	v_add_co_u32 v0, vcc_lo, s10, v0
	v_add_co_ci_u32_e32 v1, vcc_lo, s11, v1, vcc_lo
	v_cmp_nlt_f64_e32 vcc_lo, 0x40900000, v[43:44]
	v_fma_f64 v[59:60], v[63:64], v[59:60], s[36:37]
	v_fma_f64 v[77:78], v[71:72], v[77:78], s[26:27]
	;; [unrolled: 1-line block ×4, first 2 shown]
	v_rndne_f64_e32 v[27:28], v[83:84]
	global_store_b64 v[0:1], v[73:74], off
	v_mad_u64_u32 v[0:1], null, 0xffffffca, s33, v[91:92]
	v_fma_f64 v[73:74], v[53:54], v[79:80], 1.0
	v_fma_f64 v[51:52], v[69:70], v[51:52], s[30:31]
	v_fma_f64 v[79:80], v[47:48], v[85:86], s[18:19]
	v_dual_mov_b32 v1, v2 :: v_dual_cndmask_b32 v8, 0x7ff00000, v62
	s_and_b32 vcc_lo, s0, vcc_lo
	s_delay_alu instid0(VALU_DEP_1)
	v_lshlrev_b64 v[89:90], 3, v[0:1]
	v_add_nc_u32_e32 v1, s33, v0
	v_cvt_i32_f64_e32 v0, v[33:34]
	v_cndmask_b32_e64 v62, 0, v8, s0
	s_mov_b32 s0, 0xad96a6a0
	s_mov_b32 s1, 0xc08c9ed5
	v_cndmask_b32_e32 v61, 0, v61, vcc_lo
	v_fma_f64 v[59:60], v[63:64], v[59:60], s[30:31]
	v_fma_f64 v[77:78], v[71:72], v[77:78], s[34:35]
	v_fma_f64 v[83:84], v[75:76], v[87:88], s[20:21]
	v_fma_f64 v[87:88], v[5:6], s[68:69], s[2:3]
	v_fma_f64 v[43:44], v[81:82], v[43:44], s[22:23]
	v_fma_f64 v[85:86], v[27:28], s[8:9], v[45:46]
	s_mov_b32 s2, 0x88d7aa76
	s_mov_b32 s3, 0x403087bb
	v_add_co_u32 v89, vcc_lo, s10, v89
	v_lshlrev_b64 v[91:92], 3, v[1:2]
	v_add_co_ci_u32_e32 v90, vcc_lo, s11, v90, vcc_lo
	v_add_nc_u32_e32 v1, s33, v1
	v_cvt_i32_f64_e32 v8, v[57:58]
	global_store_b64 v[89:90], v[61:62], off
	v_add_co_u32 v89, vcc_lo, s10, v91
	v_lshlrev_b64 v[61:62], 3, v[1:2]
	v_add_co_ci_u32_e32 v90, vcc_lo, s11, v92, vcc_lo
	v_add_nc_u32_e32 v1, s33, v1
	v_fma_f64 v[53:54], v[53:54], v[73:74], 1.0
	v_fma_f64 v[51:52], v[69:70], v[51:52], s[28:29]
	v_add_co_u32 v61, vcc_lo, s10, v61
	global_store_b64 v[89:90], v[13:14], off
	v_lshlrev_b64 v[13:14], 3, v[1:2]
	v_add_co_ci_u32_e32 v62, vcc_lo, s11, v62, vcc_lo
	v_add_nc_u32_e32 v1, s33, v1
	s_delay_alu instid0(VALU_DEP_3)
	v_add_co_u32 v13, vcc_lo, s10, v13
	global_store_b64 v[61:62], v[17:18], off
	v_mov_b32_e32 v61, s62
	v_fma_f64 v[59:60], v[63:64], v[59:60], s[28:29]
	v_fma_f64 v[73:74], v[71:72], v[77:78], s[36:37]
	;; [unrolled: 1-line block ×4, first 2 shown]
	s_mov_b32 s0, 0xc84f8f8a
	s_mov_b32 s1, 0x4031bdce
	v_fma_f64 v[79:80], v[75:76], v[83:84], s[18:19]
	v_fma_f64 v[83:84], v[81:82], v[43:44], s[20:21]
	;; [unrolled: 1-line block ×5, first 2 shown]
	v_lshlrev_b64 v[89:90], 3, v[1:2]
	v_add_co_ci_u32_e32 v14, vcc_lo, s11, v14, vcc_lo
	v_mov_b32_e32 v62, s63
	s_mov_b32 s0, 0xe5c91d15
	s_mov_b32 s2, 0x1172ef0b
	;; [unrolled: 1-line block ×4, first 2 shown]
	global_store_b64 v[13:14], v[61:62], off
	v_add_co_u32 v13, vcc_lo, s10, v89
	v_add_co_ci_u32_e32 v14, vcc_lo, s11, v90, vcc_lo
	v_ldexp_f64 v[89:90], v[53:54], v0
	v_fma_f64 v[91:92], v[69:70], v[51:52], 1.0
	v_cvt_i32_f64_e32 v0, v[55:56]
	global_store_b64 v[13:14], v[61:62], off
	v_cmp_nlt_f64_e32 vcc_lo, 0x40900000, v[25:26]
	v_add_nc_u32_e32 v1, s33, v1
	s_mov_b32 s63, 0x42b5d3ef
	s_mov_b32 s49, 0xc014e147
	v_fma_f64 v[59:60], v[63:64], v[59:60], 1.0
	v_fma_f64 v[73:74], v[71:72], v[73:74], s[30:31]
	v_fma_f64 v[77:78], v[47:48], v[77:78], s[34:35]
	v_mul_f64 v[95:96], v[33:34], s[12:13]
	v_fma_f64 v[79:80], v[75:76], v[79:80], s[26:27]
	v_fma_f64 v[83:84], v[81:82], v[83:84], s[18:19]
	;; [unrolled: 1-line block ×5, first 2 shown]
	s_mov_b32 s0, 0x6a875d57
	s_mov_b32 s1, 0xc05bad4a
	v_cmp_nlt_f64_e64 s3, 0x40900000, v[35:36]
	v_mul_f64 v[57:58], v[3:4], s[0:1]
	v_cmp_ngt_f64_e64 s0, 0xc090cc00, v[25:26]
	v_cmp_ngt_f64_e64 s2, 0xc090cc00, v[29:30]
	v_fma_f64 v[69:70], v[69:70], v[91:92], 1.0
	v_fma_f64 v[85:86], v[63:64], v[59:60], 1.0
	v_fma_f64 v[73:74], v[71:72], v[73:74], s[28:29]
	v_fma_f64 v[77:78], v[47:48], v[77:78], s[36:37]
	v_rndne_f64_e32 v[59:60], v[95:96]
	v_fma_f64 v[55:56], v[75:76], v[79:80], s[34:35]
	v_fma_f64 v[63:64], v[81:82], v[83:84], s[26:27]
	;; [unrolled: 1-line block ×3, first 2 shown]
	v_mul_f64 v[83:84], v[51:52], s[12:13]
	v_mul_f64 v[87:88], v[53:54], s[12:13]
	v_fma_f64 v[73:74], v[71:72], v[73:74], 1.0
	v_fma_f64 v[77:78], v[47:48], v[77:78], s[30:31]
	v_fma_f64 v[93:94], v[59:60], s[8:9], v[33:34]
	;; [unrolled: 1-line block ×5, first 2 shown]
	v_rndne_f64_e32 v[63:64], v[83:84]
	v_rndne_f64_e32 v[61:62], v[87:88]
	v_fma_f64 v[55:56], v[5:6], s[70:71], v[57:58]
	v_ldexp_f64 v[57:58], v[69:70], v0
	v_lshlrev_b64 v[69:70], 3, v[1:2]
	v_ldexp_f64 v[83:84], v[85:86], v8
	v_cvt_i32_f64_e32 v8, v[65:66]
	v_cndmask_b32_e32 v0, 0x7ff00000, v90, vcc_lo
	v_add_nc_u32_e32 v1, s33, v1
	s_and_b32 vcc_lo, s0, vcc_lo
	s_delay_alu instid0(VALU_DEP_1)
	v_lshlrev_b64 v[35:36], 3, v[1:2]
	v_add_nc_u32_e32 v1, s33, v1
	v_fma_f64 v[25:26], v[71:72], v[73:74], 1.0
	v_add_co_u32 v71, s1, s10, v69
	v_fma_f64 v[65:66], v[47:48], v[77:78], s[28:29]
	v_add_co_ci_u32_e64 v72, s1, s11, v70, s1
	v_fma_f64 v[13:14], v[75:76], v[13:14], s[30:31]
	v_fma_f64 v[77:78], v[81:82], v[91:92], s[36:37]
	;; [unrolled: 1-line block ×6, first 2 shown]
	v_mul_f64 v[90:91], v[55:56], s[12:13]
	v_cmp_nlt_f64_e64 s1, 0x40900000, v[29:30]
	v_mov_b32_e32 v73, 0xdaac0000
	v_mov_b32_e32 v74, 0x42bb6287
	v_cndmask_b32_e64 v96, 0x7ff00000, v84, s3
	v_cndmask_b32_e32 v29, 0, v89, vcc_lo
	v_add_co_u32 v35, vcc_lo, s10, v35
	global_store_b64 v[71:72], v[73:74], off
	v_cndmask_b32_e64 v30, 0, v0, s0
	v_add_co_ci_u32_e32 v36, vcc_lo, s11, v36, vcc_lo
	v_cmp_ngt_f64_e64 s0, 0xc090cc00, v[41:42]
	global_store_b64 v[35:36], v[29:30], off
	v_lshlrev_b64 v[29:30], 3, v[1:2]
	v_add_nc_u32_e32 v1, s33, v1
	v_ldexp_f64 v[92:93], v[25:26], v8
	v_cvt_i32_f64_e32 v8, v[31:32]
	v_fma_f64 v[25:26], v[47:48], v[65:66], 1.0
	v_fma_f64 v[13:14], v[75:76], v[13:14], s[28:29]
	v_fma_f64 v[65:66], v[81:82], v[77:78], s[30:31]
	;; [unrolled: 1-line block ×6, first 2 shown]
	v_fma_f64 v[84:85], v[5:6], 2.0, s[44:45]
	v_rndne_f64_e32 v[77:78], v[90:91]
	s_and_b32 vcc_lo, s2, s1
	v_cndmask_b32_e64 v16, 0x7ff00000, v58, s1
	v_cndmask_b32_e32 v35, 0, v57, vcc_lo
	v_lshlrev_b64 v[57:58], 3, v[1:2]
	v_add_co_u32 v29, vcc_lo, s10, v29
	v_add_co_ci_u32_e32 v30, vcc_lo, s11, v30, vcc_lo
	s_and_b32 vcc_lo, s4, s3
	v_cndmask_b32_e64 v36, 0, v16, s2
	v_cndmask_b32_e32 v86, 0, v83, vcc_lo
	v_add_co_u32 v57, vcc_lo, s10, v57
	s_mov_b32 s2, 0xab8a5ce6
	s_mov_b32 s3, 0xc093a82a
	v_add_co_ci_u32_e32 v58, vcc_lo, s11, v58, vcc_lo
	v_cmp_nlt_f64_e32 vcc_lo, 0x40900000, v[41:42]
	v_cvt_i32_f64_e32 v16, v[67:68]
	v_cndmask_b32_e64 v87, 0, v96, s4
	s_mov_b32 s4, 0xb295e9e2
	s_mov_b32 s5, 0xc0dde0e4
	s_clause 0x1
	global_store_b64 v[29:30], v[35:36], off
	global_store_b64 v[57:58], v[86:87], off
	v_add_nc_u32_e32 v1, s33, v1
	v_fma_f64 v[41:42], v[47:48], v[25:26], 1.0
	v_fma_f64 v[25:26], v[75:76], v[13:14], 1.0
	v_fma_f64 v[31:32], v[81:82], v[65:66], s[28:29]
	v_fma_f64 v[47:48], v[43:44], v[79:80], s[34:35]
	v_fma_f64 v[65:66], v[69:70], v[94:95], s[22:23]
	v_fma_f64 v[79:80], v[73:74], s[16:17], s[14:15]
	v_fma_f64 v[88:89], v[71:72], s[16:17], s[14:15]
	v_fma_f64 v[13:14], v[3:4], s[2:3], v[84:85]
	v_fma_f64 v[90:91], v[77:78], s[8:9], v[55:56]
	s_mov_b32 s2, 0xd95a79c9
	s_mov_b32 s3, 0x403f5f99
	v_cndmask_b32_e32 v0, 0x7ff00000, v93, vcc_lo
	s_and_b32 vcc_lo, s0, vcc_lo
	v_mov_b32_e32 v93, 0x42d476b0
	v_cndmask_b32_e32 v87, 0, v92, vcc_lo
	v_ldexp_f64 v[29:30], v[41:42], v8
	v_fma_f64 v[83:84], v[75:76], v[25:26], 1.0
	v_fma_f64 v[25:26], v[81:82], v[31:32], 1.0
	v_fma_f64 v[31:32], v[43:44], v[47:48], s[36:37]
	v_fma_f64 v[47:48], v[69:70], v[65:66], s[20:21]
	;; [unrolled: 1-line block ×4, first 2 shown]
	v_mul_f64 v[88:89], v[13:14], s[12:13]
	v_fma_f64 v[79:80], v[77:78], s[6:7], v[90:91]
	v_ldexp_f64 v[83:84], v[83:84], v16
	v_fma_f64 v[67:68], v[81:82], v[25:26], 1.0
	v_fma_f64 v[31:32], v[43:44], v[31:32], s[30:31]
	v_fma_f64 v[47:48], v[69:70], v[47:48], s[18:19]
	;; [unrolled: 1-line block ×4, first 2 shown]
	v_rndne_f64_e32 v[75:76], v[88:89]
	v_fma_f64 v[90:91], v[79:80], s[16:17], s[14:15]
	v_fma_f64 v[25:26], v[3:4], s[4:5], s[2:3]
	v_cvt_i32_f64_e32 v89, v[11:12]
	v_lshlrev_b64 v[11:12], 3, v[1:2]
	v_add_nc_u32_e32 v1, s33, v1
	v_cndmask_b32_e64 v88, 0, v0, s0
	s_mov_b32 s2, 0xb196e661
	s_mov_b32 s4, 0x89a02752
	;; [unrolled: 1-line block ×3, first 2 shown]
	v_add_co_u32 v11, s1, s10, v11
	s_delay_alu instid0(VALU_DEP_1)
	v_add_co_ci_u32_e64 v12, s1, s11, v12, s1
	s_mov_b32 s5, 0xc0bb8508
	v_cmp_ngt_f64_e64 s0, 0xc090cc00, v[49:50]
	v_fma_f64 v[31:32], v[43:44], v[31:32], s[28:29]
	v_fma_f64 v[35:36], v[69:70], v[47:48], s[26:27]
	;; [unrolled: 1-line block ×6, first 2 shown]
	v_mul_f64 v[85:86], v[25:26], s[12:13]
	v_lshlrev_b64 v[81:82], 3, v[1:2]
	v_add_nc_u32_e32 v1, s33, v1
	v_ldexp_f64 v[67:68], v[67:68], v89
	s_delay_alu instid0(VALU_DEP_3) | instskip(NEXT) | instid1(VALU_DEP_3)
	v_add_co_u32 v81, vcc_lo, s10, v81
	v_lshlrev_b64 v[89:90], 3, v[1:2]
	v_add_nc_u32_e32 v1, s33, v1
	v_add_co_ci_u32_e32 v82, vcc_lo, s11, v82, vcc_lo
	s_clause 0x1
	global_store_b64 v[11:12], v[21:22], off
	global_store_b64 v[81:82], v[87:88], off
	v_lshlrev_b64 v[11:12], 3, v[1:2]
	v_add_co_u32 v87, vcc_lo, s10, v89
	v_add_co_ci_u32_e32 v88, vcc_lo, s11, v90, vcc_lo
	v_cmp_nlt_f64_e32 vcc_lo, 0x40900000, v[49:50]
	v_add_nc_u32_e32 v1, s33, v1
	v_mov_b32_e32 v89, 0xe4010000
	v_mov_b32_e32 v90, 0x42d489e5
	v_fma_f64 v[49:50], v[43:44], v[31:32], 1.0
	v_fma_f64 v[31:32], v[3:4], s[4:5], s[2:3]
	v_fma_f64 v[91:92], v[69:70], v[35:36], s[34:35]
	;; [unrolled: 1-line block ×4, first 2 shown]
	v_add_co_u32 v65, s1, s10, v11
	s_delay_alu instid0(VALU_DEP_1)
	v_add_co_ci_u32_e64 v66, s1, s11, v12, s1
	v_cmp_nlt_f64_e64 s1, 0x40900000, v[39:40]
	v_fma_f64 v[41:42], v[73:74], v[41:42], s[26:27]
	v_fma_f64 v[57:58], v[79:80], v[57:58], s[20:21]
	v_rndne_f64_e32 v[21:22], v[85:86]
	v_cmp_ngt_f64_e64 s2, 0xc090cc00, v[39:40]
	v_lshlrev_b64 v[11:12], 3, v[1:2]
	v_add_nc_u32_e32 v1, s33, v1
	v_bfrev_b32_e32 v85, 42
	v_fma_f64 v[35:36], v[3:4], s[66:67], v[19:20]
	v_mov_b32_e32 v86, 0x4256d141
	s_clause 0x1
	global_store_b64 v[87:88], v[89:90], off
	global_store_b64 v[65:66], v[85:86], off
	v_add_co_u32 v19, s3, s10, v11
	v_lshlrev_b64 v[39:40], 3, v[1:2]
	v_add_co_ci_u32_e64 v20, s3, s11, v12, s3
	v_mov_b32_e32 v11, 0x1e900000
	v_mov_b32_e32 v12, 0x42b6bcc4
	v_cndmask_b32_e32 v0, 0x7ff00000, v30, vcc_lo
	s_and_b32 vcc_lo, s0, vcc_lo
	v_mul_f64 v[67:68], v[67:68], s[46:47]
	v_add_nc_u32_e32 v1, s33, v1
	global_store_b64 v[19:20], v[11:12], off
	v_cndmask_b32_e32 v19, 0, v29, vcc_lo
	v_add_co_u32 v29, vcc_lo, s10, v39
	v_add_co_ci_u32_e32 v30, vcc_lo, s11, v40, vcc_lo
	v_cndmask_b32_e64 v20, 0, v0, s0
	v_fma_f64 v[47:48], v[71:72], v[47:48], s[34:35]
	v_cmp_nlt_f64_e32 vcc_lo, 0x40900000, v[37:38]
	v_cmp_ngt_f64_e64 s0, 0xc090cc00, v[37:38]
	v_fma_f64 v[39:40], v[43:44], v[49:50], 1.0
	v_cvt_i32_f64_e32 v0, v[27:28]
	v_fma_f64 v[43:44], v[69:70], v[91:92], s[36:37]
	v_cndmask_b32_e64 v8, 0x7ff00000, v84, s1
	v_mul_f64 v[84:85], v[31:32], s[12:13]
	v_fma_f64 v[41:42], v[73:74], v[41:42], s[34:35]
	v_fma_f64 v[49:50], v[79:80], v[57:58], s[18:19]
	;; [unrolled: 1-line block ×4, first 2 shown]
	v_lshlrev_b64 v[37:38], 3, v[1:2]
	v_add_nc_u32_e32 v1, s33, v1
	s_and_b32 s1, s2, s1
	v_cndmask_b32_e64 v89, 0, v8, s2
	v_cndmask_b32_e64 v88, 0, v83, s1
	s_mov_b32 s4, 0xe92ba824
	v_add_co_u32 v37, s1, s10, v37
	v_lshlrev_b64 v[90:91], 3, v[1:2]
	v_add_nc_u32_e32 v1, s33, v1
	v_add_co_ci_u32_e64 v38, s1, s11, v38, s1
	s_clause 0x1
	global_store_b64 v[29:30], v[19:20], off
	global_store_b64 v[37:38], v[88:89], off
	v_lshlrev_b64 v[19:20], 3, v[1:2]
	v_add_nc_u32_e32 v1, s33, v1
	s_mov_b32 s5, 0x403ea072
	v_mul_f64 v[86:87], v[35:36], s[12:13]
	v_fma_f64 v[27:28], v[3:4], s[58:59], s[4:5]
	v_add_co_u32 v29, s1, s10, v90
	s_delay_alu instid0(VALU_DEP_1)
	v_add_co_ci_u32_e64 v30, s1, s11, v91, s1
	v_add_co_u32 v37, s1, s10, v19
	v_fma_f64 v[90:91], v[71:72], v[47:48], s[36:37]
	global_store_b64 v[29:30], v[23:24], off
	v_cndmask_b32_e32 v12, 0x7ff00000, v68, vcc_lo
	s_and_b32 vcc_lo, s0, vcc_lo
	v_add_co_ci_u32_e64 v38, s1, s11, v20, s1
	v_cndmask_b32_e32 v67, 0, v67, vcc_lo
	v_rndne_f64_e32 v[47:48], v[84:85]
	v_lshlrev_b64 v[83:84], 3, v[1:2]
	v_add_nc_u32_e32 v1, s33, v1
	v_ldexp_f64 v[39:40], v[39:40], v0
	v_fma_f64 v[88:89], v[69:70], v[43:44], s[30:31]
	v_fma_f64 v[41:42], v[73:74], v[41:42], s[36:37]
	;; [unrolled: 1-line block ×3, first 2 shown]
	v_lshlrev_b64 v[23:24], 3, v[1:2]
	v_add_co_u32 v83, vcc_lo, s10, v83
	v_add_co_ci_u32_e32 v84, vcc_lo, s11, v84, vcc_lo
	v_fma_f64 v[57:58], v[81:82], v[57:58], s[22:23]
	s_delay_alu instid0(VALU_DEP_4)
	v_add_co_u32 v23, vcc_lo, s10, v23
	v_add_co_ci_u32_e32 v24, vcc_lo, s11, v24, vcc_lo
	v_fma_f64 v[19:20], v[21:22], s[6:7], v[65:66]
	v_cmp_nlt_f64_e32 vcc_lo, 0x40900000, v[45:46]
	s_mov_b32 s2, 0x595d6968
	s_mov_b32 s3, 0x4028aa58
	v_mov_b32_e32 v92, 0x81e80000
	v_cndmask_b32_e64 v68, 0, v12, s0
	v_rndne_f64_e32 v[43:44], v[86:87]
	v_mul_f64 v[65:66], v[27:28], s[12:13]
	v_fma_f64 v[85:86], v[5:6], 2.0, s[2:3]
	v_cmp_ngt_f64_e64 s0, 0xc090cc00, v[45:46]
	s_clause 0x1
	global_store_b64 v[37:38], v[92:93], off
	global_store_b64 v[83:84], v[67:68], off
	v_add_nc_u32_e32 v1, s82, v1
	s_mov_b32 s2, 0xe5215769
	s_mov_b32 s3, 0xc0b21597
	v_fma_f64 v[83:84], v[71:72], v[90:91], s[30:31]
	global_store_b64 v[23:24], v[67:68], off
	v_lshlrev_b64 v[37:38], 3, v[1:2]
	v_add_nc_u32_e32 v1, s33, v1
	v_cvt_i32_f64_e32 v8, v[61:62]
	v_cvt_i32_f64_e32 v12, v[77:78]
	v_cmp_ngt_f64_e64 s4, 0xc090cc00, v[53:54]
	v_fma_f64 v[91:92], v[47:48], s[8:9], v[31:32]
	v_add_co_u32 v23, s1, s10, v37
	s_delay_alu instid0(VALU_DEP_1)
	v_add_co_ci_u32_e64 v24, s1, s11, v38, s1
	v_fma_f64 v[45:46], v[69:70], v[88:89], s[28:29]
	v_fma_f64 v[49:50], v[79:80], v[49:50], s[34:35]
	v_bfrev_b32_e32 v37, 60
	v_mov_b32_e32 v38, 0x42404c53
	v_fma_f64 v[87:88], v[81:82], v[57:58], s[20:21]
	global_store_b64 v[23:24], v[37:38], off
	v_bfrev_b32_e32 v37, 11
	v_mov_b32_e32 v38, 0x4210c388
	v_fma_f64 v[89:90], v[19:20], s[16:17], s[14:15]
	v_cndmask_b32_e32 v0, 0x7ff00000, v40, vcc_lo
	v_fma_f64 v[40:41], v[73:74], v[41:42], s[30:31]
	v_fma_f64 v[93:94], v[43:44], s[8:9], v[35:36]
	v_rndne_f64_e32 v[57:58], v[65:66]
	v_fma_f64 v[29:30], v[3:4], s[2:3], v[85:86]
	v_lshlrev_b64 v[65:66], 3, v[1:2]
	s_and_b32 vcc_lo, s0, vcc_lo
	v_add_nc_u32_e32 v1, s33, v1
	s_mov_b32 s2, 0x63dc486b
	s_mov_b32 s3, 0xc0ae4589
	s_delay_alu instid0(VALU_DEP_2) | instskip(NEXT) | instid1(VALU_DEP_1)
	v_add_co_u32 v23, s1, s10, v65
	v_add_co_ci_u32_e64 v24, s1, s11, v66, s1
	v_fma_f64 v[67:68], v[47:48], s[6:7], v[91:92]
	global_store_b64 v[23:24], v[37:38], off
	v_cndmask_b32_e32 v23, 0, v39, vcc_lo
	v_cndmask_b32_e64 v24, 0, v0, s0
	s_mov_b32 s0, 0xa83e781
	v_fma_f64 v[37:38], v[69:70], v[45:46], 1.0
	v_fma_f64 v[45:46], v[79:80], v[49:50], s[36:37]
	s_mov_b32 s1, 0x404465b3
	v_cvt_i32_f64_e32 v0, v[59:60]
	v_fma_f64 v[91:92], v[5:6], s[40:41], s[0:1]
	s_mov_b32 s0, 0x496249a1
	s_mov_b32 s1, 0x403a85b9
	v_fma_f64 v[49:50], v[81:82], v[87:88], s[18:19]
	v_lshlrev_b64 v[87:88], 3, v[1:2]
	v_add_nc_u32_e32 v1, s33, v1
	s_mov_b32 s40, 0x2c3bc82d
	s_mov_b32 s41, 0x40328f79
	v_fma_f64 v[39:40], v[73:74], v[40:41], s[28:29]
	v_fma_f64 v[41:42], v[71:72], v[83:84], s[28:29]
	v_fma_f64 v[83:84], v[19:20], v[89:90], s[22:23]
	v_add_co_u32 v87, vcc_lo, s10, v87
	v_fma_f64 v[65:66], v[43:44], s[6:7], v[93:94]
	v_fma_f64 v[85:86], v[57:58], s[8:9], v[27:28]
	v_mul_f64 v[89:90], v[29:30], s[12:13]
	v_add_co_ci_u32_e32 v88, vcc_lo, s11, v88, vcc_lo
	v_cmp_nlt_f64_e32 vcc_lo, 0x40900000, v[33:34]
	global_store_b64 v[87:88], v[23:24], off
	v_fma_f64 v[93:94], v[67:68], s[16:17], s[14:15]
	v_fma_f64 v[23:24], v[69:70], v[37:38], 1.0
	v_fma_f64 v[45:46], v[79:80], v[45:46], s[30:31]
	v_fma_f64 v[37:38], v[3:4], s[2:3], s[0:1]
	s_mov_b32 s0, 0x9f40a287
	s_mov_b32 s1, 0xc088d8a8
	v_cmp_ngt_f64_e64 s2, 0xc090cc00, v[51:52]
	v_cmp_nlt_f64_e64 s3, 0x40900000, v[53:54]
	v_fma_f64 v[49:50], v[81:82], v[49:50], s[26:27]
	v_fma_f64 v[87:88], v[73:74], v[39:40], 1.0
	v_fma_f64 v[41:42], v[71:72], v[41:42], 1.0
	v_fma_f64 v[83:84], v[19:20], v[83:84], s[20:21]
	v_fma_f64 v[39:40], v[3:4], s[0:1], v[91:92]
	v_cmp_ngt_f64_e64 s0, 0xc090cc00, v[33:34]
	v_fma_f64 v[95:96], v[65:66], s[16:17], s[14:15]
	v_fma_f64 v[59:60], v[57:58], s[6:7], v[85:86]
	v_rndne_f64_e32 v[69:70], v[89:90]
	v_cmp_nlt_f64_e64 s1, 0x40900000, v[51:52]
	v_ldexp_f64 v[23:24], v[23:24], v0
	v_fma_f64 v[45:46], v[79:80], v[45:46], s[28:29]
	v_mul_f64 v[89:90], v[37:38], s[12:13]
	v_cvt_i32_f64_e32 v0, v[63:64]
	v_fma_f64 v[63:64], v[67:68], v[93:94], s[22:23]
	v_fma_f64 v[73:74], v[73:74], v[87:88], 1.0
	v_fma_f64 v[71:72], v[71:72], v[41:42], 1.0
	v_fma_f64 v[41:42], v[81:82], v[49:50], s[34:35]
	v_fma_f64 v[49:50], v[19:20], v[83:84], s[18:19]
	v_mul_f64 v[61:62], v[39:40], s[12:13]
	v_fma_f64 v[83:84], v[65:66], v[95:96], s[22:23]
	v_fma_f64 v[85:86], v[59:60], s[16:17], s[14:15]
	;; [unrolled: 1-line block ×3, first 2 shown]
	v_fma_f64 v[91:92], v[79:80], v[45:46], 1.0
	v_fma_f64 v[95:96], v[67:68], v[63:64], s[20:21]
	v_ldexp_f64 v[73:74], v[73:74], v0
	v_cndmask_b32_e32 v0, 0x7ff00000, v24, vcc_lo
	v_fma_f64 v[93:94], v[81:82], v[41:42], s[36:37]
	v_fma_f64 v[49:50], v[19:20], v[49:50], s[26:27]
	v_rndne_f64_e32 v[41:42], v[89:90]
	v_fma_f64 v[83:84], v[65:66], v[83:84], s[20:21]
	v_fma_f64 v[85:86], v[59:60], v[85:86], s[22:23]
	;; [unrolled: 1-line block ×3, first 2 shown]
	v_rndne_f64_e32 v[45:46], v[61:62]
	v_ldexp_f64 v[61:62], v[71:72], v8
	s_and_b32 vcc_lo, s0, vcc_lo
	v_cndmask_b32_e64 v24, 0, v0, s0
	v_cndmask_b32_e32 v23, 0, v23, vcc_lo
	v_cmp_ngt_f64_e64 s0, 0xc090cc00, v[55:56]
	v_fma_f64 v[33:34], v[79:80], v[91:92], 1.0
	v_fma_f64 v[77:78], v[67:68], v[95:96], s[18:19]
	v_cndmask_b32_e64 v8, 0x7ff00000, v74, s1
	v_fma_f64 v[71:72], v[81:82], v[93:94], s[30:31]
	v_fma_f64 v[49:50], v[19:20], v[49:50], s[34:35]
	;; [unrolled: 1-line block ×7, first 2 shown]
	v_cndmask_b32_e64 v16, 0x7ff00000, v62, s3
	s_delay_alu instid0(VALU_DEP_1)
	v_cndmask_b32_e64 v62, 0, v16, s4
	v_mov_b32_e32 v16, 0x427d1a94
	v_ldexp_f64 v[53:54], v[33:34], v12
	v_fma_f64 v[77:78], v[67:68], v[77:78], s[26:27]
	v_fma_f64 v[33:34], v[81:82], v[71:72], s[28:29]
	;; [unrolled: 1-line block ×4, first 2 shown]
	v_lshlrev_b64 v[87:88], 3, v[1:2]
	v_add_nc_u32_e32 v1, s33, v1
	v_fma_f64 v[79:80], v[65:66], v[79:80], s[26:27]
	v_fma_f64 v[83:84], v[59:60], v[83:84], s[18:19]
	;; [unrolled: 1-line block ×4, first 2 shown]
	v_add_co_u32 v87, vcc_lo, s10, v87
	v_add_co_ci_u32_e32 v88, vcc_lo, s11, v88, vcc_lo
	v_lshlrev_b64 v[89:90], 3, v[1:2]
	v_add_nc_u32_e32 v1, s33, v1
	s_and_b32 vcc_lo, s2, s1
	global_store_b64 v[87:88], v[23:24], off
	v_cndmask_b32_e32 v23, 0, v73, vcc_lo
	v_cndmask_b32_e64 v24, 0, v8, s2
	v_lshlrev_b64 v[73:74], 3, v[1:2]
	v_add_co_u32 v87, vcc_lo, s10, v89
	v_add_co_ci_u32_e32 v88, vcc_lo, s11, v90, vcc_lo
	s_and_b32 vcc_lo, s4, s3
	s_mov_b32 s2, 0x7d7a7f22
	v_cndmask_b32_e32 v61, 0, v61, vcc_lo
	v_add_co_u32 v73, vcc_lo, s10, v73
	v_add_co_ci_u32_e32 v74, vcc_lo, s11, v74, vcc_lo
	v_cmp_nlt_f64_e32 vcc_lo, 0x40900000, v[55:56]
	v_fma_f64 v[77:78], v[67:68], v[77:78], s[34:35]
	s_mov_b32 s4, 0xe8427419
	s_mov_b32 s3, 0x4036e2f7
	;; [unrolled: 1-line block ×3, first 2 shown]
	v_cvt_i32_f64_e32 v8, v[75:76]
	v_add_nc_u32_e32 v1, s33, v1
	v_fma_f64 v[33:34], v[81:82], v[33:34], 1.0
	v_fma_f64 v[71:72], v[19:20], v[71:72], s[30:31]
	v_fma_f64 v[89:90], v[49:50], s[16:17], s[14:15]
	global_store_b64 v[87:88], v[23:24], off
	v_lshlrev_b64 v[23:24], 3, v[1:2]
	v_fma_f64 v[79:80], v[65:66], v[79:80], s[34:35]
	v_fma_f64 v[83:84], v[59:60], v[83:84], s[26:27]
	v_fma_f64 v[85:86], v[63:64], v[85:86], s[20:21]
	v_add_nc_u32_e32 v1, s33, v1
	global_store_b64 v[73:74], v[61:62], off
	v_lshlrev_b64 v[73:74], 3, v[1:2]
	v_add_nc_u32_e32 v1, s33, v1
	v_cndmask_b32_e32 v0, 0x7ff00000, v54, vcc_lo
	v_fma_f64 v[54:55], v[51:52], s[16:17], s[14:15]
	v_fma_f64 v[75:76], v[67:68], v[77:78], s[36:37]
	s_and_b32 vcc_lo, s0, vcc_lo
	s_delay_alu instid0(VALU_DEP_3)
	v_cndmask_b32_e64 v62, 0, v0, s0
	v_cndmask_b32_e32 v61, 0, v53, vcc_lo
	v_fma_f64 v[81:82], v[81:82], v[33:34], 1.0
	v_fma_f64 v[71:72], v[19:20], v[71:72], s[28:29]
	v_fma_f64 v[33:34], v[3:4], s[4:5], s[2:3]
	v_add_co_u32 v87, vcc_lo, s10, v23
	v_fma_f64 v[77:78], v[65:66], v[79:80], s[36:37]
	v_fma_f64 v[79:80], v[59:60], v[83:84], s[34:35]
	;; [unrolled: 1-line block ×5, first 2 shown]
	s_mov_b32 s0, 0x69c23b79
	s_mov_b32 s1, 0xc0ad9a71
	v_add_co_ci_u32_e32 v88, vcc_lo, s11, v24, vcc_lo
	v_add_co_u32 v73, vcc_lo, s10, v73
	v_add_co_ci_u32_e32 v74, vcc_lo, s11, v74, vcc_lo
	v_cmp_nlt_f64_e32 vcc_lo, 0x40900000, v[13:14]
	s_mov_b32 s2, 0x385e155f
	s_mov_b32 s4, 0x8f5c28f6
	;; [unrolled: 1-line block ×4, first 2 shown]
	v_mul_f64 v[95:96], 0x41724f80, v[61:62]
	v_fma_f64 v[91:92], v[5:6], s[4:5], s[2:3]
	v_cvt_i32_f64_e32 v0, v[21:22]
	v_mul_f64 v[61:62], 0x41177000, v[61:62]
	s_mov_b32 s2, 0xdd82fd7
	s_mov_b32 s3, 0xc0a65e9b
	s_mov_b32 s4, 0xa8fc0d2c
	s_mov_b32 s5, 0xc07b5cc6
	s_clause 0x1
	global_store_b64 v[87:88], v[95:96], off
	global_store_b64 v[73:74], v[61:62], off
	v_fma_f64 v[54:55], v[51:52], v[54:55], s[22:23]
	v_fma_f64 v[71:72], v[19:20], v[71:72], 1.0
	v_fma_f64 v[75:76], v[67:68], v[75:76], s[30:31]
	v_fma_f64 v[23:24], v[3:4], s[0:1], v[89:90]
	s_mov_b32 s0, 0x6d50657
	s_mov_b32 s1, 0x40325027
	v_ldexp_f64 v[81:82], v[81:82], v8
	v_fma_f64 v[77:78], v[65:66], v[77:78], s[30:31]
	v_fma_f64 v[79:80], v[59:60], v[79:80], s[36:37]
	;; [unrolled: 1-line block ×4, first 2 shown]
	v_cmp_ngt_f64_e64 s0, 0xc090cc00, v[13:14]
	s_mov_b32 s61, 0x3ffa6666
	v_fma_f64 v[53:54], v[51:52], v[54:55], s[20:21]
	v_fma_f64 v[55:56], v[49:50], v[85:86], s[20:21]
	v_mul_f64 v[85:86], v[33:34], s[12:13]
	v_fma_f64 v[93:94], v[19:20], v[71:72], 1.0
	v_fma_f64 v[19:20], v[3:4], s[4:5], v[91:92]
	s_mov_b32 s4, 0x7683141c
	v_cndmask_b32_e32 v8, 0x7ff00000, v82, vcc_lo
	s_mov_b32 s5, 0x4049903d
	v_fma_f64 v[12:13], v[3:4], s[2:3], v[89:90]
	s_and_b32 vcc_lo, s0, vcc_lo
	s_mov_b32 s2, 0x820e6299
	s_mov_b32 s3, 0x40714c4e
	v_fma_f64 v[21:22], v[51:52], v[53:54], s[18:19]
	v_fma_f64 v[53:54], v[67:68], v[75:76], s[28:29]
	v_rndne_f64_e32 v[71:72], v[85:86]
	v_fma_f64 v[75:76], v[65:66], v[77:78], s[28:29]
	v_fma_f64 v[77:78], v[59:60], v[79:80], s[30:31]
	;; [unrolled: 1-line block ×4, first 2 shown]
	v_mul_f64 v[82:83], v[23:24], s[12:13]
	v_cndmask_b32_e32 v84, 0, v81, vcc_lo
	v_cndmask_b32_e64 v85, 0, v8, s0
	s_mov_b32 s0, 0x176f885
	s_mov_b32 s1, 0x403f51e5
	v_ldexp_f64 v[86:87], v[93:94], v0
	v_mul_f64 v[90:91], v[19:20], s[12:13]
	v_cvt_i32_f64_e32 v0, v[47:48]
	v_cvt_i32_f64_e32 v8, v[43:44]
	v_fma_f64 v[73:74], v[51:52], v[21:22], s[26:27]
	v_fma_f64 v[53:54], v[67:68], v[53:54], 1.0
	v_fma_f64 v[88:89], v[71:72], s[8:9], v[33:34]
	v_fma_f64 v[75:76], v[65:66], v[75:76], 1.0
	v_fma_f64 v[77:78], v[59:60], v[77:78], s[28:29]
	v_fma_f64 v[79:80], v[63:64], v[79:80], s[36:37]
	;; [unrolled: 1-line block ×3, first 2 shown]
	v_rndne_f64_e32 v[61:62], v[82:83]
	v_mul_f64 v[81:82], v[12:13], s[12:13]
	v_lshlrev_b64 v[21:22], 3, v[1:2]
	v_add_nc_u32_e32 v1, s33, v1
	s_delay_alu instid0(VALU_DEP_2) | instskip(NEXT) | instid1(VALU_DEP_3)
	v_add_co_u32 v92, vcc_lo, s10, v21
	v_add_co_ci_u32_e32 v93, vcc_lo, s11, v22, vcc_lo
	v_fma_f64 v[21:22], v[3:4], s[2:3], s[0:1]
	s_mov_b32 s0, 0x4ef60759
	s_mov_b32 s1, 0x402f42bb
	v_cmp_nlt_f64_e32 vcc_lo, 0x40900000, v[25:26]
	v_fma_f64 v[96:97], v[5:6], s[38:39], s[0:1]
	v_cmp_ngt_f64_e64 s0, 0xc090cc00, v[25:26]
	s_mov_b32 s2, 0x3ae685db
	s_mov_b32 s3, 0xc0b48a9d
	v_cmp_nlt_f64_e64 s1, 0x40900000, v[35:36]
	global_store_b64 v[92:93], v[84:85], off
	s_mov_b32 s38, 0x51eb851f
	s_mov_b32 s39, 0xc0031eb8
	v_fma_f64 v[73:74], v[51:52], v[73:74], s[34:35]
	v_fma_f64 v[94:95], v[67:68], v[53:54], 1.0
	v_fma_f64 v[67:68], v[71:72], s[6:7], v[88:89]
	v_fma_f64 v[47:48], v[65:66], v[75:76], 1.0
	v_fma_f64 v[43:44], v[59:60], v[77:78], 1.0
	v_fma_f64 v[77:78], v[63:64], v[79:80], s[30:31]
	v_fma_f64 v[65:66], v[49:50], v[55:56], s[34:35]
	;; [unrolled: 1-line block ×3, first 2 shown]
	v_rndne_f64_e32 v[53:54], v[81:82]
	v_rndne_f64_e32 v[55:56], v[90:91]
	v_mul_f64 v[79:80], v[21:22], s[12:13]
	v_cndmask_b32_e32 v14, 0x7ff00000, v87, vcc_lo
	v_fma_f64 v[25:26], v[3:4], s[2:3], v[96:97]
	s_and_b32 vcc_lo, s0, vcc_lo
	v_cmp_ngt_f64_e64 s2, 0xc090cc00, v[35:36]
	v_fma_f64 v[73:74], v[51:52], v[73:74], s[36:37]
	v_ldexp_f64 v[81:82], v[94:95], v0
	v_fma_f64 v[87:88], v[67:68], s[16:17], s[14:15]
	v_ldexp_f64 v[89:90], v[47:48], v8
	v_fma_f64 v[47:48], v[59:60], v[43:44], 1.0
	v_fma_f64 v[77:78], v[63:64], v[77:78], s[28:29]
	v_fma_f64 v[59:60], v[49:50], v[65:66], s[36:37]
	;; [unrolled: 1-line block ×4, first 2 shown]
	v_cvt_i32_f64_e32 v0, v[57:58]
	v_fma_f64 v[94:95], v[55:56], s[8:9], v[19:20]
	v_lshlrev_b64 v[57:58], 3, v[1:2]
	v_add_nc_u32_e32 v1, s33, v1
	v_rndne_f64_e32 v[43:44], v[79:80]
	v_cndmask_b32_e32 v79, 0, v86, vcc_lo
	s_delay_alu instid0(VALU_DEP_4)
	v_add_co_u32 v83, vcc_lo, s10, v57
	v_mul_f64 v[85:86], v[25:26], s[12:13]
	v_add_co_ci_u32_e32 v84, vcc_lo, s11, v58, vcc_lo
	v_cndmask_b32_e64 v80, 0, v14, s0
	v_cmp_nlt_f64_e32 vcc_lo, 0x40900000, v[31:32]
	v_cmp_ngt_f64_e64 s0, 0xc090cc00, v[31:32]
	global_store_b64 v[83:84], v[79:80], off
	v_fma_f64 v[73:74], v[51:52], v[73:74], s[30:31]
	v_fma_f64 v[87:88], v[67:68], v[87:88], s[22:23]
	v_cndmask_b32_e64 v14, 0x7ff00000, v90, s1
	s_and_b32 s1, s2, s1
	v_fma_f64 v[31:32], v[49:50], v[59:60], s[30:31]
	v_fma_f64 v[90:91], v[65:66], s[16:17], s[14:15]
	;; [unrolled: 1-line block ×3, first 2 shown]
	v_fma_f64 v[75:76], v[63:64], v[77:78], 1.0
	v_ldexp_f64 v[77:78], v[47:48], v0
	v_fma_f64 v[59:60], v[55:56], s[6:7], v[94:95]
	v_cvt_i32_f64_e32 v0, v[69:70]
	v_fma_f64 v[47:48], v[43:44], s[8:9], v[21:22]
	v_rndne_f64_e32 v[35:36], v[85:86]
	v_cndmask_b32_e32 v8, 0x7ff00000, v82, vcc_lo
	s_and_b32 vcc_lo, s0, vcc_lo
	v_cndmask_b32_e32 v81, 0, v81, vcc_lo
	s_delay_alu instid0(VALU_DEP_2)
	v_cndmask_b32_e64 v82, 0, v8, s0
	v_cmp_ngt_f64_e64 s0, 0xc090cc00, v[27:28]
	v_fma_f64 v[73:74], v[51:52], v[73:74], s[28:29]
	v_fma_f64 v[79:80], v[67:68], v[87:88], s[20:21]
	v_lshlrev_b64 v[87:88], 3, v[1:2]
	v_add_nc_u32_e32 v1, s33, v1
	v_fma_f64 v[31:32], v[49:50], v[31:32], s[28:29]
	v_fma_f64 v[83:84], v[65:66], v[90:91], s[22:23]
	;; [unrolled: 1-line block ×3, first 2 shown]
	v_fma_f64 v[63:64], v[63:64], v[75:76], 1.0
	v_add_co_u32 v75, vcc_lo, s10, v87
	v_add_co_ci_u32_e32 v76, vcc_lo, s11, v88, vcc_lo
	v_cmp_nlt_f64_e32 vcc_lo, 0x40900000, v[27:28]
	v_fma_f64 v[69:70], v[59:60], s[16:17], s[14:15]
	v_fma_f64 v[87:88], v[5:6], s[38:39], s[4:5]
	global_store_b64 v[75:76], v[81:82], off
	v_cndmask_b32_e64 v81, 0, v89, s1
	v_fma_f64 v[47:48], v[43:44], s[6:7], v[47:48]
	v_lshlrev_b64 v[27:28], 3, v[1:2]
	v_cndmask_b32_e64 v82, 0, v14, s2
	s_mov_b32 s2, 0x4e8ed94c
	v_fma_f64 v[75:76], v[35:36], s[8:9], v[25:26]
	s_mov_b32 s4, 0xb7564303
	s_mov_b32 s3, 0x403e3802
	;; [unrolled: 1-line block ×3, first 2 shown]
	v_add_co_u32 v27, s1, s10, v27
	s_delay_alu instid0(VALU_DEP_1)
	v_add_co_ci_u32_e64 v28, s1, s11, v28, s1
	v_add_nc_u32_e32 v1, s33, v1
	v_cvt_i32_f64_e32 v14, v[41:42]
	global_store_b64 v[27:28], v[81:82], off
	v_fma_f64 v[73:74], v[51:52], v[73:74], 1.0
	v_fma_f64 v[89:90], v[49:50], v[31:32], 1.0
	v_fma_f64 v[83:84], v[65:66], v[83:84], s[20:21]
	v_fma_f64 v[85:86], v[57:58], v[85:86], s[22:23]
	;; [unrolled: 1-line block ×3, first 2 shown]
	s_mov_b32 s2, 0x5bea0ba2
	s_mov_b32 s3, 0xc0b5f9f6
	v_ldexp_f64 v[63:64], v[63:64], v0
	v_cvt_i32_f64_e32 v0, v[45:46]
	v_cndmask_b32_e32 v8, 0x7ff00000, v78, vcc_lo
	v_fma_f64 v[78:79], v[67:68], v[79:80], s[18:19]
	v_fma_f64 v[69:70], v[59:60], v[69:70], s[22:23]
	;; [unrolled: 1-line block ×3, first 2 shown]
	v_lshlrev_b64 v[87:88], 3, v[1:2]
	v_fma_f64 v[80:81], v[47:48], s[16:17], s[14:15]
	v_add_nc_u32_e32 v1, s33, v1
	s_and_b32 vcc_lo, s0, vcc_lo
	s_mov_b32 s2, 0xba5e353f
	s_mov_b32 s3, 0xc0939409
	;; [unrolled: 1-line block ×3, first 2 shown]
	v_lshlrev_b64 v[45:46], 3, v[1:2]
	v_add_nc_u32_e32 v1, s33, v1
	s_mov_b32 s5, 0xc0a71dd3
	v_fma_f64 v[73:74], v[51:52], v[73:74], 1.0
	v_fma_f64 v[51:52], v[35:36], s[6:7], v[75:76]
	v_cndmask_b32_e32 v75, 0, v77, vcc_lo
	v_add_co_u32 v87, vcc_lo, s10, v87
	v_add_co_ci_u32_e32 v88, vcc_lo, s11, v88, vcc_lo
	v_add_co_u32 v91, vcc_lo, s10, v45
	v_add_co_ci_u32_e32 v92, vcc_lo, s11, v46, vcc_lo
	v_fma_f64 v[45:46], v[49:50], v[89:90], 1.0
	v_fma_f64 v[49:50], v[65:66], v[83:84], s[18:19]
	v_cndmask_b32_e64 v76, 0, v8, s0
	s_mov_b32 s0, 0xabaa3d56
	v_fma_f64 v[77:78], v[67:68], v[78:79], s[26:27]
	s_mov_b32 s1, 0x4028164c
	v_fma_f64 v[82:83], v[57:58], v[85:86], s[20:21]
	v_mul_f64 v[84:85], v[31:32], s[12:13]
	v_fma_f64 v[89:90], 0x40040000, v[5:6], s[0:1]
	v_fma_f64 v[69:70], v[59:60], v[69:70], s[20:21]
	;; [unrolled: 1-line block ×3, first 2 shown]
	v_mul_f64 v[93:94], v[27:28], s[12:13]
	v_cmp_nlt_f64_e32 vcc_lo, 0x40900000, v[29:30]
	v_cmp_ngt_f64_e64 s0, 0xc090cc00, v[29:30]
	global_store_b64 v[87:88], v[75:76], off
	v_lshlrev_b64 v[75:76], 3, v[1:2]
	v_add_nc_u32_e32 v1, s33, v1
	global_store_b64 v[91:92], v[9:10], off
	v_add_co_u32 v75, s1, s10, v75
	v_lshlrev_b64 v[87:88], 3, v[1:2]
	v_add_co_ci_u32_e64 v76, s1, s11, v76, s1
	v_cmp_nlt_f64_e64 s1, 0x40900000, v[37:38]
	v_ldexp_f64 v[73:74], v[73:74], v0
	v_fma_f64 v[95:96], v[51:52], s[16:17], s[14:15]
	global_store_b64 v[75:76], v[9:10], off
	v_add_nc_u32_e32 v1, s33, v1
	v_fma_f64 v[49:50], v[65:66], v[49:50], s[26:27]
	v_fma_f64 v[77:78], v[67:68], v[77:78], s[34:35]
	;; [unrolled: 1-line block ×3, first 2 shown]
	v_rndne_f64_e32 v[41:42], v[84:85]
	v_fma_f64 v[29:30], v[3:4], s[2:3], v[89:90]
	v_fma_f64 v[69:70], v[59:60], v[69:70], s[18:19]
	;; [unrolled: 1-line block ×3, first 2 shown]
	v_ldexp_f64 v[83:84], v[45:46], v14
	v_rndne_f64_e32 v[45:46], v[93:94]
	v_cndmask_b32_e32 v8, 0x7ff00000, v64, vcc_lo
	s_and_b32 vcc_lo, s0, vcc_lo
	v_cmp_ngt_f64_e64 s2, 0xc090cc00, v[37:38]
	v_cndmask_b32_e32 v63, 0, v63, vcc_lo
	v_add_co_u32 v87, vcc_lo, s10, v87
	v_add_co_ci_u32_e32 v88, vcc_lo, s11, v88, vcc_lo
	v_cndmask_b32_e64 v64, 0, v8, s0
	v_cmp_nlt_f64_e32 vcc_lo, 0x40900000, v[39:40]
	v_cmp_ngt_f64_e64 s0, 0xc090cc00, v[39:40]
	global_store_b64 v[87:88], v[63:64], off
	v_fma_f64 v[85:86], v[51:52], v[95:96], s[22:23]
	v_fma_f64 v[39:40], v[65:66], v[49:50], s[34:35]
	v_fma_f64 v[77:78], v[67:68], v[77:78], s[36:37]
	v_fma_f64 v[49:50], v[57:58], v[81:82], s[26:27]
	v_fma_f64 v[81:82], v[41:42], s[8:9], v[31:32]
	v_mul_f64 v[89:90], v[29:30], s[12:13]
	v_fma_f64 v[69:70], v[59:60], v[69:70], s[26:27]
	v_fma_f64 v[79:80], v[47:48], v[79:80], s[18:19]
	v_cndmask_b32_e64 v14, 0x7ff00000, v84, s1
	v_fma_f64 v[91:92], v[45:46], s[8:9], v[27:28]
	s_and_b32 s1, s2, s1
	s_delay_alu instid0(VALU_DEP_2)
	v_cndmask_b32_e64 v64, 0, v14, s2
	v_cndmask_b32_e64 v63, 0, v83, s1
	s_mov_b32 s2, 0x96d670ba
	s_mov_b32 s3, 0x40315ef0
	v_cndmask_b32_e32 v0, 0x7ff00000, v74, vcc_lo
	v_lshlrev_b64 v[74:75], 3, v[1:2]
	v_add_nc_u32_e32 v1, s33, v1
	s_and_b32 vcc_lo, s0, vcc_lo
	v_fma_f64 v[84:85], v[51:52], v[85:86], s[20:21]
	s_delay_alu instid0(VALU_DEP_3) | instskip(NEXT) | instid1(VALU_DEP_1)
	v_add_co_u32 v74, s1, s10, v74
	v_add_co_ci_u32_e64 v75, s1, s11, v75, s1
	global_store_b64 v[74:75], v[63:64], off
	v_lshlrev_b64 v[74:75], 3, v[1:2]
	v_cndmask_b32_e32 v63, 0, v73, vcc_lo
	v_fma_f64 v[93:94], v[65:66], v[39:40], s[36:37]
	v_cndmask_b32_e64 v64, 0, v0, s0
	v_add_nc_u32_e32 v1, s33, v1
	v_fma_f64 v[77:78], v[67:68], v[77:78], s[30:31]
	v_add_co_u32 v73, vcc_lo, s10, v74
	v_fma_f64 v[39:40], v[41:42], s[6:7], v[81:82]
	v_rndne_f64_e32 v[37:38], v[89:90]
	v_fma_f64 v[95:96], v[57:58], v[49:50], s[34:35]
	v_fma_f64 v[69:70], v[59:60], v[69:70], s[34:35]
	v_fma_f64 v[79:80], v[47:48], v[79:80], s[26:27]
	v_fma_f64 v[49:50], v[45:46], s[6:7], v[91:92]
	v_add_co_ci_u32_e32 v74, vcc_lo, s11, v75, vcc_lo
	v_cvt_i32_f64_e32 v0, v[71:72]
	s_mov_b32 s0, 0x5bd5e9ac
	s_mov_b32 s1, 0x40329a5e
	global_store_b64 v[73:74], v[63:64], off
	v_fma_f64 v[81:82], v[51:52], v[84:85], s[18:19]
	v_fma_f64 v[8:9], v[67:68], v[77:78], s[28:29]
	;; [unrolled: 1-line block ×3, first 2 shown]
	v_lshlrev_b64 v[93:94], 3, v[1:2]
	v_fma_f64 v[85:86], v[39:40], s[16:17], s[14:15]
	v_fma_f64 v[87:88], v[37:38], s[8:9], v[29:30]
	;; [unrolled: 1-line block ×6, first 2 shown]
	v_add_nc_u32_e32 v1, s33, v1
	s_delay_alu instid0(VALU_DEP_1)
	v_lshlrev_b64 v[63:64], 3, v[1:2]
	v_add_nc_u32_e32 v1, s33, v1
	v_fma_f64 v[80:81], v[51:52], v[81:82], s[26:27]
	v_fma_f64 v[91:92], v[67:68], v[8:9], 1.0
	v_fma_f64 v[75:76], v[65:66], v[76:77], s[28:29]
	v_fma_f64 v[85:86], v[39:40], v[85:86], s[22:23]
	;; [unrolled: 1-line block ×7, first 2 shown]
	v_add_co_u32 v87, vcc_lo, s10, v93
	v_add_co_ci_u32_e32 v88, vcc_lo, s11, v94, vcc_lo
	v_lshlrev_b64 v[93:94], 3, v[1:2]
	v_add_nc_u32_e32 v1, s33, v1
	v_add_co_u32 v63, vcc_lo, s10, v63
	v_add_co_ci_u32_e32 v64, vcc_lo, s11, v64, vcc_lo
	v_mov_b32_e32 v89, 0x1200000
	v_mov_b32_e32 v90, 0x42ad2d35
	s_clause 0x1
	global_store_b64 v[87:88], v[15:16], off
	global_store_b64 v[63:64], v[89:90], off
	v_fma_f64 v[79:80], v[51:52], v[80:81], s[34:35]
	v_add_co_u32 v14, vcc_lo, s10, v93
	v_fma_f64 v[88:89], v[5:6], s[60:61], s[0:1]
	v_add_co_ci_u32_e32 v15, vcc_lo, s11, v94, vcc_lo
	v_mov_b32_e32 v63, 0x20b40000
	v_mov_b32_e32 v64, 0x42d23c41
	v_bfrev_b32_e32 v90, 4
	s_mov_b32 s0, 0x2e000000
	s_mov_b32 s1, 0x42517659
	v_cvt_i32_f64_e32 v16, v[55:56]
	v_fma_f64 v[67:68], v[67:68], v[91:92], 1.0
	v_fma_f64 v[71:72], v[65:66], v[75:76], 1.0
	v_lshlrev_b64 v[75:76], 3, v[1:2]
	v_mov_b32_e32 v91, 0x4212a05f
	v_fma_f64 v[84:85], v[39:40], v[85:86], s[20:21]
	v_fma_f64 v[86:87], v[8:9], s[16:17], s[14:15]
	;; [unrolled: 1-line block ×4, first 2 shown]
	v_add_co_u32 v75, vcc_lo, s10, v75
	v_add_co_ci_u32_e32 v76, vcc_lo, s11, v76, vcc_lo
	s_clause 0x1
	global_store_b64 v[14:15], v[63:64], off
	global_store_b64 v[75:76], v[90:91], off
	v_fma_f64 v[75:76], v[5:6], s[60:61], s[2:3]
	v_fma_f64 v[73:74], v[49:50], v[73:74], s[20:21]
	v_add_nc_u32_e32 v1, s33, v1
	v_fma_f64 v[81:82], v[57:58], v[82:83], s[28:29]
	v_dual_mov_b32 v91, s1 :: v_dual_mov_b32 v90, s0
	s_mov_b32 s0, 0xc154c986
	s_delay_alu instid0(VALU_DEP_3)
	v_lshlrev_b64 v[14:15], 3, v[1:2]
	v_add_nc_u32_e32 v1, s33, v1
	s_mov_b32 s1, 0xc06491a8
	v_fma_f64 v[63:64], v[51:52], v[79:80], s[36:37]
	s_mov_b32 s61, 0x3fe66666
	s_mov_b32 s2, 0x1cf45780
	v_add_co_u32 v79, vcc_lo, s10, v14
	v_add_co_ci_u32_e32 v80, vcc_lo, s11, v15, vcc_lo
	v_lshlrev_b64 v[14:15], 3, v[1:2]
	s_mov_b32 s3, 0x402256cb
	v_add_nc_u32_e32 v1, s33, v1
	global_store_b64 v[79:80], v[90:91], off
	v_ldexp_f64 v[67:68], v[67:68], v0
	v_cvt_i32_f64_e32 v0, v[61:62]
	v_add_co_u32 v61, vcc_lo, s10, v14
	v_add_co_ci_u32_e32 v62, vcc_lo, s11, v15, vcc_lo
	v_fma_f64 v[14:15], v[3:4], s[0:1], v[88:89]
	s_mov_b32 s0, 0x92245a52
	s_mov_b32 s1, 0x4039ea8d
	v_fma_f64 v[65:66], v[65:66], v[71:72], 1.0
	v_fma_f64 v[79:80], v[5:6], s[60:61], s[0:1]
	s_mov_b32 s0, 0xbdcd5589
	s_mov_b32 s1, 0x402de4d1
	v_fma_f64 v[71:72], v[39:40], v[84:85], s[18:19]
	v_fma_f64 v[83:84], v[8:9], v[86:87], s[22:23]
	v_fma_f64 v[85:86], v[5:6], 2.0, s[0:1]
	s_mov_b32 s0, 0x8ec52a41
	s_mov_b32 s1, 0x407e9206
	global_store_b64 v[61:62], v[90:91], off
	v_fma_f64 v[61:62], v[3:4], s[0:1], v[75:76]
	v_cmp_nlt_f64_e32 vcc_lo, 0x40900000, v[33:34]
	v_cmp_ngt_f64_e64 s0, 0xc090cc00, v[33:34]
	v_fma_f64 v[75:76], v[5:6], s[50:51], s[2:3]
	v_fma_f64 v[69:70], v[59:60], v[69:70], 1.0
	v_fma_f64 v[77:78], v[47:48], v[77:78], s[28:29]
	v_fma_f64 v[73:74], v[49:50], v[73:74], s[18:19]
	v_fma_f64 v[81:82], v[57:58], v[81:82], 1.0
	v_fma_f64 v[63:64], v[51:52], v[63:64], s[30:31]
	s_mov_b32 s2, 0xedefb22a
	s_mov_b32 s3, 0x3fe93b0a
	v_lshlrev_b64 v[87:88], 3, v[1:2]
	v_fma_f64 v[89:90], 0x400c0000, v[5:6], s[2:3]
	s_mov_b32 s2, 0xd2079f3
	s_mov_b32 s3, 0x404c4902
	v_dual_mov_b32 v33, s62 :: v_dual_mov_b32 v34, s63
	s_delay_alu instid0(VALU_DEP_3) | instskip(NEXT) | instid1(VALU_DEP_1)
	v_add_co_u32 v87, s1, s10, v87
	v_add_co_ci_u32_e64 v88, s1, s11, v88, s1
	v_add_nc_u32_e32 v1, s33, v1
	global_store_b64 v[87:88], v[33:34], off
	v_lshlrev_b64 v[87:88], 3, v[1:2]
	v_add_nc_u32_e32 v1, s33, v1
	v_ldexp_f64 v[65:66], v[65:66], v0
	v_cvt_i32_f64_e32 v0, v[53:54]
	v_fma_f64 v[53:54], v[3:4], s[4:5], v[79:80]
	v_fma_f64 v[79:80], v[5:6], s[24:25], s[2:3]
	s_mov_b32 s2, 0x6cf41f21
	s_mov_b32 s3, 0xc0bb57be
	v_fma_f64 v[71:72], v[39:40], v[71:72], s[26:27]
	v_fma_f64 v[83:84], v[8:9], v[83:84], s[20:21]
	s_mov_b32 s4, 0x8049667b
	s_mov_b32 s5, 0xc0c36882
	v_cndmask_b32_e32 v10, 0x7ff00000, v68, vcc_lo
	s_and_b32 vcc_lo, s0, vcc_lo
	v_fma_f64 v[55:56], v[3:4], s[2:3], v[75:76]
	v_cndmask_b32_e32 v75, 0, v67, vcc_lo
	v_cmp_nlt_f64_e32 vcc_lo, 0x40900000, v[23:24]
	v_fma_f64 v[59:60], v[59:60], v[69:70], 1.0
	v_fma_f64 v[68:69], v[47:48], v[77:78], 1.0
	v_fma_f64 v[73:74], v[49:50], v[73:74], s[26:27]
	v_mul_f64 v[77:78], v[14:15], s[12:13]
	v_fma_f64 v[81:82], v[57:58], v[81:82], 1.0
	v_fma_f64 v[57:58], v[3:4], s[54:55], v[85:86]
	v_mul_f64 v[85:86], v[61:62], s[12:13]
	v_fma_f64 v[63:64], v[51:52], v[63:64], s[28:29]
	v_cndmask_b32_e64 v76, 0, v10, s0
	v_cmp_ngt_f64_e64 s0, 0xc090cc00, v[23:24]
	s_mov_b32 s2, 0x599ed7c7
	s_mov_b32 s3, 0xc0a64f82
	s_delay_alu instid0(SALU_CYCLE_1)
	v_fma_f64 v[23:24], v[3:4], s[2:3], v[89:90]
	s_mov_b32 s2, 0x743e963e
	s_mov_b32 s3, 0xc0b894b9
	v_cndmask_b32_e32 v10, 0x7ff00000, v66, vcc_lo
	v_fma_f64 v[66:67], v[39:40], v[71:72], s[34:35]
	v_fma_f64 v[70:71], v[8:9], v[83:84], s[18:19]
	v_fma_f64 v[47:48], v[47:48], v[68:69], 1.0
	v_fma_f64 v[68:69], v[49:50], v[73:74], s[34:35]
	v_add_co_u32 v83, s1, s10, v87
	s_delay_alu instid0(VALU_DEP_1)
	v_add_co_ci_u32_e64 v84, s1, s11, v88, s1
	v_rndne_f64_e32 v[72:73], v[77:78]
	v_mul_f64 v[77:78], v[53:54], s[12:13]
	v_ldexp_f64 v[81:82], v[81:82], v0
	v_cvt_i32_f64_e32 v0, v[43:44]
	global_store_b64 v[83:84], v[75:76], off
	v_rndne_f64_e32 v[83:84], v[85:86]
	v_fma_f64 v[43:44], v[3:4], s[2:3], v[79:80]
	v_mul_f64 v[79:80], v[57:58], s[12:13]
	v_fma_f64 v[63:64], v[51:52], v[63:64], 1.0
	v_mul_f64 v[85:86], v[55:56], s[12:13]
	v_lshlrev_b64 v[74:75], 3, v[1:2]
	v_add_nc_u32_e32 v1, s33, v1
	s_mov_b32 s2, 0xf8fcd680
	s_mov_b32 s3, 0x4052c2cb
	s_and_b32 vcc_lo, s0, vcc_lo
	v_fma_f64 v[5:6], v[5:6], s[48:49], s[2:3]
	v_lshlrev_b64 v[89:90], 3, v[1:2]
	v_cndmask_b32_e32 v87, 0, v65, vcc_lo
	v_cndmask_b32_e64 v88, 0, v10, s0
	v_cmp_ngt_f64_e64 s0, 0xc090cc00, v[12:13]
	v_add_co_u32 v74, s1, s10, v74
	v_add_co_u32 v89, vcc_lo, s10, v89
	v_add_co_ci_u32_e32 v90, vcc_lo, s11, v90, vcc_lo
	v_cmp_nlt_f64_e32 vcc_lo, 0x40900000, v[12:13]
	v_add_co_ci_u32_e64 v75, s1, s11, v75, s1
	v_cmp_nlt_f64_e64 s1, 0x40900000, v[19:20]
	v_fma_f64 v[66:67], v[39:40], v[66:67], s[36:37]
	v_fma_f64 v[70:71], v[8:9], v[70:71], s[26:27]
	v_cmp_ngt_f64_e64 s2, 0xc090cc00, v[19:20]
	v_fma_f64 v[12:13], v[49:50], v[68:69], s[36:37]
	v_mul_f64 v[68:69], v[23:24], s[12:13]
	v_ldexp_f64 v[59:60], v[59:60], v16
	v_add_nc_u32_e32 v1, s33, v1
	v_rndne_f64_e32 v[19:20], v[77:78]
	v_fma_f64 v[76:77], v[72:73], s[8:9], v[14:15]
	v_ldexp_f64 v[47:48], v[47:48], v0
	v_cvt_i32_f64_e32 v0, v[35:36]
	v_fma_f64 v[35:36], v[83:84], s[8:9], v[61:62]
	v_mul_f64 v[91:92], v[43:44], s[12:13]
	v_rndne_f64_e32 v[78:79], v[79:80]
	v_fma_f64 v[51:52], v[51:52], v[63:64], 1.0
	v_rndne_f64_e32 v[63:64], v[85:86]
	v_fma_f64 v[3:4], v[3:4], s[4:5], v[5:6]
	v_mov_b32_e32 v5, 0x57e00000
	v_mov_b32_e32 v6, 0x42db48eb
	v_cmp_nlt_f64_e64 s5, 0x40900000, v[14:15]
	v_cmp_ngt_f64_e64 s4, 0xc090cc00, v[29:30]
	s_clause 0x1
	global_store_b64 v[74:75], v[5:6], off
	global_store_b64 v[89:90], v[87:88], off
	v_lshlrev_b64 v[74:75], 3, v[1:2]
	v_add_nc_u32_e32 v1, s33, v1
	v_cndmask_b32_e32 v10, 0x7ff00000, v82, vcc_lo
	s_and_b32 vcc_lo, s0, vcc_lo
	v_cndmask_b32_e32 v5, 0, v81, vcc_lo
	v_fma_f64 v[65:66], v[39:40], v[66:67], s[30:31]
	v_fma_f64 v[70:71], v[8:9], v[70:71], s[34:35]
	v_cndmask_b32_e64 v6, 0, v10, s0
	v_fma_f64 v[12:13], v[49:50], v[12:13], s[30:31]
	v_rndne_f64_e32 v[67:68], v[68:69]
	v_cmp_nlt_f64_e32 vcc_lo, 0x40900000, v[21:22]
	v_cmp_ngt_f64_e64 s0, 0xc090cc00, v[21:22]
	v_add_co_u32 v21, s3, s10, v74
	v_fma_f64 v[80:81], v[19:20], s[8:9], v[53:54]
	v_fma_f64 v[76:77], v[72:73], s[6:7], v[76:77]
	v_add_co_ci_u32_e64 v22, s3, s11, v75, s3
	v_fma_f64 v[35:36], v[83:84], s[6:7], v[35:36]
	v_rndne_f64_e32 v[85:86], v[91:92]
	v_fma_f64 v[87:88], v[78:79], s[8:9], v[57:58]
	v_lshlrev_b64 v[74:75], 3, v[1:2]
	v_fma_f64 v[89:90], v[63:64], s[8:9], v[55:56]
	v_cndmask_b32_e64 v16, 0x7ff00000, v60, s1
	s_and_b32 s1, s2, s1
	v_add_nc_u32_e32 v1, s33, v1
	v_cndmask_b32_e64 v59, 0, v59, s1
	v_add_co_u32 v74, s1, s10, v74
	v_mul_f64 v[91:92], v[3:4], s[12:13]
	v_cndmask_b32_e64 v60, 0, v16, s2
	v_add_co_ci_u32_e64 v75, s1, s11, v75, s1
	global_store_b64 v[21:22], v[5:6], off
	v_ldexp_f64 v[51:52], v[51:52], v0
	v_cvt_i32_f64_e32 v16, v[37:38]
	global_store_b64 v[74:75], v[59:60], off
	v_lshlrev_b64 v[74:75], 3, v[1:2]
	v_add_nc_u32_e32 v1, s33, v1
	v_cmp_ngt_f64_e64 s2, 0xc090cc00, v[27:28]
	v_fma_f64 v[65:66], v[39:40], v[65:66], s[28:29]
	v_fma_f64 v[69:70], v[8:9], v[70:71], s[36:37]
	;; [unrolled: 1-line block ×4, first 2 shown]
	v_cndmask_b32_e32 v10, 0x7ff00000, v48, vcc_lo
	s_and_b32 vcc_lo, s0, vcc_lo
	v_cndmask_b32_e32 v47, 0, v47, vcc_lo
	v_fma_f64 v[21:22], v[19:20], s[6:7], v[80:81]
	v_add_co_u32 v74, vcc_lo, s10, v74
	v_add_co_ci_u32_e32 v75, vcc_lo, s11, v75, vcc_lo
	v_cndmask_b32_e64 v48, 0, v10, s0
	v_cmp_nlt_f64_e32 vcc_lo, 0x40900000, v[25:26]
	v_cmp_ngt_f64_e64 s0, 0xc090cc00, v[25:26]
	v_fma_f64 v[25:26], v[35:36], s[16:17], s[14:15]
	v_fma_f64 v[59:60], v[76:77], s[16:17], s[14:15]
	;; [unrolled: 1-line block ×5, first 2 shown]
	global_store_b64 v[74:75], v[47:48], off
	v_cvt_i32_f64_e32 v10, v[45:46]
	v_rndne_f64_e32 v[91:92], v[91:92]
	v_fma_f64 v[65:66], v[39:40], v[65:66], 1.0
	v_fma_f64 v[69:70], v[8:9], v[69:70], s[30:31]
	v_fma_f64 v[5:6], v[49:50], v[5:6], 1.0
	v_fma_f64 v[93:94], v[67:68], s[6:7], v[12:13]
	v_fma_f64 v[12:13], v[21:22], s[16:17], s[14:15]
	v_cndmask_b32_e32 v0, 0x7ff00000, v52, vcc_lo
	s_and_b32 vcc_lo, s0, vcc_lo
	v_fma_f64 v[25:26], v[35:36], v[25:26], s[22:23]
	v_fma_f64 v[47:48], v[76:77], v[59:60], s[22:23]
	;; [unrolled: 1-line block ×5, first 2 shown]
	v_cndmask_b32_e64 v52, 0, v0, s0
	v_cvt_i32_f64_e32 v0, v[41:42]
	v_cndmask_b32_e32 v51, 0, v51, vcc_lo
	v_cmp_ngt_f64_e64 s0, 0xc090cc00, v[31:32]
	v_fma_f64 v[39:40], v[39:40], v[65:66], 1.0
	v_fma_f64 v[65:66], v[8:9], v[69:70], s[28:29]
	v_fma_f64 v[69:70], v[91:92], s[8:9], v[3:4]
	v_fma_f64 v[5:6], v[49:50], v[5:6], 1.0
	v_fma_f64 v[49:50], v[93:94], s[16:17], s[14:15]
	v_fma_f64 v[12:13], v[21:22], v[12:13], s[22:23]
	v_fma_f64 v[25:26], v[35:36], v[25:26], s[20:21]
	v_fma_f64 v[41:42], v[76:77], v[47:48], s[20:21]
	v_fma_f64 v[45:46], v[59:60], s[16:17], s[14:15]
	v_fma_f64 v[47:48], v[87:88], v[74:75], s[22:23]
	v_fma_f64 v[74:75], v[89:90], v[80:81], s[22:23]
	v_ldexp_f64 v[37:38], v[39:40], v0
	v_fma_f64 v[65:66], v[8:9], v[65:66], 1.0
	v_fma_f64 v[69:70], v[91:92], s[6:7], v[69:70]
	v_cvt_i32_f64_e32 v0, v[72:73]
	v_fma_f64 v[49:50], v[93:94], v[49:50], s[22:23]
	v_ldexp_f64 v[5:6], v[5:6], v10
	v_cmp_ngt_f64_e64 s6, 0xc090cc00, v[14:15]
	v_fma_f64 v[12:13], v[21:22], v[12:13], s[20:21]
	v_fma_f64 v[25:26], v[35:36], v[25:26], s[18:19]
	;; [unrolled: 1-line block ×6, first 2 shown]
	v_fma_f64 v[8:9], v[8:9], v[65:66], 1.0
	v_fma_f64 v[65:66], v[69:70], s[16:17], s[14:15]
	v_fma_f64 v[49:50], v[93:94], v[49:50], s[20:21]
	;; [unrolled: 1-line block ×8, first 2 shown]
	v_ldexp_f64 v[8:9], v[8:9], v16
	v_fma_f64 v[65:66], v[69:70], v[65:66], s[22:23]
	v_fma_f64 v[49:50], v[93:94], v[49:50], s[18:19]
	;; [unrolled: 1-line block ×35, first 2 shown]
	v_fma_f64 v[25:26], v[35:36], v[25:26], 1.0
	v_fma_f64 v[41:42], v[76:77], v[41:42], 1.0
	v_fma_f64 v[45:46], v[59:60], v[45:46], s[30:31]
	v_fma_f64 v[47:48], v[87:88], v[47:48], s[28:29]
	;; [unrolled: 1-line block ×5, first 2 shown]
	v_lshlrev_b64 v[49:50], 3, v[1:2]
	v_add_nc_u32_e32 v1, s33, v1
	v_fma_f64 v[80:81], v[21:22], v[12:13], 1.0
	s_delay_alu instid0(VALU_DEP_2) | instskip(SKIP_4) | instid1(VALU_DEP_4)
	v_lshlrev_b64 v[12:13], 3, v[1:2]
	v_add_nc_u32_e32 v1, s82, v1
	v_add_co_u32 v49, vcc_lo, s10, v49
	v_add_co_ci_u32_e32 v50, vcc_lo, s11, v50, vcc_lo
	v_fma_f64 v[25:26], v[35:36], v[25:26], 1.0
	v_lshlrev_b64 v[35:36], 3, v[1:2]
	v_fma_f64 v[41:42], v[76:77], v[41:42], 1.0
	v_add_co_u32 v73, vcc_lo, s10, v12
	v_fma_f64 v[71:72], v[89:90], v[74:75], 1.0
	v_add_co_ci_u32_e32 v74, vcc_lo, s11, v13, vcc_lo
	v_add_co_u32 v35, vcc_lo, s10, v35
	v_add_co_ci_u32_e32 v36, vcc_lo, s11, v36, vcc_lo
	v_cmp_nlt_f64_e32 vcc_lo, 0x40900000, v[31:32]
	v_fma_f64 v[45:46], v[59:60], v[45:46], s[28:29]
	v_cvt_i32_f64_e32 v77, v[83:84]
	v_dual_mov_b32 v12, 0x42e6bcc4 :: v_dual_add_nc_u32 v1, s33, v1
	s_clause 0x1
	global_store_b64 v[49:50], v[51:52], off
	global_store_b64 v[73:74], v[11:12], off
	v_cvt_i32_f64_e32 v49, v[19:20]
	v_lshlrev_b64 v[19:20], 3, v[1:2]
	v_fma_f64 v[65:66], v[69:70], v[65:66], s[30:31]
	v_add_nc_u32_e32 v1, s33, v1
	v_fma_f64 v[10:11], v[93:94], v[39:40], 1.0
	v_mov_b32_e32 v75, 0xd7400000
	v_mov_b32_e32 v76, 0x42835aa2
	v_add_co_u32 v19, s1, s10, v19
	v_fma_f64 v[12:13], v[21:22], v[80:81], 1.0
	v_add_co_ci_u32_e64 v20, s1, s11, v20, s1
	v_mov_b32_e32 v39, 0x429802ba
	global_store_b64 v[35:36], v[75:76], off
	v_cmp_nlt_f64_e64 s1, 0x40900000, v[27:28]
	v_fma_f64 v[47:48], v[87:88], v[47:48], 1.0
	v_ldexp_f64 v[21:22], v[41:42], v0
	v_lshlrev_b64 v[40:41], 3, v[1:2]
	v_add_nc_u32_e32 v1, s33, v1
	v_cvt_i32_f64_e32 v42, v[78:79]
	s_delay_alu instid0(VALU_DEP_3) | instskip(NEXT) | instid1(VALU_DEP_1)
	v_add_co_u32 v40, s3, s10, v40
	v_add_co_ci_u32_e64 v41, s3, s11, v41, s3
	v_cndmask_b32_e32 v0, 0x7ff00000, v38, vcc_lo
	v_mov_b32_e32 v38, 0x9f400000
	s_and_b32 vcc_lo, s0, vcc_lo
	v_fma_f64 v[35:36], v[59:60], v[45:46], 1.0
	v_cndmask_b32_e32 v15, 0, v37, vcc_lo
	v_cmp_nlt_f64_e64 s3, 0x40900000, v[29:30]
	s_clause 0x1
	global_store_b64 v[19:20], v[38:39], off
	global_store_b64 v[40:41], v[17:18], off
	v_lshlrev_b64 v[17:18], 3, v[1:2]
	v_ldexp_f64 v[25:26], v[25:26], v77
	v_fma_f64 v[27:28], v[69:70], v[65:66], s[28:29]
	v_add_nc_u32_e32 v1, s33, v1
	v_cndmask_b32_e64 v16, 0, v0, s0
	v_cvt_i32_f64_e32 v0, v[67:68]
	v_add_co_u32 v17, vcc_lo, s10, v17
	v_add_co_ci_u32_e32 v18, vcc_lo, s11, v18, vcc_lo
	v_cmp_nlt_f64_e32 vcc_lo, 0x40900000, v[61:62]
	v_lshlrev_b64 v[29:30], 3, v[1:2]
	v_add_nc_u32_e32 v1, s33, v1
	v_cvt_i32_f64_e32 v39, v[85:86]
	v_cndmask_b32_e64 v6, 0x7ff00000, v6, s1
	s_and_b32 s1, s2, s1
	v_fma_f64 v[31:32], v[87:88], v[47:48], 1.0
	v_cndmask_b32_e64 v5, 0, v5, s1
	v_fma_f64 v[45:46], v[89:90], v[71:72], 1.0
	v_cvt_i32_f64_e32 v47, v[63:64]
	v_cmp_ngt_f64_e64 s0, 0xc090cc00, v[61:62]
	v_cndmask_b32_e64 v6, 0, v6, s2
	v_cmp_ngt_f64_e64 s2, 0xc090cc00, v[53:54]
	v_cndmask_b32_e64 v22, 0x7ff00000, v22, s5
	s_delay_alu instid0(VALU_DEP_1)
	v_cndmask_b32_e64 v22, 0, v22, s6
	v_cndmask_b32_e64 v48, 0x7ff00000, v9, s3
	v_fma_f64 v[9:10], v[93:94], v[10:11], 1.0
	v_ldexp_f64 v[11:12], v[12:13], v49
	v_fma_f64 v[13:14], v[59:60], v[35:36], 1.0
	v_lshlrev_b64 v[35:36], 3, v[1:2]
	v_add_nc_u32_e32 v1, s33, v1
	v_cndmask_b32_e64 v38, 0, v48, s4
	v_cndmask_b32_e32 v41, 0x7ff00000, v26, vcc_lo
	v_fma_f64 v[26:27], v[69:70], v[27:28], 1.0
	v_add_co_u32 v28, s1, s10, v29
	s_delay_alu instid0(VALU_DEP_1) | instskip(SKIP_4) | instid1(VALU_DEP_1)
	v_add_co_ci_u32_e64 v29, s1, s11, v30, s1
	s_and_b32 s1, s4, s3
	v_ldexp_f64 v[19:20], v[31:32], v42
	v_cndmask_b32_e64 v37, 0, v8, s1
	v_add_co_u32 v35, s1, s10, v35
	v_add_co_ci_u32_e64 v36, s1, s11, v36, s1
	v_cmp_nlt_f64_e64 s1, 0x40900000, v[53:54]
	v_ldexp_f64 v[31:32], v[45:46], v47
	s_and_b32 s3, s6, s5
	s_and_b32 vcc_lo, s0, vcc_lo
	v_cndmask_b32_e64 v21, 0, v21, s3
	v_cndmask_b32_e64 v42, 0, v41, s0
	v_cndmask_b32_e32 v41, 0, v25, vcc_lo
	v_cmp_nlt_f64_e64 s3, 0x40900000, v[57:58]
	v_cmp_ngt_f64_e64 s4, 0xc090cc00, v[57:58]
	v_cmp_nlt_f64_e32 vcc_lo, 0x40900000, v[55:56]
	v_cmp_ngt_f64_e64 s0, 0xc090cc00, v[55:56]
	v_cmp_ngt_f64_e64 s6, 0xc090cc00, v[23:24]
	v_ldexp_f64 v[8:9], v[9:10], v0
	v_fma_f64 v[25:26], v[69:70], v[26:27], 1.0
	v_cvt_i32_f64_e32 v27, v[91:92]
	v_cndmask_b32_e64 v0, 0x7ff00000, v12, s1
	v_ldexp_f64 v[12:13], v[13:14], v39
	v_lshlrev_b64 v[39:40], 3, v[1:2]
	v_add_nc_u32_e32 v1, s33, v1
	s_and_b32 s1, s2, s1
	v_cndmask_b32_e64 v20, 0x7ff00000, v20, s3
	s_delay_alu instid0(VALU_DEP_2) | instskip(NEXT) | instid1(VALU_DEP_4)
	v_lshlrev_b64 v[45:46], 3, v[1:2]
	v_add_co_u32 v39, s5, s10, v39
	s_delay_alu instid0(VALU_DEP_1) | instskip(SKIP_1) | instid1(VALU_DEP_4)
	v_add_co_ci_u32_e64 v40, s5, s11, v40, s5
	v_add_nc_u32_e32 v1, s33, v1
	v_add_co_u32 v45, s5, s10, v45
	s_delay_alu instid0(VALU_DEP_1)
	v_add_co_ci_u32_e64 v46, s5, s11, v46, s5
	v_cmp_nlt_f64_e64 s5, 0x40900000, v[23:24]
	s_clause 0x4
	global_store_b64 v[17:18], v[15:16], off
	global_store_b64 v[28:29], v[5:6], off
	;; [unrolled: 1-line block ×5, first 2 shown]
	v_cndmask_b32_e64 v5, 0, v11, s1
	v_cmp_nlt_f64_e64 s1, 0x40900000, v[43:44]
	v_cndmask_b32_e64 v6, 0, v0, s2
	v_cmp_ngt_f64_e64 s2, 0xc090cc00, v[43:44]
	s_and_b32 s3, s4, s3
	v_cndmask_b32_e64 v16, 0, v20, s4
	v_cndmask_b32_e64 v15, 0, v19, s3
	v_cndmask_b32_e32 v30, 0x7ff00000, v32, vcc_lo
	s_and_b32 vcc_lo, s0, vcc_lo
	v_ldexp_f64 v[21:22], v[25:26], v27
	v_cndmask_b32_e32 v17, 0, v31, vcc_lo
	s_delay_alu instid0(VALU_DEP_3)
	v_cndmask_b32_e64 v18, 0, v30, s0
	v_cmp_ngt_f64_e64 s0, 0xc090cc00, v[3:4]
	v_cndmask_b32_e64 v28, 0x7ff00000, v9, s5
	v_lshlrev_b64 v[9:10], 3, v[1:2]
	v_add_nc_u32_e32 v1, s33, v1
	v_cndmask_b32_e64 v0, 0x7ff00000, v13, s1
	s_delay_alu instid0(VALU_DEP_2) | instskip(SKIP_2) | instid1(VALU_DEP_1)
	v_lshlrev_b64 v[13:14], 3, v[1:2]
	v_add_nc_u32_e32 v1, s33, v1
	v_add_co_u32 v9, s7, s10, v9
	v_add_co_ci_u32_e64 v10, s7, s11, v10, s7
	s_delay_alu instid0(VALU_DEP_4) | instskip(NEXT) | instid1(VALU_DEP_4)
	v_add_co_u32 v13, s3, s10, v13
	v_lshlrev_b64 v[19:20], 3, v[1:2]
	v_add_nc_u32_e32 v1, s33, v1
	v_add_co_ci_u32_e64 v14, s3, s11, v14, s3
	s_clause 0x1
	global_store_b64 v[9:10], v[5:6], off
	global_store_b64 v[13:14], v[15:16], off
	v_lshlrev_b64 v[5:6], 3, v[1:2]
	v_add_co_u32 v19, vcc_lo, s10, v19
	v_add_nc_u32_e32 v1, s33, v1
	v_add_co_ci_u32_e32 v20, vcc_lo, s11, v20, vcc_lo
	s_and_b32 vcc_lo, s6, s5
	v_cndmask_b32_e64 v10, 0, v28, s6
	v_cndmask_b32_e32 v9, 0, v8, vcc_lo
	v_lshlrev_b64 v[13:14], 3, v[1:2]
	v_add_nc_u32_e32 v1, s33, v1
	v_add_co_u32 v5, vcc_lo, s10, v5
	v_add_co_ci_u32_e32 v6, vcc_lo, s11, v6, vcc_lo
	s_and_b32 vcc_lo, s2, s1
	global_store_b64 v[19:20], v[17:18], off
	v_cndmask_b32_e32 v15, 0, v12, vcc_lo
	v_lshlrev_b64 v[11:12], 3, v[1:2]
	v_add_co_u32 v13, vcc_lo, s10, v13
	v_add_co_ci_u32_e32 v14, vcc_lo, s11, v14, vcc_lo
	v_add_nc_u32_e32 v1, s33, v1
	s_delay_alu instid0(VALU_DEP_4) | instskip(SKIP_2) | instid1(VALU_DEP_4)
	v_add_co_u32 v11, vcc_lo, s10, v11
	v_add_co_ci_u32_e32 v12, vcc_lo, s11, v12, vcc_lo
	v_cmp_nlt_f64_e32 vcc_lo, 0x40900000, v[3:4]
	v_lshlrev_b64 v[19:20], 3, v[1:2]
	v_add_nc_u32_e32 v1, s33, v1
	v_cndmask_b32_e64 v16, 0, v0, s2
	v_mov_b32_e32 v0, 0x2f600000
	v_mov_b32_e32 v17, 0xc5000000
	;; [unrolled: 1-line block ×3, first 2 shown]
	v_add_co_u32 v3, s1, s10, v19
	s_delay_alu instid0(VALU_DEP_1)
	v_add_co_ci_u32_e64 v4, s1, s11, v20, s1
	v_lshlrev_b64 v[19:20], 3, v[1:2]
	v_dual_mov_b32 v8, 0x42d5d3ef :: v_dual_add_nc_u32 v1, s33, v1
	s_clause 0x3
	global_store_b64 v[5:6], v[9:10], off
	global_store_b64 v[13:14], v[15:16], off
	;; [unrolled: 1-line block ×4, first 2 shown]
	v_bfrev_b32_e32 v9, 32
	v_lshlrev_b64 v[3:4], 3, v[1:2]
	v_add_nc_u32_e32 v1, s33, v1
	v_add_co_u32 v5, s1, s10, v19
	s_delay_alu instid0(VALU_DEP_1) | instskip(NEXT) | instid1(VALU_DEP_3)
	v_add_co_ci_u32_e64 v6, s1, s11, v20, s1
	v_lshlrev_b64 v[7:8], 3, v[1:2]
	v_add_nc_u32_e32 v1, s33, v1
	v_add_co_u32 v3, s1, s10, v3
	s_delay_alu instid0(VALU_DEP_1) | instskip(NEXT) | instid1(VALU_DEP_3)
	v_add_co_ci_u32_e64 v4, s1, s11, v4, s1
	;; [unrolled: 5-line block ×3, first 2 shown]
	v_lshlrev_b64 v[13:14], 3, v[1:2]
	v_mov_b32_e32 v10, 0x4234f46b
	v_add_co_u32 v11, s1, s10, v11
	v_cndmask_b32_e32 v22, 0x7ff00000, v22, vcc_lo
	s_and_b32 vcc_lo, s0, vcc_lo
	v_add_co_ci_u32_e64 v12, s1, s11, v12, s1
	v_cndmask_b32_e32 v15, 0, v21, vcc_lo
	v_add_co_u32 v13, vcc_lo, s10, v13
	v_mov_b32_e32 v1, 0x42a40246
	v_cndmask_b32_e64 v16, 0, v22, s0
	v_add_co_ci_u32_e32 v14, vcc_lo, s11, v14, vcc_lo
	s_clause 0x4
	global_store_b64 v[5:6], v[33:34], off
	global_store_b64 v[3:4], v[9:10], off
	;; [unrolled: 1-line block ×5, first 2 shown]
	s_nop 0
	s_sendmsg sendmsg(MSG_DEALLOC_VGPRS)
	s_endpgm
	.section	.rodata,"a",@progbits
	.p2align	6, 0x0
	.amdhsa_kernel _Z11ratt_kernelIdEvPKT_PS0_S0_
		.amdhsa_group_segment_fixed_size 0
		.amdhsa_private_segment_fixed_size 0
		.amdhsa_kernarg_size 280
		.amdhsa_user_sgpr_count 15
		.amdhsa_user_sgpr_dispatch_ptr 0
		.amdhsa_user_sgpr_queue_ptr 0
		.amdhsa_user_sgpr_kernarg_segment_ptr 1
		.amdhsa_user_sgpr_dispatch_id 0
		.amdhsa_user_sgpr_private_segment_size 0
		.amdhsa_wavefront_size32 1
		.amdhsa_uses_dynamic_stack 0
		.amdhsa_enable_private_segment 0
		.amdhsa_system_sgpr_workgroup_id_x 1
		.amdhsa_system_sgpr_workgroup_id_y 0
		.amdhsa_system_sgpr_workgroup_id_z 0
		.amdhsa_system_sgpr_workgroup_info 0
		.amdhsa_system_vgpr_workitem_id 0
		.amdhsa_next_free_vgpr 103
		.amdhsa_next_free_sgpr 83
		.amdhsa_reserve_vcc 1
		.amdhsa_float_round_mode_32 0
		.amdhsa_float_round_mode_16_64 0
		.amdhsa_float_denorm_mode_32 3
		.amdhsa_float_denorm_mode_16_64 3
		.amdhsa_dx10_clamp 1
		.amdhsa_ieee_mode 1
		.amdhsa_fp16_overflow 0
		.amdhsa_workgroup_processor_mode 1
		.amdhsa_memory_ordered 1
		.amdhsa_forward_progress 0
		.amdhsa_shared_vgpr_count 0
		.amdhsa_exception_fp_ieee_invalid_op 0
		.amdhsa_exception_fp_denorm_src 0
		.amdhsa_exception_fp_ieee_div_zero 0
		.amdhsa_exception_fp_ieee_overflow 0
		.amdhsa_exception_fp_ieee_underflow 0
		.amdhsa_exception_fp_ieee_inexact 0
		.amdhsa_exception_int_div_zero 0
	.end_amdhsa_kernel
	.section	.text._Z11ratt_kernelIdEvPKT_PS0_S0_,"axG",@progbits,_Z11ratt_kernelIdEvPKT_PS0_S0_,comdat
.Lfunc_end27:
	.size	_Z11ratt_kernelIdEvPKT_PS0_S0_, .Lfunc_end27-_Z11ratt_kernelIdEvPKT_PS0_S0_
                                        ; -- End function
	.section	.AMDGPU.csdata,"",@progbits
; Kernel info:
; codeLenInByte = 34448
; NumSgprs: 85
; NumVgprs: 103
; ScratchSize: 0
; MemoryBound: 0
; FloatMode: 240
; IeeeMode: 1
; LDSByteSize: 0 bytes/workgroup (compile time only)
; SGPRBlocks: 10
; VGPRBlocks: 12
; NumSGPRsForWavesPerEU: 85
; NumVGPRsForWavesPerEU: 103
; Occupancy: 12
; WaveLimiterHint : 0
; COMPUTE_PGM_RSRC2:SCRATCH_EN: 0
; COMPUTE_PGM_RSRC2:USER_SGPR: 15
; COMPUTE_PGM_RSRC2:TRAP_HANDLER: 0
; COMPUTE_PGM_RSRC2:TGID_X_EN: 1
; COMPUTE_PGM_RSRC2:TGID_Y_EN: 0
; COMPUTE_PGM_RSRC2:TGID_Z_EN: 0
; COMPUTE_PGM_RSRC2:TIDIG_COMP_CNT: 0
	.section	.text._Z12rdsmh_kernelIdEvPKT_PS0_S0_,"axG",@progbits,_Z12rdsmh_kernelIdEvPKT_PS0_S0_,comdat
	.protected	_Z12rdsmh_kernelIdEvPKT_PS0_S0_ ; -- Begin function _Z12rdsmh_kernelIdEvPKT_PS0_S0_
	.globl	_Z12rdsmh_kernelIdEvPKT_PS0_S0_
	.p2align	8
	.type	_Z12rdsmh_kernelIdEvPKT_PS0_S0_,@function
_Z12rdsmh_kernelIdEvPKT_PS0_S0_:        ; @_Z12rdsmh_kernelIdEvPKT_PS0_S0_
; %bb.0:
	s_clause 0x1
	s_load_b32 s2, s[0:1], 0x24
	s_load_b128 s[8:11], s[0:1], 0x0
	s_mov_b32 s4, 0x6b47b09a
	s_mov_b32 s6, 0xbf559e2b
	;; [unrolled: 1-line block ×4, first 2 shown]
	s_waitcnt lgkmcnt(0)
	s_and_b32 s12, s2, 0xffff
	s_clause 0x1
	s_load_b64 s[2:3], s[0:1], 0x10
	s_load_b32 s1, s[0:1], 0x18
	v_mad_u64_u32 v[1:2], null, s15, s12, v[0:1]
	s_waitcnt lgkmcnt(0)
	s_mul_i32 s33, s1, s12
	s_delay_alu instid0(VALU_DEP_1) | instid1(SALU_CYCLE_1)
	v_dual_mov_b32 v2, 0 :: v_dual_add_nc_u32 v9, s33, v1
	s_delay_alu instid0(VALU_DEP_1) | instskip(SKIP_1) | instid1(VALU_DEP_2)
	v_lshlrev_b64 v[10:11], 3, v[1:2]
	v_mov_b32_e32 v7, v2
	v_add_co_u32 v3, vcc_lo, s8, v10
	s_delay_alu instid0(VALU_DEP_3)
	v_add_co_ci_u32_e32 v4, vcc_lo, s9, v11, vcc_lo
	s_mov_b32 s9, 0x3fe62e42
	s_mov_b32 s8, 0xfefa39ef
	global_load_b64 v[3:4], v[3:4], off
	s_waitcnt vmcnt(0)
	v_mul_f64 v[3:4], v[3:4], s[2:3]
	s_mov_b32 s3, 0x3fe55555
	s_mov_b32 s2, 0x55555555
	s_delay_alu instid0(VALU_DEP_1) | instskip(SKIP_3) | instid1(VALU_DEP_4)
	v_frexp_mant_f64_e32 v[5:6], v[3:4]
	v_frexp_exp_i32_f64_e32 v0, v[3:4]
	v_div_scale_f64 v[26:27], null, v[3:4], v[3:4], 1.0
	v_cmp_ngt_f64_e64 s0, 0, v[3:4]
	v_cmp_gt_f64_e32 vcc_lo, s[2:3], v[5:6]
	s_mov_b32 s2, 0x55555780
	v_cndmask_b32_e64 v8, 0x3ff00000, 2.0, vcc_lo
	v_subrev_co_ci_u32_e32 v0, vcc_lo, 0, v0, vcc_lo
	s_delay_alu instid0(VALU_DEP_2) | instskip(NEXT) | instid1(VALU_DEP_1)
	v_mul_f64 v[5:6], v[5:6], v[7:8]
	v_add_f64 v[7:8], v[5:6], 1.0
	v_add_f64 v[16:17], v[5:6], -1.0
	s_delay_alu instid0(VALU_DEP_2) | instskip(SKIP_1) | instid1(VALU_DEP_1)
	v_rcp_f64_e32 v[12:13], v[7:8]
	v_add_f64 v[18:19], v[7:8], -1.0
	v_add_f64 v[5:6], v[5:6], -v[18:19]
	s_waitcnt_depctr 0xfff
	v_fma_f64 v[14:15], -v[7:8], v[12:13], 1.0
	s_delay_alu instid0(VALU_DEP_1) | instskip(NEXT) | instid1(VALU_DEP_1)
	v_fma_f64 v[12:13], v[14:15], v[12:13], v[12:13]
	v_fma_f64 v[14:15], -v[7:8], v[12:13], 1.0
	s_delay_alu instid0(VALU_DEP_1) | instskip(NEXT) | instid1(VALU_DEP_1)
	v_fma_f64 v[12:13], v[14:15], v[12:13], v[12:13]
	v_mul_f64 v[14:15], v[16:17], v[12:13]
	s_delay_alu instid0(VALU_DEP_1) | instskip(NEXT) | instid1(VALU_DEP_1)
	v_mul_f64 v[20:21], v[7:8], v[14:15]
	v_fma_f64 v[7:8], v[14:15], v[7:8], -v[20:21]
	s_delay_alu instid0(VALU_DEP_1) | instskip(NEXT) | instid1(VALU_DEP_1)
	v_fma_f64 v[5:6], v[14:15], v[5:6], v[7:8]
	v_add_f64 v[7:8], v[20:21], v[5:6]
	s_delay_alu instid0(VALU_DEP_1) | instskip(SKIP_1) | instid1(VALU_DEP_2)
	v_add_f64 v[18:19], v[16:17], -v[7:8]
	v_add_f64 v[20:21], v[7:8], -v[20:21]
	;; [unrolled: 1-line block ×3, first 2 shown]
	s_delay_alu instid0(VALU_DEP_2) | instskip(NEXT) | instid1(VALU_DEP_2)
	v_add_f64 v[5:6], v[20:21], -v[5:6]
	v_add_f64 v[7:8], v[16:17], -v[7:8]
	s_delay_alu instid0(VALU_DEP_1) | instskip(NEXT) | instid1(VALU_DEP_1)
	v_add_f64 v[5:6], v[5:6], v[7:8]
	v_add_f64 v[5:6], v[18:19], v[5:6]
	s_delay_alu instid0(VALU_DEP_1) | instskip(NEXT) | instid1(VALU_DEP_1)
	v_mul_f64 v[5:6], v[12:13], v[5:6]
	v_add_f64 v[7:8], v[14:15], v[5:6]
	s_delay_alu instid0(VALU_DEP_1) | instskip(NEXT) | instid1(VALU_DEP_1)
	v_mul_f64 v[12:13], v[7:8], v[7:8]
	v_fma_f64 v[16:17], v[12:13], s[6:7], s[4:5]
	s_mov_b32 s4, 0xd7f4df2e
	s_mov_b32 s5, 0x3fc7474d
	v_mul_f64 v[18:19], v[7:8], v[12:13]
	s_mov_b32 s7, 0x3c7abc9e
	s_mov_b32 s6, 0x3b39803f
	s_delay_alu instid0(VALU_DEP_2)
	v_fma_f64 v[16:17], v[12:13], v[16:17], s[4:5]
	s_mov_b32 s4, 0x16291751
	s_mov_b32 s5, 0x3fcc71c0
	s_delay_alu instid0(VALU_DEP_1) | instid1(SALU_CYCLE_1)
	v_fma_f64 v[16:17], v[12:13], v[16:17], s[4:5]
	s_mov_b32 s4, 0x9b27acf1
	s_mov_b32 s5, 0x3fd24924
	s_delay_alu instid0(VALU_DEP_1) | instid1(SALU_CYCLE_1)
	;; [unrolled: 4-line block ×3, first 2 shown]
	v_fma_f64 v[16:17], v[12:13], v[16:17], s[4:5]
	s_mov_b32 s4, exec_lo
	s_delay_alu instid0(VALU_DEP_1) | instskip(SKIP_3) | instid1(VALU_DEP_4)
	v_fma_f64 v[12:13], v[12:13], v[16:17], s[2:3]
	v_ldexp_f64 v[16:17], v[7:8], 1
	v_add_f64 v[7:8], v[7:8], -v[14:15]
	v_cmp_class_f64_e64 s2, v[3:4], 0x204
	v_mul_f64 v[12:13], v[18:19], v[12:13]
	v_cvt_f64_i32_e32 v[18:19], v0
	s_delay_alu instid0(VALU_DEP_4) | instskip(NEXT) | instid1(VALU_DEP_3)
	v_add_f64 v[5:6], v[5:6], -v[7:8]
	v_add_f64 v[14:15], v[16:17], v[12:13]
	s_delay_alu instid0(VALU_DEP_3) | instskip(NEXT) | instid1(VALU_DEP_3)
	v_mul_f64 v[20:21], v[18:19], s[8:9]
	v_ldexp_f64 v[5:6], v[5:6], 1
	s_delay_alu instid0(VALU_DEP_3) | instskip(NEXT) | instid1(VALU_DEP_3)
	v_add_f64 v[7:8], v[14:15], -v[16:17]
	v_fma_f64 v[16:17], v[18:19], s[8:9], -v[20:21]
	s_delay_alu instid0(VALU_DEP_2) | instskip(NEXT) | instid1(VALU_DEP_2)
	v_add_f64 v[7:8], v[12:13], -v[7:8]
	v_fma_f64 v[12:13], v[18:19], s[6:7], v[16:17]
	s_delay_alu instid0(VALU_DEP_2) | instskip(NEXT) | instid1(VALU_DEP_2)
	v_add_f64 v[5:6], v[5:6], v[7:8]
	v_add_f64 v[7:8], v[20:21], v[12:13]
	s_delay_alu instid0(VALU_DEP_2) | instskip(NEXT) | instid1(VALU_DEP_2)
	v_add_f64 v[16:17], v[14:15], v[5:6]
	v_add_f64 v[20:21], v[7:8], -v[20:21]
	s_delay_alu instid0(VALU_DEP_2) | instskip(SKIP_1) | instid1(VALU_DEP_3)
	v_add_f64 v[18:19], v[7:8], v[16:17]
	v_add_f64 v[14:15], v[16:17], -v[14:15]
	v_add_f64 v[12:13], v[12:13], -v[20:21]
	s_delay_alu instid0(VALU_DEP_3) | instskip(NEXT) | instid1(VALU_DEP_3)
	v_add_f64 v[22:23], v[18:19], -v[7:8]
	v_add_f64 v[5:6], v[5:6], -v[14:15]
	s_delay_alu instid0(VALU_DEP_2) | instskip(SKIP_2) | instid1(VALU_DEP_3)
	v_add_f64 v[24:25], v[18:19], -v[22:23]
	v_add_f64 v[14:15], v[16:17], -v[22:23]
	v_rcp_f64_e32 v[16:17], v[26:27]
	v_add_f64 v[20:21], v[12:13], v[5:6]
	s_delay_alu instid0(VALU_DEP_3) | instskip(NEXT) | instid1(VALU_DEP_2)
	v_add_f64 v[7:8], v[7:8], -v[24:25]
	v_add_f64 v[22:23], v[20:21], -v[12:13]
	s_delay_alu instid0(VALU_DEP_2) | instskip(SKIP_4) | instid1(VALU_DEP_3)
	v_add_f64 v[7:8], v[14:15], v[7:8]
	s_waitcnt_depctr 0xfff
	v_fma_f64 v[14:15], -v[26:27], v[16:17], 1.0
	v_add_f64 v[5:6], v[5:6], -v[22:23]
	v_add_f64 v[7:8], v[20:21], v[7:8]
	v_fma_f64 v[14:15], v[16:17], v[14:15], v[16:17]
	v_add_f64 v[16:17], v[20:21], -v[22:23]
	s_delay_alu instid0(VALU_DEP_3) | instskip(NEXT) | instid1(VALU_DEP_3)
	v_add_f64 v[20:21], v[18:19], v[7:8]
	v_fma_f64 v[24:25], -v[26:27], v[14:15], 1.0
	s_delay_alu instid0(VALU_DEP_3) | instskip(NEXT) | instid1(VALU_DEP_3)
	v_add_f64 v[12:13], v[12:13], -v[16:17]
	v_add_f64 v[16:17], v[20:21], -v[18:19]
	v_div_scale_f64 v[18:19], vcc_lo, 1.0, v[3:4], 1.0
	s_delay_alu instid0(VALU_DEP_3) | instskip(SKIP_1) | instid1(VALU_DEP_4)
	v_add_f64 v[5:6], v[5:6], v[12:13]
	v_fma_f64 v[14:15], v[14:15], v[24:25], v[14:15]
	v_add_f64 v[7:8], v[7:8], -v[16:17]
	s_delay_alu instid0(VALU_DEP_2) | instskip(NEXT) | instid1(VALU_DEP_2)
	v_mul_f64 v[12:13], v[18:19], v[14:15]
	v_add_f64 v[5:6], v[5:6], v[7:8]
	s_delay_alu instid0(VALU_DEP_2) | instskip(NEXT) | instid1(VALU_DEP_2)
	v_fma_f64 v[7:8], -v[26:27], v[12:13], v[18:19]
	v_add_f64 v[5:6], v[20:21], v[5:6]
	s_delay_alu instid0(VALU_DEP_2) | instskip(NEXT) | instid1(VALU_DEP_2)
	v_div_fmas_f64 v[7:8], v[7:8], v[14:15], v[12:13]
                                        ; implicit-def: $vgpr12_vgpr13
                                        ; implicit-def: $vgpr14_vgpr15
	v_cndmask_b32_e64 v6, v6, v4, s2
	s_delay_alu instid0(VALU_DEP_3) | instskip(NEXT) | instid1(VALU_DEP_3)
	v_cndmask_b32_e64 v5, v5, v3, s2
                                        ; implicit-def: $sgpr2_sgpr3
	v_div_fixup_f64 v[7:8], v[7:8], v[3:4], 1.0
	s_delay_alu instid0(VALU_DEP_2) | instskip(NEXT) | instid1(VALU_DEP_1)
	v_add_f64 v[5:6], v[5:6], -1.0
	v_cndmask_b32_e64 v0, 0x7ff80000, v6, s0
	v_cmp_nge_f64_e64 s0, 0, v[3:4]
	s_delay_alu instid0(VALU_DEP_1) | instskip(SKIP_1) | instid1(VALU_DEP_1)
	v_cndmask_b32_e64 v5, 0, v5, s0
	v_cmp_neq_f64_e64 s0, 0, v[3:4]
	v_cndmask_b32_e64 v6, 0xfff00000, v0, s0
                                        ; implicit-def: $sgpr0_sgpr1
	v_cmpx_nlt_f64_e32 0x408f4000, v[3:4]
	s_xor_b32 s38, exec_lo, s4
	s_cbranch_execz .LBB28_2
; %bb.1:
	s_mov_b32 s0, 0x3f5fda7
	s_mov_b32 s2, 0xecc7a7b5
	;; [unrolled: 1-line block ×5, first 2 shown]
	v_fma_f64 v[12:13], v[3:4], s[2:3], s[0:1]
	s_mov_b32 s0, 0x496161b4
	s_mov_b32 s2, 0x3bfb58d1
	;; [unrolled: 1-line block ×5, first 2 shown]
	v_fma_f64 v[14:15], v[7:8], s[2:3], s[0:1]
	s_mov_b32 s0, 0xac9b2911
	s_mov_b32 s2, 0x5caab342
	;; [unrolled: 1-line block ×31, first 2 shown]
	v_fma_f64 v[12:13], v[3:4], v[12:13], s[4:5]
	s_mov_b32 s4, 0xaab581f1
	s_mov_b32 s5, 0xbcb7f85e
	;; [unrolled: 1-line block ×5, first 2 shown]
	v_fma_f64 v[14:15], v[5:6], s[0:1], v[14:15]
	s_mov_b32 s0, 0x2ac5033d
	s_mov_b32 s1, 0x3c0c4b88
	s_mov_b32 s43, 0x3ff9ac4b
	s_mov_b32 s45, 0xc0d00f3f
	v_add_co_u32 v91, vcc_lo, s10, v10
	v_fma_f64 v[89:90], v[7:8], s[44:45], s[42:43]
	v_add_co_ci_u32_e32 v92, vcc_lo, s11, v11, vcc_lo
	s_mov_b32 s42, 0xe48e8a72
	s_mov_b32 s44, 0xa9253b9f
	;; [unrolled: 1-line block ×8, first 2 shown]
	v_fma_f64 v[12:13], v[3:4], v[12:13], s[2:3]
	s_mov_b32 s2, 0x33011ea8
	s_mov_b32 s3, 0xbb4c09fb
	s_delay_alu instid0(SALU_CYCLE_1) | instskip(SKIP_4) | instid1(VALU_DEP_2)
	v_fma_f64 v[19:20], v[3:4], s[2:3], s[0:1]
	s_mov_b32 s0, 0xad546a18
	s_mov_b32 s2, 0x3bcd35a8
	;; [unrolled: 1-line block ×4, first 2 shown]
	v_fma_f64 v[17:18], v[3:4], v[12:13], v[14:15]
	v_fma_f64 v[12:13], v[7:8], s[2:3], s[0:1]
	s_mov_b32 s0, 0x89193451
	s_mov_b32 s2, 0xa8926402
	s_delay_alu instid0(VALU_DEP_3)
	v_fma_f64 v[14:15], v[3:4], v[19:20], s[4:5]
	s_mov_b32 s1, 0xbe018beb
	s_mov_b32 s3, 0x3d3dbba8
	;; [unrolled: 1-line block ×3, first 2 shown]
	v_fma_f64 v[21:22], v[3:4], s[2:3], s[0:1]
	s_mov_b32 s0, 0xdfaaca22
	s_mov_b32 s2, 0xae87f7e5
	;; [unrolled: 1-line block ×5, first 2 shown]
	v_fma_f64 v[23:24], v[3:4], s[2:3], s[0:1]
	s_mov_b32 s0, 0xbf5fb7e0
	s_mov_b32 s1, 0x3d58d112
	;; [unrolled: 1-line block ×4, first 2 shown]
	v_mul_f64 v[19:20], v[17:18], s[12:13]
	v_fma_f64 v[12:13], 0x40040000, v[5:6], v[12:13]
	v_cmp_nlt_f64_e32 vcc_lo, 0x40900000, v[17:18]
	v_fma_f64 v[14:15], v[3:4], v[14:15], s[0:1]
	s_mov_b32 s0, 0x1702251e
	s_mov_b32 s1, 0x40006a5c
	v_fma_f64 v[21:22], v[3:4], v[21:22], s[4:5]
	s_mov_b32 s4, 0x2cda255f
	s_mov_b32 s5, 0x3ebb88f9
	s_delay_alu instid0(SALU_CYCLE_1)
	v_fma_f64 v[23:24], v[3:4], v[23:24], s[4:5]
	s_mov_b32 s4, 0x53a8043c
	s_mov_b32 s5, 0x3ea9d34c
	v_rndne_f64_e32 v[41:42], v[19:20]
	v_fma_f64 v[19:20], v[7:8], s[2:3], s[0:1]
	s_mov_b32 s0, 0x7e3dc88d
	s_mov_b32 s2, 0x3497b741
	;; [unrolled: 1-line block ×4, first 2 shown]
	v_fma_f64 v[25:26], v[3:4], v[14:15], v[12:13]
	v_fma_f64 v[27:28], v[7:8], s[2:3], s[0:1]
	s_mov_b32 s0, 0x6bdbf12d
	s_mov_b32 s2, 0xe5787a18
	;; [unrolled: 1-line block ×4, first 2 shown]
	s_delay_alu instid0(VALU_DEP_4) | instskip(NEXT) | instid1(VALU_DEP_4)
	v_fma_f64 v[12:13], v[41:42], s[8:9], v[17:18]
	v_fma_f64 v[14:15], v[5:6], s[0:1], v[19:20]
	;; [unrolled: 1-line block ×3, first 2 shown]
	s_mov_b32 s0, 0x7ae5fa45
	s_mov_b32 s2, 0x66c8c0df
	;; [unrolled: 1-line block ×4, first 2 shown]
	s_delay_alu instid0(VALU_DEP_4)
	v_fma_f64 v[21:22], v[5:6], s[0:1], v[27:28]
	v_fma_f64 v[23:24], v[3:4], v[23:24], s[2:3]
	v_mul_f64 v[27:28], v[25:26], s[12:13]
	s_mov_b32 s0, 0x38718345
	s_mov_b32 s2, 0xbce74b0f
	;; [unrolled: 1-line block ×4, first 2 shown]
	v_cvt_i32_f64_e32 v0, v[41:42]
	v_fma_f64 v[55:56], v[41:42], s[6:7], v[12:13]
	v_fma_f64 v[19:20], v[3:4], v[19:20], v[14:15]
	;; [unrolled: 1-line block ×3, first 2 shown]
	v_rndne_f64_e32 v[23:24], v[27:28]
	v_fma_f64 v[27:28], v[3:4], s[2:3], s[0:1]
	s_mov_b32 s0, 0x340991cc
	s_mov_b32 s2, 0x63eb52f4
	;; [unrolled: 1-line block ×4, first 2 shown]
	s_delay_alu instid0(SALU_CYCLE_1)
	v_fma_f64 v[31:32], v[3:4], s[2:3], s[0:1]
	s_mov_b32 s0, 0xdb54f242
	s_mov_b32 s2, 0x3f290abb
	;; [unrolled: 1-line block ×4, first 2 shown]
	v_fma_f64 v[12:13], v[55:56], s[16:17], s[14:15]
	v_mul_f64 v[21:22], v[19:20], s[12:13]
	v_mul_f64 v[29:30], v[15:16], s[12:13]
	v_fma_f64 v[33:34], v[23:24], s[8:9], v[25:26]
	v_fma_f64 v[27:28], v[3:4], v[27:28], s[4:5]
	s_mov_b32 s4, 0x54155c03
	s_mov_b32 s5, 0x3eb23b7c
	v_cvt_i32_f64_e32 v93, v[23:24]
	v_fma_f64 v[31:32], v[3:4], v[31:32], s[4:5]
	s_mov_b32 s4, 0xa0c9e349
	s_mov_b32 s5, 0x3d6058db
	v_fma_f64 v[12:13], v[55:56], v[12:13], s[18:19]
	v_rndne_f64_e32 v[37:38], v[21:22]
	v_fma_f64 v[21:22], v[7:8], s[2:3], s[0:1]
	s_mov_b32 s0, 0x97d38a9b
	s_mov_b32 s2, 0x8240b780
	;; [unrolled: 1-line block ×4, first 2 shown]
	v_rndne_f64_e32 v[35:36], v[29:30]
	v_fma_f64 v[39:40], v[7:8], s[2:3], s[0:1]
	v_fma_f64 v[29:30], v[23:24], s[6:7], v[33:34]
	s_mov_b32 s0, 0xc927d1ab
	s_mov_b32 s2, 0x86e71c7d
	s_mov_b32 s1, 0x400fefa5
	s_mov_b32 s3, 0xbf53abed
	s_delay_alu instid0(SALU_CYCLE_1)
	v_fma_f64 v[27:28], v[3:4], v[27:28], s[2:3]
	s_mov_b32 s2, 0x603eb53
	s_mov_b32 s3, 0xbe2160b2
	v_fma_f64 v[51:52], v[3:4], v[31:32], s[24:25]
	v_fma_f64 v[43:44], v[3:4], s[4:5], s[2:3]
	s_mov_b32 s2, 0x5db1dd3d
	s_mov_b32 s3, 0x3d5e584c
	s_mov_b32 s4, 0xbe1b8171
	s_mov_b32 s5, 0x3ecd94d8
	s_mov_b32 s24, 0x1852b7b0
	s_mov_b32 s25, 0x3f56c16c
	v_fma_f64 v[12:13], v[55:56], v[12:13], s[22:23]
	v_fma_f64 v[33:34], v[37:38], s[8:9], v[19:20]
	v_fma_f64 v[21:22], v[5:6], s[0:1], v[21:22]
	s_mov_b32 s0, 0x6e536fbf
	s_mov_b32 s1, 0x4010cb68
	v_fma_f64 v[47:48], v[35:36], s[8:9], v[15:16]
	v_fma_f64 v[49:50], v[5:6], s[0:1], v[39:40]
	s_mov_b32 s0, 0x7cc28d93
	s_mov_b32 s1, 0xbe1ee415
	v_fma_f64 v[53:54], v[29:30], s[16:17], s[14:15]
	v_fma_f64 v[57:58], v[3:4], s[2:3], s[0:1]
	s_mov_b32 s0, 0x85c82b7d
	s_mov_b32 s2, 0xbb59ddc2
	;; [unrolled: 1-line block ×4, first 2 shown]
	v_fma_f64 v[12:13], v[55:56], v[12:13], s[20:21]
	v_fma_f64 v[45:46], v[37:38], s[6:7], v[33:34]
	;; [unrolled: 1-line block ×5, first 2 shown]
	s_mov_b32 s0, 0x41205bc0
	s_mov_b32 s2, 0x932e9587
	v_fma_f64 v[39:40], v[35:36], s[6:7], v[47:48]
	s_mov_b32 s1, 0x40d149a5
	s_mov_b32 s3, 0x3ec7652d
	v_fma_f64 v[33:34], v[3:4], v[51:52], v[49:50]
	v_fma_f64 v[47:48], v[7:8], s[0:1], s[26:27]
	;; [unrolled: 1-line block ×4, first 2 shown]
	s_mov_b32 s0, 0x899bcaa1
	s_mov_b32 s2, 0x53b75995
	;; [unrolled: 1-line block ×8, first 2 shown]
	v_fma_f64 v[12:13], v[55:56], v[12:13], s[24:25]
	v_fma_f64 v[51:52], v[45:46], s[16:17], s[14:15]
	v_mul_f64 v[53:54], v[31:32], s[12:13]
	v_fma_f64 v[21:22], v[5:6], s[0:1], v[21:22]
	v_fma_f64 v[27:28], v[3:4], v[27:28], s[2:3]
	s_mov_b32 s0, 0x48f63e0a
	s_mov_b32 s2, 0x431acf9e
	v_fma_f64 v[57:58], v[39:40], s[16:17], s[14:15]
	s_mov_b32 s1, 0x40111abd
	s_mov_b32 s3, 0xbf31c986
	v_mul_f64 v[59:60], v[33:34], s[12:13]
	v_fma_f64 v[63:64], v[5:6], s[0:1], v[47:48]
	v_fma_f64 v[49:50], v[3:4], v[49:50], s[2:3]
	;; [unrolled: 1-line block ×3, first 2 shown]
	s_mov_b32 s0, 0x877f5cc3
	s_mov_b32 s2, 0xbc981c95
	;; [unrolled: 1-line block ×4, first 2 shown]
	v_fma_f64 v[12:13], v[55:56], v[12:13], s[26:27]
	v_fma_f64 v[51:52], v[45:46], v[51:52], s[18:19]
	v_rndne_f64_e32 v[43:44], v[53:54]
	v_fma_f64 v[53:54], v[3:4], s[2:3], s[0:1]
	v_fma_f64 v[27:28], v[3:4], v[27:28], v[21:22]
	s_mov_b32 s0, 0x48d028
	s_mov_b32 s2, 0xb1c432ca
	v_fma_f64 v[57:58], v[39:40], v[57:58], s[18:19]
	s_mov_b32 s1, 0x4000ac0e
	s_mov_b32 s3, 0xc0f148d4
	v_rndne_f64_e32 v[47:48], v[59:60]
	v_fma_f64 v[21:22], v[3:4], v[49:50], v[63:64]
	v_fma_f64 v[59:60], v[29:30], v[61:62], s[20:21]
	;; [unrolled: 1-line block ×3, first 2 shown]
	s_mov_b32 s0, 0xfde64a4c
	s_mov_b32 s2, 0xfea885d
	;; [unrolled: 1-line block ×4, first 2 shown]
	v_fma_f64 v[12:13], v[55:56], v[12:13], s[28:29]
	v_fma_f64 v[49:50], v[45:46], v[51:52], s[22:23]
	;; [unrolled: 1-line block ×4, first 2 shown]
	v_mul_f64 v[65:66], v[27:28], s[12:13]
	s_mov_b32 s4, 0x339e18d3
	s_mov_b32 s5, 0x3e9f42aa
	v_fma_f64 v[57:58], v[39:40], v[57:58], s[22:23]
	v_fma_f64 v[67:68], v[47:48], s[8:9], v[33:34]
	v_mul_f64 v[71:72], v[21:22], s[12:13]
	v_fma_f64 v[69:70], v[29:30], v[59:60], s[24:25]
	v_fma_f64 v[61:62], v[5:6], s[0:1], v[61:62]
	s_mov_b32 s0, 0xfa14af60
	s_mov_b32 s1, 0xbdf60d7e
	v_fma_f64 v[12:13], v[55:56], v[12:13], s[34:35]
	v_fma_f64 v[73:74], v[45:46], v[49:50], s[20:21]
	;; [unrolled: 1-line block ×4, first 2 shown]
	v_rndne_f64_e32 v[49:50], v[65:66]
	s_mov_b32 s2, 0xa708a0d3
	s_mov_b32 s3, 0x3d37bf8f
	v_fma_f64 v[57:58], v[39:40], v[57:58], s[20:21]
	v_fma_f64 v[59:60], v[47:48], s[6:7], v[67:68]
	v_rndne_f64_e32 v[51:52], v[71:72]
	v_fma_f64 v[65:66], v[29:30], v[69:70], s[26:27]
	v_fma_f64 v[67:68], v[55:56], v[12:13], s[30:31]
	;; [unrolled: 1-line block ×7, first 2 shown]
	s_mov_b32 s0, 0x65ab5584
	v_fma_f64 v[57:58], v[39:40], v[57:58], s[24:25]
	s_mov_b32 s2, 0x487fcb92
	s_mov_b32 s1, 0x3ff90021
	v_fma_f64 v[63:64], v[59:60], s[16:17], s[14:15]
	s_mov_b32 s3, 0xc0e67681
	v_fma_f64 v[75:76], v[51:52], s[8:9], v[21:22]
	v_fma_f64 v[65:66], v[29:30], v[65:66], s[28:29]
	v_fma_f64 v[77:78], v[7:8], s[2:3], s[0:1]
	s_mov_b32 s0, 0x15bab05d
	s_mov_b32 s2, 0x1c91768b
	;; [unrolled: 1-line block ×4, first 2 shown]
	v_fma_f64 v[67:68], v[55:56], v[67:68], 1.0
	v_fma_f64 v[69:70], v[45:46], v[69:70], s[26:27]
	v_fma_f64 v[73:74], v[3:4], v[73:74], s[4:5]
	v_mul_f64 v[79:80], v[13:14], s[12:13]
	v_fma_f64 v[61:62], v[49:50], s[6:7], v[61:62]
	s_mov_b32 s4, 0xbdaf257e
	s_mov_b32 s5, 0xbe03ac9f
	v_fma_f64 v[57:58], v[39:40], v[57:58], s[26:27]
	v_fma_f64 v[71:72], v[53:54], v[71:72], s[18:19]
	v_fma_f64 v[63:64], v[59:60], v[63:64], s[18:19]
	v_fma_f64 v[65:66], v[29:30], v[65:66], s[34:35]
	v_fma_f64 v[55:56], v[55:56], v[67:68], 1.0
	v_fma_f64 v[67:68], v[51:52], s[6:7], v[75:76]
	v_fma_f64 v[75:76], v[3:4], s[2:3], s[0:1]
	s_mov_b32 s0, 0x21fd8e05
	s_mov_b32 s1, 0x3d41e69b
	v_fma_f64 v[69:70], v[45:46], v[69:70], s[28:29]
	v_fma_f64 v[81:82], v[3:4], s[0:1], s[4:5]
	s_mov_b32 s0, 0x46480de1
	s_mov_b32 s2, 0x1614006e
	v_fma_f64 v[57:58], v[39:40], v[57:58], s[28:29]
	s_mov_b32 s1, 0x400e19f7
	s_mov_b32 s3, 0x3f3fbf7d
	s_mov_b32 s4, 0x613ff21a
	v_fma_f64 v[77:78], v[5:6], s[0:1], v[77:78]
	v_fma_f64 v[73:74], v[3:4], v[73:74], s[2:3]
	s_mov_b32 s0, 0x4468a2a1
	s_mov_b32 s2, 0x7731d0ca
	;; [unrolled: 1-line block ×3, first 2 shown]
	v_rndne_f64_e32 v[41:42], v[79:80]
	s_mov_b32 s1, 0xbe315981
	s_mov_b32 s3, 0x3d6d533a
	v_fma_f64 v[79:80], v[61:62], s[16:17], s[14:15]
	v_fma_f64 v[83:84], v[7:8], s[36:37], s[4:5]
	;; [unrolled: 1-line block ×3, first 2 shown]
	s_mov_b32 s0, 0xa80c32ff
	s_mov_b32 s1, 0x3eb005d9
	v_fma_f64 v[71:72], v[53:54], v[71:72], s[22:23]
	v_fma_f64 v[63:64], v[59:60], v[63:64], s[22:23]
	;; [unrolled: 1-line block ×3, first 2 shown]
	s_mov_b32 s2, 0xe035346a
	s_mov_b32 s3, 0x4010cb5e
	s_mov_b32 s4, 0x52eb8373
	s_mov_b32 s36, 0x5d17324c
	s_mov_b32 s5, 0xbf536326
	s_mov_b32 s37, 0x400d6383
	v_ldexp_f64 v[55:56], v[55:56], v0
	v_fma_f64 v[85:86], v[67:68], s[16:17], s[14:15]
	v_fma_f64 v[75:76], v[3:4], v[75:76], s[40:41]
	s_mov_b32 s40, 0xeed001e0
	s_mov_b32 s41, 0xc01290b1
	v_fma_f64 v[69:70], v[45:46], v[69:70], s[34:35]
	v_fma_f64 v[81:82], v[3:4], v[81:82], s[0:1]
	v_cmp_ngt_f64_e64 s0, 0xc090cc00, v[17:18]
	v_fma_f64 v[17:18], v[7:8], s[42:43], s[40:41]
	v_fma_f64 v[57:58], v[39:40], v[57:58], s[34:35]
	s_mov_b32 s40, 0xb6cd6efa
	s_mov_b32 s41, 0xbf7bff87
	;; [unrolled: 1-line block ×4, first 2 shown]
	v_fma_f64 v[11:12], v[3:4], v[73:74], v[77:78]
	v_fma_f64 v[73:74], v[41:42], s[8:9], v[13:14]
	v_fma_f64 v[77:78], v[61:62], v[79:80], s[18:19]
	v_fma_f64 v[79:80], v[5:6], s[2:3], v[83:84]
	s_mov_b32 s2, 0x81608816
	s_mov_b32 s3, 0x3f507945
	v_fma_f64 v[71:72], v[53:54], v[71:72], s[20:21]
	v_fma_f64 v[63:64], v[59:60], v[63:64], s[20:21]
	v_fma_f64 v[65:66], v[29:30], v[65:66], 1.0
	v_cndmask_b32_e32 v0, 0x7ff00000, v56, vcc_lo
	v_fma_f64 v[83:84], v[67:68], v[85:86], s[18:19]
	v_fma_f64 v[85:86], v[3:4], v[87:88], s[44:45]
	;; [unrolled: 1-line block ×6, first 2 shown]
	s_mov_b32 s2, 0x20d33445
	s_mov_b32 s4, 0x1efa0089
	v_fma_f64 v[56:57], v[39:40], v[57:58], s[30:31]
	s_mov_b32 s36, 0xb9906b82
	s_mov_b32 s3, 0x40149979
	;; [unrolled: 1-line block ×4, first 2 shown]
	s_and_b32 vcc_lo, s0, vcc_lo
	v_mov_b32_e32 v10, v2
	s_mov_b32 s44, 0x59e0e268
	s_mov_b32 s45, 0xbe130fc8
	v_fma_f64 v[69:70], v[41:42], s[6:7], v[73:74]
	v_fma_f64 v[73:74], v[61:62], v[77:78], s[22:23]
	;; [unrolled: 1-line block ×4, first 2 shown]
	v_fma_f64 v[29:30], v[29:30], v[65:66], 1.0
	v_fma_f64 v[65:66], v[3:4], s[36:37], s[4:5]
	s_mov_b32 s4, 0xe274a9cb
	s_mov_b32 s36, 0x20c49ba
	;; [unrolled: 1-line block ×4, first 2 shown]
	v_fma_f64 v[77:78], v[67:68], v[83:84], s[22:23]
	v_fma_f64 v[83:84], v[5:6], s[2:3], v[17:18]
	;; [unrolled: 1-line block ×4, first 2 shown]
	v_fma_f64 v[75:76], v[45:46], v[89:90], 1.0
	v_fma_f64 v[17:18], v[3:4], v[81:82], v[87:88]
	v_cndmask_b32_e32 v81, 0, v55, vcc_lo
	v_mul_f64 v[79:80], v[11:12], s[12:13]
	v_cndmask_b32_e64 v82, 0, v0, s0
	v_fma_f64 v[55:56], v[39:40], v[56:57], 1.0
	v_lshlrev_b64 v[57:58], 3, v[9:10]
	s_mov_b32 s40, 0x5fda8f8
	s_mov_b32 s41, 0x3dec2a6c
	global_store_b64 v[91:92], v[81:82], off
	v_fma_f64 v[89:90], v[3:4], s[42:43], s[40:41]
	s_mov_b32 s2, 0x92797344
	s_mov_b32 s0, 0xd08716ee
	v_fma_f64 v[81:82], v[69:70], s[16:17], s[14:15]
	v_add_co_u32 v57, vcc_lo, s10, v57
	s_mov_b32 s3, 0x3e86bee9
	s_mov_b32 s1, 0x3d4e8615
	v_add_co_ci_u32_e32 v58, vcc_lo, s11, v58, vcc_lo
	v_fma_f64 v[87:88], v[7:8], s[36:37], s[4:5]
	v_fma_f64 v[71:72], v[53:54], v[71:72], s[26:27]
	;; [unrolled: 1-line block ×4, first 2 shown]
	v_ldexp_f64 v[91:92], v[29:30], v93
	v_fma_f64 v[93:94], v[3:4], s[0:1], s[44:45]
	v_fma_f64 v[95:96], v[3:4], v[65:66], s[2:3]
	v_cmp_nlt_f64_e32 vcc_lo, 0x40900000, v[25:26]
	s_mov_b32 s0, 0xb771c6c2
	s_mov_b32 s36, 0x7c84b5e
	;; [unrolled: 1-line block ×6, first 2 shown]
	v_fma_f64 v[77:78], v[67:68], v[77:78], s[20:21]
	s_mov_b32 s2, 0x71a4b2fd
	v_fma_f64 v[29:30], v[3:4], v[85:86], v[83:84]
	v_mul_f64 v[83:84], v[23:24], s[12:13]
	v_fma_f64 v[45:46], v[45:46], v[75:76], 1.0
	v_mul_f64 v[75:76], v[17:18], s[12:13]
	s_mov_b32 s4, 0x8c1ba1b0
	v_rndne_f64_e32 v[65:66], v[79:80]
	v_fma_f64 v[79:80], v[7:8], s[36:37], s[0:1]
	s_mov_b32 s42, 0xbb8a5a37
	s_mov_b32 s44, 0x426fe719
	;; [unrolled: 1-line block ×5, first 2 shown]
	v_fma_f64 v[85:86], v[3:4], v[89:90], s[40:41]
	s_mov_b32 s45, 0xc0adff21
	v_cvt_i32_f64_e32 v0, v[37:38]
	v_fma_f64 v[81:82], v[69:70], v[81:82], s[18:19]
	v_fma_f64 v[55:56], v[39:40], v[55:56], 1.0
	v_cmp_ngt_f64_e64 s0, 0xc090cc00, v[25:26]
	v_fma_f64 v[25:26], v[7:8], s[44:45], s[42:43]
	v_add_nc_u32_e32 v9, s33, v9
	s_mov_b32 s36, 0x3dfa2eee
	s_mov_b32 s37, 0x3d672e83
	v_fma_f64 v[87:88], v[5:6], s[2:3], v[87:88]
	v_fma_f64 v[71:72], v[53:54], v[71:72], s[28:29]
	;; [unrolled: 1-line block ×4, first 2 shown]
	s_mov_b32 s2, 0x1343d496
	v_fma_f64 v[89:90], v[3:4], v[93:94], s[46:47]
	v_cvt_i32_f64_e32 v94, v[35:36]
	v_cndmask_b32_e32 v10, 0x7ff00000, v92, vcc_lo
	v_fma_f64 v[92:93], v[3:4], v[95:96], s[4:5]
	s_mov_b32 s4, 0x2ab3e914
	s_mov_b32 s3, 0x4002daac
	;; [unrolled: 1-line block ×5, first 2 shown]
	v_fma_f64 v[77:78], v[67:68], v[77:78], s[24:25]
	s_mov_b32 s41, 0x3e240dd9
	s_mov_b32 s43, 0xbd5de8c6
	v_rndne_f64_e32 v[39:40], v[83:84]
	s_mov_b32 s44, 0x15d06efb
	v_rndne_f64_e32 v[37:38], v[75:76]
	s_mov_b32 s45, 0xbed8d40c
	v_fma_f64 v[35:36], v[65:66], s[8:9], v[11:12]
	v_fma_f64 v[79:80], v[5:6], s[2:3], v[79:80]
	s_mov_b32 s2, 0x8a748d9c
	s_mov_b32 s3, 0x4010e27e
	s_mov_b32 s46, 0x6846b667
	s_mov_b32 s47, 0x3d2ba34d
	v_fma_f64 v[83:84], v[3:4], v[85:86], s[4:5]
	s_mov_b32 s4, 0x251f436f
	s_mov_b32 s5, 0xbf5a9301
	v_fma_f64 v[81:82], v[69:70], v[81:82], s[22:23]
	v_ldexp_f64 v[45:46], v[45:46], v0
	s_and_b32 vcc_lo, s0, vcc_lo
	v_fma_f64 v[85:86], v[5:6], s[2:3], v[25:26]
	v_cmp_ngt_f64_e64 s2, 0xc090cc00, v[15:16]
	v_fma_f64 v[75:76], v[53:54], v[71:72], s[34:35]
	v_fma_f64 v[63:64], v[59:60], v[63:64], s[34:35]
	;; [unrolled: 1-line block ×4, first 2 shown]
	s_mov_b32 s4, 0xd59a1ba5
	s_mov_b32 s5, 0xbe2b2679
	v_fma_f64 v[25:26], v[3:4], v[92:93], v[87:88]
	v_ldexp_f64 v[92:93], v[55:56], v94
	v_cndmask_b32_e64 v56, 0, v10, s0
	v_dual_cndmask_b32 v55, 0, v91 :: v_dual_mov_b32 v10, v2
	v_cmp_ngt_f64_e64 s0, 0xc090cc00, v[19:20]
	v_fma_f64 v[77:78], v[67:68], v[77:78], s[26:27]
	global_store_b64 v[57:58], v[55:56], off
	v_fma_f64 v[87:88], v[39:40], s[8:9], v[23:24]
	v_fma_f64 v[94:95], v[37:38], s[8:9], v[17:18]
	;; [unrolled: 1-line block ×3, first 2 shown]
	v_lshlrev_b64 v[35:36], 3, v[9:10]
	v_add_nc_u32_e32 v9, s33, v9
	s_delay_alu instid0(VALU_DEP_1) | instskip(NEXT) | instid1(VALU_DEP_3)
	v_lshlrev_b64 v[55:56], 3, v[9:10]
	v_add_co_u32 v96, vcc_lo, s10, v35
	s_delay_alu instid0(VALU_DEP_4)
	v_add_co_ci_u32_e32 v97, vcc_lo, s11, v36, vcc_lo
	v_fma_f64 v[35:36], v[3:4], v[83:84], v[79:80]
	v_fma_f64 v[79:80], v[69:70], v[81:82], s[20:21]
	v_add_co_u32 v81, s1, s10, v55
	v_cmp_nlt_f64_e32 vcc_lo, 0x40900000, v[19:20]
	v_add_co_ci_u32_e64 v82, s1, s11, v56, s1
	v_fma_f64 v[75:76], v[53:54], v[75:76], s[30:31]
	v_fma_f64 v[63:64], v[59:60], v[63:64], s[30:31]
	;; [unrolled: 1-line block ×3, first 2 shown]
	v_mul_f64 v[83:84], v[29:30], s[12:13]
	v_fma_f64 v[19:20], v[3:4], v[89:90], v[85:86]
	v_cmp_nlt_f64_e64 s1, 0x40900000, v[15:16]
	v_mul_f64 v[85:86], v[25:26], s[12:13]
	v_add_nc_u32_e32 v9, s33, v9
	v_fma_f64 v[77:78], v[67:68], v[77:78], s[28:29]
	v_fma_f64 v[55:56], v[39:40], s[6:7], v[87:88]
	;; [unrolled: 1-line block ×3, first 2 shown]
	v_cvt_i32_f64_e32 v95, v[49:50]
	v_fma_f64 v[15:16], v[71:72], s[16:17], s[14:15]
	v_mul_f64 v[89:90], v[35:36], s[12:13]
	v_fma_f64 v[79:80], v[69:70], v[79:80], s[24:25]
	v_cndmask_b32_e32 v0, 0x7ff00000, v46, vcc_lo
	s_and_b32 vcc_lo, s0, vcc_lo
	v_fma_f64 v[75:76], v[53:54], v[75:76], 1.0
	v_fma_f64 v[63:64], v[59:60], v[63:64], 1.0
	v_fma_f64 v[73:74], v[61:62], v[73:74], s[34:35]
	v_cndmask_b32_e32 v87, 0, v45, vcc_lo
	v_rndne_f64_e32 v[45:46], v[83:84]
	v_cndmask_b32_e64 v91, 0x7ff00000, v93, s1
	v_cvt_i32_f64_e32 v93, v[43:44]
	v_rndne_f64_e32 v[43:44], v[85:86]
	s_and_b32 vcc_lo, s2, s1
	v_cndmask_b32_e64 v88, 0, v0, s0
	v_cvt_i32_f64_e32 v0, v[47:48]
	s_mov_b32 s0, 0x47636be0
	v_fma_f64 v[77:78], v[67:68], v[77:78], s[34:35]
	s_mov_b32 s1, 0x3fe34a3e
	global_store_b64 v[96:97], v[87:88], off
	v_fma_f64 v[83:84], v[55:56], s[16:17], s[14:15]
	v_fma_f64 v[87:88], v[3:4], s[36:37], s[4:5]
	;; [unrolled: 1-line block ×3, first 2 shown]
	s_mov_b32 s4, 0x3ea672eb
	v_fma_f64 v[15:16], v[71:72], v[15:16], s[18:19]
	s_mov_b32 s5, 0x3eda1708
	v_cvt_i32_f64_e32 v96, v[51:52]
	s_mov_b32 s36, 0x47e5fda7
	s_mov_b32 s37, 0xbe051fdd
	v_fma_f64 v[47:48], v[69:70], v[79:80], s[26:27]
	v_cndmask_b32_e64 v80, 0, v91, s2
	v_cndmask_b32_e32 v79, 0, v92, vcc_lo
	v_lshlrev_b64 v[91:92], 3, v[9:10]
	s_mov_b32 s2, 0x7525460b
	s_mov_b32 s3, 0x40cbf27a
	v_fma_f64 v[75:76], v[53:54], v[75:76], 1.0
	v_fma_f64 v[59:60], v[59:60], v[63:64], 1.0
	v_mul_f64 v[63:64], v[19:20], s[12:13]
	v_fma_f64 v[73:74], v[61:62], v[73:74], s[30:31]
	global_store_b64 v[81:82], v[79:80], off
	v_fma_f64 v[79:80], v[45:46], s[8:9], v[29:30]
	v_rndne_f64_e32 v[53:54], v[89:90]
	v_fma_f64 v[89:90], v[43:44], s[8:9], v[25:26]
	v_add_co_u32 v81, vcc_lo, s10, v91
	v_fma_f64 v[49:50], v[7:8], s[2:3], s[0:1]
	v_add_co_ci_u32_e32 v82, vcc_lo, s11, v92, vcc_lo
	v_fma_f64 v[77:78], v[67:68], v[77:78], s[30:31]
	v_cmp_nlt_f64_e32 vcc_lo, 0x40900000, v[31:32]
	v_fma_f64 v[83:84], v[55:56], v[83:84], s[18:19]
	v_fma_f64 v[87:88], v[3:4], v[87:88], s[4:5]
	v_fma_f64 v[85:86], v[57:58], v[85:86], s[18:19]
	s_mov_b32 s0, 0xc2ed4ffa
	v_fma_f64 v[15:16], v[71:72], v[15:16], s[22:23]
	s_mov_b32 s1, 0x40132cc5
	s_mov_b32 s2, 0x9984744
	;; [unrolled: 1-line block ×5, first 2 shown]
	v_fma_f64 v[91:92], v[69:70], v[47:48], s[28:29]
	v_ldexp_f64 v[75:76], v[75:76], v93
	v_ldexp_f64 v[93:94], v[59:60], v0
	v_rndne_f64_e32 v[47:48], v[63:64]
	v_fma_f64 v[73:74], v[61:62], v[73:74], 1.0
	v_fma_f64 v[63:64], v[45:46], s[6:7], v[79:80]
	v_fma_f64 v[59:60], v[53:54], s[8:9], v[35:36]
	;; [unrolled: 1-line block ×4, first 2 shown]
	v_cmp_ngt_f64_e64 s0, 0xc090cc00, v[31:32]
	v_cmp_nlt_f64_e64 s1, 0x40900000, v[33:34]
	v_fma_f64 v[77:78], v[67:68], v[77:78], 1.0
	v_fma_f64 v[79:80], v[55:56], v[83:84], s[22:23]
	v_fma_f64 v[87:88], v[3:4], v[87:88], s[2:3]
	;; [unrolled: 1-line block ×3, first 2 shown]
	v_cmp_ngt_f64_e64 s2, 0xc090cc00, v[33:34]
	v_fma_f64 v[15:16], v[71:72], v[15:16], s[20:21]
	v_fma_f64 v[85:86], v[69:70], v[91:92], s[34:35]
	;; [unrolled: 1-line block ×3, first 2 shown]
	s_mov_b32 s40, 0x6e0c4d1
	s_mov_b32 s42, 0xc3c9eecc
	;; [unrolled: 1-line block ×4, first 2 shown]
	v_cndmask_b32_e32 v0, 0x7ff00000, v76, vcc_lo
	v_fma_f64 v[61:62], v[61:62], v[73:74], 1.0
	v_fma_f64 v[73:74], v[47:48], s[8:9], v[19:20]
	v_fma_f64 v[31:32], v[63:64], s[16:17], s[14:15]
	;; [unrolled: 1-line block ×4, first 2 shown]
	s_and_b32 vcc_lo, s0, vcc_lo
	v_cndmask_b32_e64 v89, 0x7ff00000, v94, s1
	v_fma_f64 v[67:68], v[67:68], v[77:78], 1.0
	v_fma_f64 v[76:77], v[55:56], v[79:80], s[20:21]
	v_fma_f64 v[78:79], v[57:58], v[83:84], s[20:21]
	s_delay_alu instid0(VALU_DEP_4)
	v_cndmask_b32_e64 v90, 0, v89, s2
	v_fma_f64 v[15:16], v[71:72], v[15:16], s[24:25]
	v_fma_f64 v[83:84], v[69:70], v[85:86], s[30:31]
	v_add_nc_u32_e32 v85, s33, v9
	v_fma_f64 v[9:10], v[3:4], v[87:88], v[49:50]
	v_mov_b32_e32 v86, v2
	v_fma_f64 v[91:92], v[3:4], v[91:92], s[44:45]
	s_mov_b32 s44, 0xf4461617
	s_mov_b32 s45, 0x3f87ec17
	v_ldexp_f64 v[61:62], v[61:62], v95
	v_fma_f64 v[49:50], v[47:48], s[6:7], v[73:74]
	v_cndmask_b32_e32 v73, 0, v75, vcc_lo
	v_fma_f64 v[87:88], v[59:60], s[16:17], s[14:15]
	v_fma_f64 v[31:32], v[63:64], v[31:32], s[18:19]
	;; [unrolled: 1-line block ×3, first 2 shown]
	v_cndmask_b32_e64 v74, 0, v0, s0
	v_cmp_ngt_f64_e64 s0, 0xc090cc00, v[27:28]
	v_ldexp_f64 v[67:68], v[67:68], v96
	global_store_b64 v[81:82], v[73:74], off
	v_fma_f64 v[75:76], v[55:56], v[76:77], s[24:25]
	v_mov_b32_e32 v74, v2
	v_fma_f64 v[77:78], v[57:58], v[78:79], s[24:25]
	v_lshlrev_b64 v[79:80], 3, v[85:86]
	v_fma_f64 v[15:16], v[71:72], v[15:16], s[26:27]
	v_add_nc_u32_e32 v73, s33, v85
	v_mov_b32_e32 v81, v2
	s_delay_alu instid0(VALU_DEP_4)
	v_add_co_u32 v79, vcc_lo, s10, v79
	v_add_co_ci_u32_e32 v80, vcc_lo, s11, v80, vcc_lo
	s_and_b32 vcc_lo, s2, s1
	s_mov_b32 s2, 0x52c6841a
	v_cndmask_b32_e32 v89, 0, v93, vcc_lo
	v_cmp_nlt_f64_e32 vcc_lo, 0x40900000, v[27:28]
	v_lshlrev_b64 v[27:28], 3, v[73:74]
	v_fma_f64 v[82:83], v[69:70], v[83:84], 1.0
	v_mul_f64 v[84:85], v[9:10], s[12:13]
	global_store_b64 v[79:80], v[89:90], off
	s_mov_b32 s3, 0x3d3d362c
	v_add_nc_u32_e32 v80, s33, v73
	v_add_co_u32 v27, s1, s10, v27
	s_delay_alu instid0(VALU_DEP_1)
	v_add_co_ci_u32_e64 v28, s1, s11, v28, s1
	v_cmp_nlt_f64_e64 s1, 0x40900000, v[21:22]
	v_fma_f64 v[89:90], v[49:50], s[16:17], s[14:15]
	v_fma_f64 v[86:87], v[59:60], v[87:88], s[18:19]
	;; [unrolled: 1-line block ×5, first 2 shown]
	v_cmp_ngt_f64_e64 s2, 0xc090cc00, v[21:22]
	s_mov_b32 s36, 0x2fffba5f
	s_mov_b32 s37, 0xbddbba1d
	s_delay_alu instid0(SALU_CYCLE_1)
	v_fma_f64 v[21:22], v[3:4], s[46:47], s[36:37]
	v_fma_f64 v[75:76], v[55:56], v[75:76], s[26:27]
	s_mov_b32 s36, 0xd844d01
	v_fma_f64 v[77:78], v[57:58], v[77:78], s[26:27]
	s_mov_b32 s37, 0xc08e94cf
	;; [unrolled: 2-line block ×3, first 2 shown]
	s_mov_b32 s47, 0x4017ae7a
	v_cndmask_b32_e32 v0, 0x7ff00000, v62, vcc_lo
	s_and_b32 vcc_lo, s0, vcc_lo
	v_fma_f64 v[69:70], v[69:70], v[82:83], 1.0
	v_fma_f64 v[82:83], v[7:8], s[42:43], s[40:41]
	v_cndmask_b32_e32 v61, 0, v61, vcc_lo
	v_cndmask_b32_e64 v62, 0, v0, s0
	s_mov_b32 s40, 0xadc4e8f7
	s_mov_b32 s41, 0x3eaddada
	;; [unrolled: 1-line block ×4, first 2 shown]
	global_store_b64 v[27:28], v[61:62], off
	v_cndmask_b32_e64 v79, 0x7ff00000, v68, s1
	v_cvt_i32_f64_e32 v68, v[41:42]
	v_rndne_f64_e32 v[41:42], v[84:85]
	v_fma_f64 v[84:85], v[49:50], v[89:90], s[18:19]
	v_fma_f64 v[86:87], v[59:60], v[86:87], s[22:23]
	;; [unrolled: 1-line block ×6, first 2 shown]
	v_lshlrev_b64 v[88:89], 3, v[80:81]
	s_mov_b32 s4, 0xe09f2e5b
	v_fma_f64 v[75:76], v[55:56], v[75:76], s[28:29]
	s_mov_b32 s5, 0xbe9aae7f
	v_fma_f64 v[77:78], v[57:58], v[77:78], s[28:29]
	v_fma_f64 v[90:91], v[3:4], v[91:92], s[44:45]
	;; [unrolled: 1-line block ×3, first 2 shown]
	v_add_co_u32 v73, vcc_lo, s10, v88
	v_add_co_ci_u32_e32 v74, vcc_lo, s11, v89, vcc_lo
	s_and_b32 vcc_lo, s2, s1
	v_cndmask_b32_e64 v93, 0, v79, s2
	v_cndmask_b32_e32 v92, 0, v67, vcc_lo
	v_fma_f64 v[88:89], v[7:8], s[48:49], s[46:47]
	v_fma_f64 v[21:22], v[3:4], v[21:22], s[4:5]
	s_mov_b32 s0, 0x3ca2348d
	s_mov_b32 s2, 0xf1cd550
	;; [unrolled: 1-line block ×4, first 2 shown]
	global_store_b64 v[73:74], v[92:93], off
	v_fma_f64 v[81:82], v[5:6], s[42:43], v[82:83]
	v_fma_f64 v[92:93], v[3:4], s[2:3], s[0:1]
	s_mov_b32 s0, 0x7b95a294
	s_mov_b32 s2, 0xf83733c9
	v_cmp_nlt_f64_e32 vcc_lo, 0x40900000, v[13:14]
	s_mov_b32 s1, 0x4000d981
	s_mov_b32 s3, 0x3f6d8f25
	v_dual_mov_b32 v74, v2 :: v_dual_add_nc_u32 v73, s33, v80
	v_ldexp_f64 v[68:69], v[69:70], v68
	v_fma_f64 v[94:95], v[41:42], s[8:9], v[9:10]
	v_fma_f64 v[83:84], v[49:50], v[84:85], s[22:23]
	;; [unrolled: 1-line block ×7, first 2 shown]
	v_lshlrev_b64 v[79:80], 3, v[73:74]
	s_mov_b32 s0, 0x6525f486
	v_fma_f64 v[75:76], v[55:56], v[75:76], s[34:35]
	s_mov_b32 s2, 0x59362e0e
	v_fma_f64 v[77:78], v[57:58], v[77:78], s[34:35]
	;; [unrolled: 2-line block ×3, first 2 shown]
	s_mov_b32 s3, 0x3f6c935e
	s_mov_b32 s4, 0x881a1555
	s_mov_b32 s36, 0x18fc5048
	s_mov_b32 s5, 0x40210565
	s_mov_b32 s37, 0xc0e1057b
	s_mov_b32 s40, 0xa8be7d
	s_mov_b32 s41, 0xbd51d37b
	v_fma_f64 v[87:88], v[5:6], s[0:1], v[88:89]
	v_fma_f64 v[100:101], v[3:4], v[21:22], s[2:3]
	v_cmp_ngt_f64_e64 s0, 0xc090cc00, v[13:14]
	s_mov_b32 s2, 0xad97a807
	s_mov_b32 s3, 0x3ed21ebb
	v_fma_f64 v[15:16], v[3:4], v[90:91], v[81:82]
	v_fma_f64 v[89:90], v[3:4], v[92:93], s[2:3]
	s_mov_b32 s2, 0xbc2922ba
	s_mov_b32 s3, 0xbe38c0bf
	v_cvt_i32_f64_e32 v93, v[65:66]
	v_cndmask_b32_e32 v0, 0x7ff00000, v69, vcc_lo
	v_fma_f64 v[61:62], v[41:42], s[6:7], v[94:95]
	v_fma_f64 v[81:82], v[49:50], v[83:84], s[20:21]
	;; [unrolled: 1-line block ×3, first 2 shown]
	v_add_co_u32 v69, s1, s10, v79
	v_fma_f64 v[21:22], v[3:4], v[98:99], v[27:28]
	v_fma_f64 v[31:32], v[63:64], v[31:32], s[26:27]
	;; [unrolled: 1-line block ×3, first 2 shown]
	v_add_co_ci_u32_e64 v70, s1, s11, v80, s1
	v_fma_f64 v[74:75], v[55:56], v[75:76], s[30:31]
	v_fma_f64 v[76:77], v[57:58], v[77:78], s[30:31]
	;; [unrolled: 1-line block ×3, first 2 shown]
	v_fma_f64 v[85:86], v[71:72], v[96:97], 1.0
	s_mov_b32 s4, 0x7e223a7d
	s_mov_b32 s5, 0x3d77bd41
	;; [unrolled: 1-line block ×3, first 2 shown]
	v_fma_f64 v[27:28], v[3:4], s[4:5], s[2:3]
	s_mov_b32 s2, 0x1df63fcd
	s_mov_b32 s3, 0x3f48d17f
	;; [unrolled: 1-line block ×4, first 2 shown]
	v_fma_f64 v[13:14], v[3:4], v[100:101], v[87:88]
	s_and_b32 vcc_lo, s0, vcc_lo
	s_mov_b32 s36, 0x3126e979
	v_cvt_i32_f64_e32 v96, v[45:46]
	v_mul_f64 v[87:88], v[15:16], s[12:13]
	v_fma_f64 v[65:66], v[61:62], s[16:17], s[14:15]
	v_fma_f64 v[80:81], v[49:50], v[81:82], s[24:25]
	;; [unrolled: 1-line block ×3, first 2 shown]
	v_cndmask_b32_e32 v84, 0, v68, vcc_lo
	v_cmp_nlt_f64_e32 vcc_lo, 0x40900000, v[11:12]
	v_fma_f64 v[31:32], v[63:64], v[31:32], s[28:29]
	v_fma_f64 v[33:34], v[51:52], v[33:34], s[28:29]
	v_fma_f64 v[74:75], v[55:56], v[74:75], 1.0
	v_fma_f64 v[76:77], v[57:58], v[76:77], 1.0
	;; [unrolled: 1-line block ×3, first 2 shown]
	v_cndmask_b32_e64 v85, 0, v0, s0
	s_mov_b32 s0, 0x9c31fa4e
	s_mov_b32 s1, 0x4009b321
	v_fma_f64 v[91:92], v[3:4], v[27:28], s[4:5]
	v_fma_f64 v[67:68], v[5:6], s[0:1], v[78:79]
	;; [unrolled: 1-line block ×3, first 2 shown]
	s_mov_b32 s0, 0xba285a67
	s_mov_b32 s2, 0xa35935fc
	;; [unrolled: 1-line block ×4, first 2 shown]
	global_store_b64 v[69:70], v[84:85], off
	v_fma_f64 v[89:90], v[7:8], s[2:3], s[0:1]
	s_mov_b32 s0, 0x3ad81749
	s_mov_b32 s2, 0xf0472426
	;; [unrolled: 1-line block ×5, first 2 shown]
	v_fma_f64 v[69:70], v[3:4], s[2:3], s[0:1]
	s_mov_b32 s0, 0x17bccd0f
	s_mov_b32 s2, 0x5c95727
	;; [unrolled: 1-line block ×5, first 2 shown]
	v_fma_f64 v[84:85], v[3:4], s[2:3], s[0:1]
	s_mov_b32 s0, 0xd356ff96
	s_mov_b32 s2, 0xa77197f7
	;; [unrolled: 1-line block ×4, first 2 shown]
	v_fma_f64 v[80:81], v[49:50], v[80:81], s[26:27]
	v_cvt_i32_f64_e32 v0, v[39:40]
	v_fma_f64 v[31:32], v[63:64], v[31:32], s[34:35]
	v_fma_f64 v[33:34], v[51:52], v[33:34], s[34:35]
	v_fma_f64 v[74:75], v[55:56], v[74:75], 1.0
	v_fma_f64 v[76:77], v[57:58], v[76:77], 1.0
	v_fma_f64 v[57:58], v[61:62], v[65:66], s[18:19]
	v_fma_f64 v[65:66], v[59:60], v[82:83], s[28:29]
	v_mul_f64 v[82:83], v[21:22], s[12:13]
	v_rndne_f64_e32 v[55:56], v[87:88]
	v_mul_f64 v[86:87], v[13:14], s[12:13]
	v_ldexp_f64 v[71:72], v[71:72], v93
	v_fma_f64 v[27:28], v[3:4], v[78:79], v[67:68]
	v_fma_f64 v[78:79], v[3:4], v[91:92], s[2:3]
	s_mov_b32 s2, 0xc90bd661
	s_mov_b32 s3, 0x3ee1605b
	v_fma_f64 v[67:68], v[5:6], s[0:1], v[89:90]
	s_mov_b32 s0, 0xa8b4ea83
	s_mov_b32 s1, 0x4012d42e
	s_delay_alu instid0(SALU_CYCLE_1)
	v_fma_f64 v[88:89], v[7:8], s[36:37], s[0:1]
	s_mov_b32 s0, 0x618352b0
	v_fma_f64 v[69:70], v[3:4], v[69:70], s[2:3]
	s_mov_b32 s2, 0x4dd2f1aa
	s_mov_b32 s1, 0x400555a7
	;; [unrolled: 1-line block ×4, first 2 shown]
	v_fma_f64 v[90:91], v[7:8], s[2:3], s[0:1]
	v_fma_f64 v[84:85], v[3:4], v[84:85], s[4:5]
	s_mov_b32 s2, 0x23a3c91d
	s_mov_b32 s4, 0xe7e42173
	;; [unrolled: 1-line block ×4, first 2 shown]
	v_fma_f64 v[80:81], v[49:50], v[80:81], s[28:29]
	v_cmp_ngt_f64_e64 s0, 0xc090cc00, v[11:12]
	v_fma_f64 v[94:95], v[63:64], v[31:32], s[30:31]
	v_fma_f64 v[33:34], v[51:52], v[33:34], s[30:31]
	v_ldexp_f64 v[74:75], v[74:75], v0
	v_cvt_i32_f64_e32 v0, v[37:38]
	v_fma_f64 v[92:93], v[61:62], v[57:58], s[22:23]
	v_fma_f64 v[65:66], v[59:60], v[65:66], s[34:35]
	v_rndne_f64_e32 v[57:58], v[82:83]
	v_rndne_f64_e32 v[39:40], v[86:87]
	v_cndmask_b32_e32 v72, 0x7ff00000, v72, vcc_lo
	v_mul_f64 v[11:12], v[27:28], s[12:13]
	v_fma_f64 v[31:32], v[3:4], v[78:79], v[67:68]
	v_fma_f64 v[67:68], v[55:56], s[8:9], v[15:16]
	;; [unrolled: 1-line block ×3, first 2 shown]
	s_mov_b32 s2, 0x4b528ec3
	v_fma_f64 v[69:70], v[3:4], v[69:70], s[4:5]
	s_mov_b32 s4, 0x1f95b2df
	s_mov_b32 s3, 0x40112a6b
	;; [unrolled: 1-line block ×3, first 2 shown]
	v_fma_f64 v[82:83], v[5:6], s[2:3], v[90:91]
	v_fma_f64 v[84:85], v[3:4], v[84:85], s[4:5]
	v_cmp_ngt_f64_e64 s2, 0xc090cc00, v[17:18]
	v_cmp_ngt_f64_e64 s4, 0xc090cc00, v[25:26]
	v_fma_f64 v[80:81], v[49:50], v[80:81], s[34:35]
	s_and_b32 vcc_lo, s0, vcc_lo
	v_fma_f64 v[88:89], v[63:64], v[94:95], 1.0
	v_cndmask_b32_e32 v71, 0, v71, vcc_lo
	v_cmp_nlt_f64_e32 vcc_lo, 0x40900000, v[23:24]
	v_cndmask_b32_e64 v72, 0, v72, s0
	v_cmp_ngt_f64_e64 s0, 0xc090cc00, v[23:24]
	v_fma_f64 v[86:87], v[61:62], v[92:93], s[20:21]
	v_fma_f64 v[90:91], v[59:60], v[65:66], s[30:31]
	v_fma_f64 v[92:93], v[51:52], v[33:34], 1.0
	v_fma_f64 v[94:95], v[57:58], s[8:9], v[21:22]
	v_rndne_f64_e32 v[37:38], v[11:12]
	v_fma_f64 v[65:66], v[55:56], s[6:7], v[67:68]
	v_fma_f64 v[67:68], v[39:40], s[8:9], v[13:14]
	;; [unrolled: 1-line block ×3, first 2 shown]
	v_mul_f64 v[69:70], v[31:32], s[12:13]
	v_fma_f64 v[11:12], v[3:4], v[84:85], v[82:83]
	v_fma_f64 v[80:81], v[49:50], v[80:81], s[30:31]
	v_fma_f64 v[82:83], v[63:64], v[88:89], 1.0
	v_dual_mov_b32 v89, v2 :: v_dual_add_nc_u32 v88, s33, v73
	v_cndmask_b32_e32 v97, 0x7ff00000, v75, vcc_lo
	v_ldexp_f64 v[75:76], v[76:77], v0
	v_cvt_i32_f64_e32 v0, v[53:54]
	v_fma_f64 v[78:79], v[61:62], v[86:87], s[24:25]
	v_fma_f64 v[45:46], v[59:60], v[90:91], 1.0
	v_fma_f64 v[84:85], v[51:52], v[92:93], 1.0
	v_cvt_i32_f64_e32 v93, v[43:44]
	v_fma_f64 v[63:64], v[57:58], s[6:7], v[94:95]
	v_lshlrev_b64 v[89:90], 3, v[88:89]
	s_and_b32 vcc_lo, s0, vcc_lo
	v_cvt_i32_f64_e32 v94, v[57:58]
	v_fma_f64 v[23:24], v[65:66], s[16:17], s[14:15]
	v_fma_f64 v[51:52], v[39:40], s[6:7], v[67:68]
	;; [unrolled: 1-line block ×3, first 2 shown]
	v_rndne_f64_e32 v[43:44], v[69:70]
	v_mul_f64 v[69:70], v[33:34], s[12:13]
	v_mul_f64 v[86:87], v[11:12], s[12:13]
	v_fma_f64 v[80:81], v[49:50], v[80:81], 1.0
	v_ldexp_f64 v[82:83], v[82:83], v96
	v_fma_f64 v[78:79], v[61:62], v[78:79], s[26:27]
	v_fma_f64 v[59:60], v[59:60], v[45:46], 1.0
	v_add_co_u32 v45, s1, s10, v89
	s_delay_alu instid0(VALU_DEP_1)
	v_add_co_ci_u32_e64 v46, s1, s11, v90, s1
	v_cmp_nlt_f64_e64 s1, 0x40900000, v[17:18]
	global_store_b64 v[45:46], v[71:72], off
	v_fma_f64 v[71:72], v[63:64], s[16:17], s[14:15]
	v_fma_f64 v[89:90], v[65:66], v[23:24], s[18:19]
	;; [unrolled: 1-line block ×5, first 2 shown]
	v_rndne_f64_e32 v[45:46], v[69:70]
	v_rndne_f64_e32 v[23:24], v[86:87]
	v_cndmask_b32_e32 v86, 0, v74, vcc_lo
	v_cmp_nlt_f64_e32 vcc_lo, 0x40900000, v[29:30]
	v_cndmask_b32_e64 v87, 0, v97, s0
	v_cmp_ngt_f64_e64 s0, 0xc090cc00, v[29:30]
	v_fma_f64 v[29:30], v[49:50], v[80:81], 1.0
	v_fma_f64 v[69:70], v[61:62], v[78:79], s[28:29]
	v_ldexp_f64 v[77:78], v[84:85], v93
	v_dual_mov_b32 v85, v2 :: v_dual_add_nc_u32 v84, s33, v88
	v_ldexp_f64 v[59:60], v[59:60], v0
	v_cvt_i32_f64_e32 v0, v[47:48]
	v_cndmask_b32_e64 v76, 0x7ff00000, v76, s1
	s_and_b32 s1, s2, s1
	v_lshlrev_b64 v[17:18], 3, v[84:85]
	v_fma_f64 v[49:50], v[63:64], v[71:72], s[18:19]
	s_delay_alu instid0(VALU_DEP_2) | instskip(NEXT) | instid1(VALU_DEP_1)
	v_add_co_u32 v47, s3, s10, v17
	v_add_co_ci_u32_e64 v48, s3, s11, v18, s3
	v_fma_f64 v[71:72], v[65:66], v[89:90], s[22:23]
	v_fma_f64 v[73:74], v[51:52], v[91:92], s[18:19]
	;; [unrolled: 1-line block ×5, first 2 shown]
	v_cmp_nlt_f64_e64 s3, 0x40900000, v[25:26]
	global_store_b64 v[47:48], v[86:87], off
	v_cndmask_b32_e64 v47, 0, v75, s1
	v_cndmask_b32_e64 v48, 0, v76, s2
	v_cndmask_b32_e32 v85, 0x7ff00000, v83, vcc_lo
	v_dual_mov_b32 v84, v2 :: v_dual_add_nc_u32 v83, s33, v84
	v_cmp_ngt_f64_e64 s2, 0xc090cc00, v[35:36]
	v_fma_f64 v[88:89], v[23:24], s[8:9], v[11:12]
	s_and_b32 vcc_lo, s0, vcc_lo
	v_mov_b32_e32 v86, v2
	v_lshlrev_b64 v[25:26], 3, v[83:84]
	v_cndmask_b32_e64 v84, 0, v85, s0
	v_cmp_ngt_f64_e64 s0, 0xc090cc00, v[19:20]
	v_fma_f64 v[69:70], v[61:62], v[69:70], s[34:35]
	s_delay_alu instid0(VALU_DEP_4) | instskip(NEXT) | instid1(VALU_DEP_1)
	v_add_co_u32 v75, s1, s10, v25
	v_add_co_ci_u32_e64 v76, s1, s11, v26, s1
	v_cmp_nlt_f64_e64 s1, 0x40900000, v[35:36]
	v_ldexp_f64 v[35:36], v[29:30], v0
	v_dual_mov_b32 v26, v2 :: v_dual_add_nc_u32 v25, s33, v83
	v_cndmask_b32_e32 v83, 0, v82, vcc_lo
	v_fma_f64 v[49:50], v[63:64], v[49:50], s[22:23]
	s_delay_alu instid0(VALU_DEP_3) | instskip(NEXT) | instid1(VALU_DEP_4)
	v_add_nc_u32_e32 v85, s33, v25
	v_lshlrev_b64 v[81:82], 3, v[25:26]
	v_fma_f64 v[71:72], v[65:66], v[71:72], s[20:21]
	v_fma_f64 v[73:74], v[51:52], v[73:74], s[22:23]
	;; [unrolled: 1-line block ×4, first 2 shown]
	v_cndmask_b32_e64 v92, 0x7ff00000, v78, s3
	v_fma_f64 v[78:79], v[53:54], v[79:80], s[18:19]
	v_add_co_u32 v67, vcc_lo, s10, v81
	v_lshlrev_b64 v[80:81], 3, v[85:86]
	v_add_co_ci_u32_e32 v68, vcc_lo, s11, v82, vcc_lo
	s_and_b32 vcc_lo, s4, s3
	v_cndmask_b32_e64 v87, 0, v92, s4
	v_cndmask_b32_e32 v86, 0, v77, vcc_lo
	s_delay_alu instid0(VALU_DEP_4)
	v_add_co_u32 v80, vcc_lo, s10, v80
	v_add_co_ci_u32_e32 v81, vcc_lo, s11, v81, vcc_lo
	s_mov_b32 s4, 0xf34767a7
	s_mov_b32 s5, 0x3e18bba1
	v_fma_f64 v[69:70], v[61:62], v[69:70], s[30:31]
	s_clause 0x2
	global_store_b64 v[75:76], v[47:48], off
	global_store_b64 v[67:68], v[83:84], off
	global_store_b64 v[80:81], v[86:87], off
	v_fma_f64 v[67:68], v[3:4], s[40:41], s[4:5]
	v_fma_f64 v[25:26], v[23:24], s[6:7], v[88:89]
	s_mov_b32 s4, 0x8609475f
	v_cndmask_b32_e64 v60, 0x7ff00000, v60, s1
	s_and_b32 vcc_lo, s2, s1
	s_mov_b32 s5, 0xbd3c5a46
	v_cndmask_b32_e32 v47, 0, v59, vcc_lo
	v_cmp_nlt_f64_e32 vcc_lo, 0x40900000, v[19:20]
	v_cndmask_b32_e64 v48, 0, v60, s2
	s_mov_b32 s2, 0xe42a9e11
	s_mov_b32 s3, 0x3e0ac134
	v_add_nc_u32_e32 v19, s33, v85
	v_fma_f64 v[83:84], v[3:4], s[4:5], s[2:3]
	s_mov_b32 s2, 0x2213f08
	s_mov_b32 s4, 0xfa3e34f6
	v_fma_f64 v[59:60], v[65:66], v[71:72], s[24:25]
	v_fma_f64 v[71:72], v[51:52], v[73:74], s[20:21]
	s_mov_b32 s3, 0x3e047f4c
	s_mov_b32 s5, 0x3d442d6b
	;; [unrolled: 1-line block ×3, first 2 shown]
	v_fma_f64 v[85:86], v[3:4], s[4:5], s[2:3]
	v_fma_f64 v[73:74], v[53:54], v[78:79], s[22:23]
	;; [unrolled: 1-line block ×3, first 2 shown]
	s_mov_b32 s2, 0xbc6a7efa
	s_mov_b32 s4, 0xefdfac2e
	;; [unrolled: 1-line block ×5, first 2 shown]
	v_fma_f64 v[87:88], v[7:8], s[2:3], s[40:41]
	v_fma_f64 v[49:50], v[63:64], v[49:50], s[20:21]
	;; [unrolled: 1-line block ×3, first 2 shown]
	v_mov_b32_e32 v20, v2
	s_mov_b32 s2, 0x4ab606b
	s_mov_b32 s3, 0x40bb82eb
	;; [unrolled: 1-line block ×4, first 2 shown]
	v_fma_f64 v[69:70], v[61:62], v[69:70], 1.0
	v_lshlrev_b64 v[81:82], 3, v[19:20]
	v_fma_f64 v[67:68], v[3:4], v[67:68], s[4:5]
	v_fma_f64 v[79:80], v[25:26], s[16:17], s[14:15]
	s_mov_b32 s4, 0x966938a0
	s_mov_b32 s5, 0xbec851d2
	v_add_nc_u32_e32 v19, s33, v19
	v_add_co_u32 v81, s1, s10, v81
	v_cndmask_b32_e32 v0, 0x7ff00000, v36, vcc_lo
	v_add_co_ci_u32_e64 v82, s1, s11, v82, s1
	s_and_b32 vcc_lo, s0, vcc_lo
	v_cvt_i32_f64_e32 v24, v[23:24]
	s_delay_alu instid0(VALU_DEP_3)
	v_cndmask_b32_e64 v36, 0, v0, s0
	s_mov_b32 s0, 0x6a26e547
	s_mov_b32 s1, 0x40286e69
	global_store_b64 v[81:82], v[47:48], off
	v_fma_f64 v[81:82], v[7:8], s[2:3], s[0:1]
	v_fma_f64 v[83:84], v[3:4], v[83:84], s[4:5]
	s_mov_b32 s0, 0x8d9b5e96
	s_mov_b32 s2, 0x9d49518
	;; [unrolled: 1-line block ×4, first 2 shown]
	v_fma_f64 v[77:78], v[29:30], v[77:78], s[18:19]
	v_cvt_i32_f64_e32 v0, v[41:42]
	s_mov_b32 s4, 0xaa41db60
	v_fma_f64 v[41:42], v[7:8], s[2:3], s[0:1]
	s_mov_b32 s0, 0x8265a06e
	s_mov_b32 s2, 0x67388492
	;; [unrolled: 1-line block ×5, first 2 shown]
	v_fma_f64 v[49:50], v[63:64], v[49:50], s[24:25]
	v_fma_f64 v[59:60], v[65:66], v[59:60], s[26:27]
	;; [unrolled: 1-line block ×5, first 2 shown]
	v_fma_f64 v[61:62], v[61:62], v[69:70], 1.0
	v_fma_f64 v[69:70], v[3:4], v[85:86], s[4:5]
	v_fma_f64 v[85:86], v[5:6], s[0:1], v[87:88]
	;; [unrolled: 1-line block ×3, first 2 shown]
	s_mov_b32 s0, 0x6e8b7f34
	s_mov_b32 s2, 0x8840b02f
	;; [unrolled: 1-line block ×4, first 2 shown]
	v_fma_f64 v[79:80], v[25:26], v[79:80], s[18:19]
	v_fma_f64 v[87:88], v[3:4], s[2:3], s[0:1]
	s_mov_b32 s0, 0x5790e08d
	s_mov_b32 s2, 0xec708b6b
	;; [unrolled: 1-line block ×6, first 2 shown]
	v_lshlrev_b64 v[47:48], 3, v[19:20]
	v_cndmask_b32_e32 v35, 0, v35, vcc_lo
	v_fma_f64 v[81:82], v[5:6], s[0:1], v[81:82]
	v_fma_f64 v[83:84], v[3:4], v[83:84], s[2:3]
	s_mov_b32 s0, 0x81f02fa8
	s_mov_b32 s2, 0x57b3f20f
	;; [unrolled: 1-line block ×4, first 2 shown]
	v_fma_f64 v[77:78], v[29:30], v[77:78], s[22:23]
	v_fma_f64 v[89:90], v[3:4], s[4:5], s[2:3]
	s_mov_b32 s2, 0x175fa3c6
	v_fma_f64 v[41:42], v[5:6], s[0:1], v[41:42]
	s_mov_b32 s0, 0x8defcf27
	s_mov_b32 s1, 0xbe17e4a0
	;; [unrolled: 1-line block ×5, first 2 shown]
	v_fma_f64 v[49:50], v[63:64], v[49:50], s[26:27]
	v_fma_f64 v[59:60], v[65:66], v[59:60], s[28:29]
	;; [unrolled: 1-line block ×5, first 2 shown]
	v_add_co_u32 v47, vcc_lo, s10, v47
	v_fma_f64 v[69:70], v[3:4], v[69:70], s[40:41]
	v_fma_f64 v[67:68], v[3:4], v[67:68], v[85:86]
	;; [unrolled: 1-line block ×3, first 2 shown]
	s_mov_b32 s0, 0x5df3d
	s_mov_b32 s2, 0x4c7edf0f
	;; [unrolled: 1-line block ×4, first 2 shown]
	v_fma_f64 v[91:92], v[7:8], s[36:37], s[0:1]
	v_fma_f64 v[87:88], v[3:4], v[87:88], s[2:3]
	;; [unrolled: 1-line block ×3, first 2 shown]
	s_mov_b32 s0, 0xc0b13598
	s_mov_b32 s2, 0x4189374c
	;; [unrolled: 1-line block ×4, first 2 shown]
	v_add_co_ci_u32_e32 v48, vcc_lo, s11, v48, vcc_lo
	v_ldexp_f64 v[61:62], v[61:62], v0
	v_fma_f64 v[81:82], v[3:4], v[83:84], v[81:82]
	v_fma_f64 v[83:84], v[7:8], s[2:3], s[0:1]
	s_mov_b32 s0, 0x92ccf7
	s_mov_b32 s2, 0xd2f1a9fc
	;; [unrolled: 1-line block ×3, first 2 shown]
	v_fma_f64 v[77:78], v[29:30], v[77:78], s[20:21]
	s_mov_b32 s3, 0xc090cb4d
	v_fma_f64 v[89:90], v[3:4], v[89:90], s[4:5]
	s_mov_b32 s4, 0x6437efdc
	s_mov_b32 s5, 0x3ea9178b
	global_store_b64 v[47:48], v[35:36], off
	v_cvt_i32_f64_e32 v0, v[55:56]
	v_cmp_nlt_f64_e32 vcc_lo, 0x40900000, v[9:10]
	v_add_nc_u32_e32 v19, s33, v19
	v_fma_f64 v[49:50], v[63:64], v[49:50], s[28:29]
	v_fma_f64 v[59:60], v[65:66], v[59:60], s[34:35]
	;; [unrolled: 1-line block ×7, first 2 shown]
	s_mov_b32 s0, 0x6e6106ab
	s_mov_b32 s2, 0x427d2efe
	;; [unrolled: 1-line block ×4, first 2 shown]
	v_fma_f64 v[85:86], v[3:4], v[85:86], s[4:5]
	v_fma_f64 v[91:92], v[5:6], s[0:1], v[91:92]
	;; [unrolled: 1-line block ×4, first 2 shown]
	s_mov_b32 s0, 0x806f2629
	s_mov_b32 s2, 0x4d0b06d
	;; [unrolled: 1-line block ×4, first 2 shown]
	v_cmp_ngt_f64_e64 s4, 0xc090cc00, v[27:28]
	v_fma_f64 v[83:84], v[5:6], s[0:1], v[83:84]
	s_mov_b32 s0, 0xe17e34b9
	s_mov_b32 s1, 0x3ff7e495
	v_fma_f64 v[77:78], v[29:30], v[77:78], s[24:25]
	v_fma_f64 v[89:90], v[3:4], v[89:90], s[2:3]
	s_mov_b32 s2, 0xf0d3924
	s_mov_b32 s3, 0x3f856d69
	v_cndmask_b32_e32 v93, 0x7ff00000, v62, vcc_lo
	v_fma_f64 v[49:50], v[63:64], v[49:50], s[34:35]
	v_fma_f64 v[59:60], v[65:66], v[59:60], s[30:31]
	;; [unrolled: 1-line block ×6, first 2 shown]
	v_cmp_ngt_f64_e64 s0, 0xc090cc00, v[9:10]
	v_cmp_nlt_f64_e64 s1, 0x40900000, v[21:22]
	v_fma_f64 v[85:86], v[3:4], v[85:86], s[2:3]
	v_cmp_ngt_f64_e64 s2, 0xc090cc00, v[21:22]
	v_fma_f64 v[87:88], v[3:4], v[87:88], v[91:92]
	v_mul_f64 v[91:92], v[67:68], s[12:13]
	v_fma_f64 v[79:80], v[25:26], v[79:80], s[24:25]
	v_fma_f64 v[77:78], v[29:30], v[77:78], s[26:27]
	v_fma_f64 v[83:84], v[3:4], v[89:90], v[83:84]
	v_mul_f64 v[89:90], v[81:82], s[12:13]
	v_fma_f64 v[49:50], v[63:64], v[49:50], s[30:31]
	v_fma_f64 v[59:60], v[65:66], v[59:60], 1.0
	v_fma_f64 v[71:72], v[51:52], v[71:72], s[30:31]
	v_fma_f64 v[73:74], v[53:54], v[73:74], s[34:35]
	;; [unrolled: 1-line block ×3, first 2 shown]
	s_and_b32 vcc_lo, s0, vcc_lo
	v_fma_f64 v[69:70], v[3:4], v[85:86], v[69:70]
	v_mul_f64 v[85:86], v[41:42], s[12:13]
	v_mul_f64 v[47:48], v[87:88], s[12:13]
	v_rndne_f64_e32 v[91:92], v[91:92]
	v_fma_f64 v[79:80], v[25:26], v[79:80], s[26:27]
	v_fma_f64 v[35:36], v[29:30], v[77:78], s[28:29]
	v_rndne_f64_e32 v[77:78], v[89:90]
	v_mul_f64 v[89:90], v[83:84], s[12:13]
	v_fma_f64 v[49:50], v[63:64], v[49:50], 1.0
	v_fma_f64 v[59:60], v[65:66], v[59:60], 1.0
	;; [unrolled: 1-line block ×3, first 2 shown]
	v_fma_f64 v[73:74], v[53:54], v[73:74], s[30:31]
	v_fma_f64 v[75:76], v[17:18], v[75:76], s[34:35]
	v_mul_f64 v[9:10], v[69:70], s[12:13]
	v_rndne_f64_e32 v[55:56], v[85:86]
	v_rndne_f64_e32 v[47:48], v[47:48]
	v_fma_f64 v[71:72], v[91:92], s[8:9], v[67:68]
	v_fma_f64 v[79:80], v[25:26], v[79:80], s[28:29]
	s_mov_b32 s12, 0x6bb0b46f
	s_mov_b32 s13, 0x3d607cc8
	v_fma_f64 v[35:36], v[29:30], v[35:36], s[34:35]
	v_rndne_f64_e32 v[85:86], v[89:90]
	v_fma_f64 v[49:50], v[63:64], v[49:50], 1.0
	v_ldexp_f64 v[57:58], v[59:60], v0
	v_fma_f64 v[51:52], v[51:52], v[65:66], 1.0
	v_cvt_i32_f64_e32 v0, v[39:40]
	v_lshlrev_b64 v[39:40], 3, v[19:20]
	v_fma_f64 v[62:63], v[17:18], v[75:76], s[30:31]
	v_fma_f64 v[75:76], v[77:78], s[8:9], v[81:82]
	v_fma_f64 v[73:74], v[53:54], v[73:74], 1.0
	v_cvt_i32_f64_e32 v20, v[37:38]
	v_rndne_f64_e32 v[9:10], v[9:10]
	v_fma_f64 v[59:60], v[55:56], s[8:9], v[41:42]
	v_fma_f64 v[89:90], v[47:48], s[8:9], v[87:88]
	;; [unrolled: 1-line block ×4, first 2 shown]
	v_cndmask_b32_e32 v71, 0, v61, vcc_lo
	v_add_co_u32 v39, vcc_lo, s10, v39
	v_add_co_ci_u32_e32 v40, vcc_lo, s11, v40, vcc_lo
	v_cmp_nlt_f64_e32 vcc_lo, 0x40900000, v[15:16]
	v_cndmask_b32_e64 v72, 0, v93, s0
	v_cmp_ngt_f64_e64 s0, 0xc090cc00, v[15:16]
	v_fma_f64 v[35:36], v[29:30], v[35:36], s[30:31]
	global_store_b64 v[39:40], v[71:72], off
	v_ldexp_f64 v[49:50], v[49:50], v94
	v_ldexp_f64 v[51:52], v[51:52], v0
	v_cvt_i32_f64_e32 v0, v[43:44]
	v_fma_f64 v[61:62], v[17:18], v[62:63], 1.0
	v_fma_f64 v[75:76], v[77:78], s[6:7], v[75:76]
	v_fma_f64 v[53:54], v[53:54], v[73:74], 1.0
	v_fma_f64 v[37:38], v[55:56], s[6:7], v[59:60]
	v_fma_f64 v[89:90], v[47:48], s[6:7], v[89:90]
	;; [unrolled: 1-line block ×5, first 2 shown]
	v_cndmask_b32_e32 v66, 0x7ff00000, v58, vcc_lo
	v_fma_f64 v[58:59], v[9:10], s[8:9], v[69:70]
	s_and_b32 vcc_lo, s0, vcc_lo
	s_mov_b32 s8, 0x49ba5e35
	s_mov_b32 s9, 0xc0c4242c
	v_fma_f64 v[35:36], v[29:30], v[35:36], 1.0
	v_cndmask_b32_e64 v50, 0x7ff00000, v50, s1
	s_and_b32 s1, s2, s1
	s_delay_alu instid0(SALU_CYCLE_1)
	v_cndmask_b32_e64 v22, 0, v49, s1
	v_cmp_nlt_f64_e64 s1, 0x40900000, v[13:14]
	v_fma_f64 v[17:18], v[17:18], v[61:62], 1.0
	v_fma_f64 v[60:61], v[75:76], s[16:17], s[14:15]
	v_ldexp_f64 v[53:54], v[53:54], v20
	v_cndmask_b32_e64 v23, 0, v50, s2
	v_cmp_ngt_f64_e64 s2, 0xc090cc00, v[13:14]
	v_mov_b32_e32 v14, v2
	v_fma_f64 v[43:44], v[37:38], s[16:17], s[14:15]
	v_fma_f64 v[15:16], v[64:65], v[15:16], s[18:19]
	v_fma_f64 v[62:63], v[25:26], v[73:74], 1.0
	v_fma_f64 v[73:74], v[85:86], s[6:7], v[79:80]
	v_cvt_i32_f64_e32 v79, v[45:46]
	v_fma_f64 v[58:59], v[9:10], s[6:7], v[58:59]
	s_mov_b32 s6, 0x1fcd24e1
	s_mov_b32 s7, 0x403522d3
	s_delay_alu instid0(SALU_CYCLE_1)
	v_fma_f64 v[7:8], v[7:8], s[8:9], s[6:7]
	v_fma_f64 v[29:30], v[29:30], v[35:36], 1.0
	v_fma_f64 v[35:36], v[89:90], s[16:17], s[14:15]
	s_mov_b32 s6, 0x38d2af65
	s_mov_b32 s7, 0x3ff0c92f
	;; [unrolled: 1-line block ×4, first 2 shown]
	v_ldexp_f64 v[17:18], v[17:18], v0
	v_fma_f64 v[60:61], v[75:76], v[60:61], s[18:19]
	v_cndmask_b32_e64 v0, 0x7ff00000, v52, s1
	v_cvt_i32_f64_e32 v52, v[91:92]
	s_and_b32 s1, s2, s1
	v_fma_f64 v[43:44], v[37:38], v[43:44], s[18:19]
	v_fma_f64 v[15:16], v[64:65], v[15:16], s[22:23]
	v_fma_f64 v[25:26], v[25:26], v[62:63], 1.0
	v_fma_f64 v[62:63], v[73:74], s[16:17], s[14:15]
	v_fma_f64 v[20:21], v[58:59], s[16:17], s[14:15]
	v_ldexp_f64 v[29:30], v[29:30], v79
	v_fma_f64 v[35:36], v[89:90], v[35:36], s[18:19]
	v_fma_f64 v[45:46], v[75:76], v[60:61], s[22:23]
	;; [unrolled: 1-line block ×5, first 2 shown]
	v_dual_mov_b32 v63, v2 :: v_dual_add_nc_u32 v62, s33, v19
	v_fma_f64 v[20:21], v[58:59], v[20:21], s[18:19]
	s_delay_alu instid0(VALU_DEP_2) | instskip(NEXT) | instid1(VALU_DEP_3)
	v_add_nc_u32_e32 v13, s33, v62
	v_lshlrev_b64 v[49:50], 3, v[62:63]
	v_cndmask_b32_e32 v62, 0, v57, vcc_lo
	v_cndmask_b32_e64 v63, 0, v66, s0
	v_cmp_ngt_f64_e64 s0, 0xc090cc00, v[31:32]
	v_fma_f64 v[35:36], v[89:90], v[35:36], s[22:23]
	v_add_co_u32 v49, s3, s10, v49
	s_delay_alu instid0(VALU_DEP_1)
	v_add_co_ci_u32_e64 v50, s3, s11, v50, s3
	v_cmp_nlt_f64_e64 s3, 0x40900000, v[27:28]
	v_fma_f64 v[45:46], v[75:76], v[45:46], s[20:21]
	v_fma_f64 v[43:44], v[37:38], v[43:44], s[20:21]
	;; [unrolled: 1-line block ×6, first 2 shown]
	v_cndmask_b32_e64 v54, 0x7ff00000, v54, s3
	s_and_b32 s3, s4, s3
	v_fma_f64 v[45:46], v[75:76], v[45:46], s[24:25]
	v_fma_f64 v[43:44], v[37:38], v[43:44], s[24:25]
	;; [unrolled: 1-line block ×26, first 2 shown]
	v_fma_f64 v[15:16], v[64:65], v[15:16], 1.0
	v_fma_f64 v[60:61], v[73:74], v[60:61], s[34:35]
	v_fma_f64 v[20:21], v[58:59], v[20:21], s[34:35]
	;; [unrolled: 1-line block ×3, first 2 shown]
	v_fma_f64 v[45:46], v[75:76], v[45:46], 1.0
	v_fma_f64 v[43:44], v[37:38], v[43:44], 1.0
	;; [unrolled: 1-line block ×3, first 2 shown]
	v_lshlrev_b64 v[64:65], 3, v[13:14]
	v_add_nc_u32_e32 v13, s33, v13
	v_fma_f64 v[60:61], v[73:74], v[60:61], s[30:31]
	v_fma_f64 v[19:20], v[58:59], v[20:21], s[30:31]
	v_fma_f64 v[27:28], v[89:90], v[35:36], 1.0
	v_add_co_u32 v35, vcc_lo, s10, v64
	v_add_co_ci_u32_e32 v36, vcc_lo, s11, v65, vcc_lo
	s_clause 0x1
	global_store_b64 v[49:50], v[22:23], off
	global_store_b64 v[35:36], v[62:63], off
	v_lshlrev_b64 v[35:36], 3, v[13:14]
	v_cmp_nlt_f64_e32 vcc_lo, 0x40900000, v[31:32]
	v_cndmask_b32_e64 v31, 0, v51, s1
	v_add_nc_u32_e32 v13, s33, v13
	v_ldexp_f64 v[21:22], v[25:26], v24
	v_cndmask_b32_e64 v32, 0, v0, s2
	v_add_co_u32 v35, s1, s10, v35
	s_delay_alu instid0(VALU_DEP_1)
	v_add_co_ci_u32_e64 v36, s1, s11, v36, s1
	v_cmp_nlt_f64_e64 s1, 0x40900000, v[33:34]
	v_cmp_ngt_f64_e64 s2, 0xc090cc00, v[33:34]
	v_fma_f64 v[39:40], v[75:76], v[45:46], 1.0
	v_cvt_i32_f64_e32 v45, v[77:78]
	v_fma_f64 v[25:26], v[37:38], v[43:44], 1.0
	v_lshlrev_b64 v[43:44], 3, v[13:14]
	v_cndmask_b32_e64 v37, 0, v53, s3
	v_cvt_i32_f64_e32 v49, v[55:56]
	v_cndmask_b32_e64 v38, 0, v54, s4
	v_fma_f64 v[23:24], v[73:74], v[60:61], 1.0
	v_cmp_ngt_f64_e64 s4, 0xc090cc00, v[11:12]
	v_add_co_u32 v33, s3, s10, v43
	s_delay_alu instid0(VALU_DEP_1)
	v_add_co_ci_u32_e64 v34, s3, s11, v44, s3
	v_cmp_nlt_f64_e64 s3, 0x40900000, v[11:12]
	v_add_nc_u32_e32 v13, s33, v13
	v_ldexp_f64 v[15:16], v[15:16], v52
	v_fma_f64 v[27:28], v[89:90], v[27:28], 1.0
	v_cndmask_b32_e32 v46, 0x7ff00000, v18, vcc_lo
	v_fma_f64 v[18:19], v[58:59], v[19:20], 1.0
	s_and_b32 vcc_lo, s0, vcc_lo
	v_cndmask_b32_e32 v43, 0, v17, vcc_lo
	s_delay_alu instid0(VALU_DEP_3)
	v_cndmask_b32_e64 v44, 0, v46, s0
	v_cmp_ngt_f64_e64 s0, 0xc090cc00, v[67:68]
	v_cvt_i32_f64_e32 v46, v[9:10]
	v_cndmask_b32_e64 v0, 0x7ff00000, v30, s1
	v_cvt_i32_f64_e32 v30, v[47:48]
	s_and_b32 s1, s2, s1
	v_ldexp_f64 v[39:40], v[39:40], v45
	v_cndmask_b32_e64 v9, 0, v29, s1
	v_cndmask_b32_e64 v10, 0, v0, s2
	v_cmp_ngt_f64_e64 s2, 0xc090cc00, v[81:82]
	v_cvt_i32_f64_e32 v47, v[85:86]
	v_fma_f64 v[11:12], v[73:74], v[23:24], 1.0
	v_ldexp_f64 v[24:25], v[25:26], v49
	v_cndmask_b32_e64 v45, 0x7ff00000, v22, s3
	v_lshlrev_b64 v[22:23], 3, v[13:14]
	v_add_nc_u32_e32 v13, s33, v13
	s_and_b32 s3, s4, s3
	s_delay_alu instid0(VALU_DEP_3) | instskip(SKIP_1) | instid1(VALU_DEP_4)
	v_cndmask_b32_e64 v29, 0, v45, s4
	v_cmp_ngt_f64_e64 s4, 0xc090cc00, v[41:42]
	v_add_co_u32 v22, vcc_lo, s10, v22
	v_add_co_ci_u32_e32 v23, vcc_lo, s11, v23, vcc_lo
	v_cmp_nlt_f64_e32 vcc_lo, 0x40900000, v[67:68]
	s_clause 0x2
	global_store_b64 v[35:36], v[31:32], off
	global_store_b64 v[33:34], v[37:38], off
	;; [unrolled: 1-line block ×3, first 2 shown]
	v_fma_f64 v[17:18], v[58:59], v[18:19], 1.0
	v_lshlrev_b64 v[19:20], 3, v[13:14]
	v_add_nc_u32_e32 v13, s33, v13
	s_delay_alu instid0(VALU_DEP_2) | instskip(SKIP_1) | instid1(VALU_DEP_3)
	v_add_co_u32 v19, s1, s10, v19
	v_ldexp_f64 v[22:23], v[27:28], v30
	v_lshlrev_b64 v[26:27], 3, v[13:14]
	v_add_co_ci_u32_e64 v20, s1, s11, v20, s1
	v_cmp_nlt_f64_e64 s1, 0x40900000, v[81:82]
	v_cndmask_b32_e64 v28, 0, v21, s3
	v_add_nc_u32_e32 v13, s33, v13
	v_add_co_u32 v26, s3, s10, v26
	s_delay_alu instid0(VALU_DEP_1)
	v_add_co_ci_u32_e64 v27, s3, s11, v27, s3
	v_cmp_nlt_f64_e64 s3, 0x40900000, v[41:42]
	global_store_b64 v[19:20], v[9:10], off
	v_lshlrev_b64 v[9:10], 3, v[13:14]
	v_ldexp_f64 v[11:12], v[11:12], v47
	global_store_b64 v[26:27], v[28:29], off
	v_add_nc_u32_e32 v13, s33, v13
	v_dual_mov_b32 v29, v2 :: v_dual_cndmask_b32 v48, 0x7ff00000, v16
	s_and_b32 vcc_lo, s0, vcc_lo
	v_ldexp_f64 v[16:17], v[17:18], v46
	v_cndmask_b32_e32 v18, 0, v15, vcc_lo
	v_add_co_u32 v9, vcc_lo, s10, v9
	v_cndmask_b32_e64 v19, 0, v48, s0
	v_add_co_ci_u32_e32 v10, vcc_lo, s11, v10, vcc_lo
	v_cmp_nlt_f64_e32 vcc_lo, 0x40900000, v[87:88]
	v_cmp_ngt_f64_e64 s0, 0xc090cc00, v[87:88]
	v_lshlrev_b64 v[14:15], 3, v[13:14]
	global_store_b64 v[9:10], v[18:19], off
	v_dual_mov_b32 v19, v2 :: v_dual_add_nc_u32 v18, s33, v13
	v_cndmask_b32_e64 v0, 0x7ff00000, v40, s1
	s_and_b32 s1, s2, s1
	v_add_co_u32 v20, s5, s10, v14
	v_cndmask_b32_e64 v9, 0, v39, s1
	v_cmp_nlt_f64_e64 s1, 0x40900000, v[83:84]
	v_cndmask_b32_e64 v10, 0, v0, s2
	v_cndmask_b32_e64 v25, 0x7ff00000, v25, s3
	s_and_b32 s3, s4, s3
	v_cmp_ngt_f64_e64 s2, 0xc090cc00, v[83:84]
	v_cndmask_b32_e64 v24, 0, v24, s3
	v_cmp_nlt_f64_e64 s3, 0x40900000, v[69:70]
	v_cndmask_b32_e64 v25, 0, v25, s4
	v_cmp_ngt_f64_e64 s4, 0xc090cc00, v[69:70]
	v_add_co_ci_u32_e64 v21, s5, s11, v15, s5
	v_fma_f64 v[14:15], v[3:4], s[12:13], s[8:9]
	v_cndmask_b32_e32 v23, 0x7ff00000, v23, vcc_lo
	s_and_b32 vcc_lo, s0, vcc_lo
	v_cndmask_b32_e64 v0, 0x7ff00000, v12, s1
	v_lshlrev_b64 v[12:13], 3, v[18:19]
	s_delay_alu instid0(VALU_DEP_2) | instskip(SKIP_2) | instid1(VALU_DEP_4)
	v_cndmask_b32_e64 v19, 0, v0, s2
	v_cndmask_b32_e64 v30, 0x7ff00000, v17, s3
	v_dual_mov_b32 v18, v2 :: v_dual_add_nc_u32 v17, s33, v18
	v_add_co_u32 v26, s5, s10, v12
	s_delay_alu instid0(VALU_DEP_1) | instskip(SKIP_1) | instid1(VALU_DEP_4)
	v_add_co_ci_u32_e64 v27, s5, s11, v13, s5
	v_fma_f64 v[12:13], v[5:6], s[6:7], v[7:8]
	v_lshlrev_b64 v[7:8], 3, v[17:18]
	v_add_nc_u32_e32 v17, s33, v17
	v_cndmask_b32_e64 v6, 0, v23, s0
	v_cndmask_b32_e32 v5, 0, v22, vcc_lo
	s_mov_b32 s0, 0xac9009d0
	s_delay_alu instid0(VALU_DEP_4)
	v_add_co_u32 v7, vcc_lo, s10, v7
	v_lshlrev_b64 v[22:23], 3, v[17:18]
	v_add_nc_u32_e32 v28, s33, v17
	v_add_co_ci_u32_e32 v8, vcc_lo, s11, v8, vcc_lo
	s_and_b32 vcc_lo, s2, s1
	s_clause 0x2
	global_store_b64 v[20:21], v[9:10], off
	global_store_b64 v[26:27], v[24:25], off
	;; [unrolled: 1-line block ×3, first 2 shown]
	v_cndmask_b32_e32 v18, 0, v11, vcc_lo
	v_lshlrev_b64 v[5:6], 3, v[28:29]
	v_add_co_u32 v22, vcc_lo, s10, v22
	v_add_co_ci_u32_e32 v23, vcc_lo, s11, v23, vcc_lo
	s_and_b32 vcc_lo, s4, s3
	v_cndmask_b32_e64 v8, 0, v30, s4
	v_cndmask_b32_e32 v7, 0, v16, vcc_lo
	v_add_co_u32 v5, vcc_lo, s10, v5
	v_add_co_ci_u32_e32 v6, vcc_lo, s11, v6, vcc_lo
	global_store_b64 v[22:23], v[18:19], off
	s_mov_b32 s1, 0x3e9a54f4
	s_mov_b32 s3, 0x3f8aa218
	;; [unrolled: 1-line block ×3, first 2 shown]
	global_store_b64 v[5:6], v[7:8], off
                                        ; implicit-def: $vgpr7_vgpr8
                                        ; implicit-def: $vgpr5_vgpr6
                                        ; implicit-def: $vgpr10_vgpr11
                                        ; implicit-def: $vgpr9
.LBB28_2:
	s_or_saveexec_b32 s56, s38
	v_dual_mov_b32 v17, s1 :: v_dual_mov_b32 v16, s0
	v_dual_mov_b32 v19, s3 :: v_dual_mov_b32 v18, s2
	v_mov_b32_e32 v0, s33
	s_xor_b32 exec_lo, exec_lo, s56
	s_cbranch_execz .LBB28_4
; %bb.3:
	s_mov_b32 s0, 0x322506a6
	s_mov_b32 s2, 0x18342be3
	s_mov_b32 s1, 0xbdb073f4
	s_mov_b32 s3, 0x3cd20993
	s_mov_b32 s4, 0xc265e095
	v_fma_f64 v[12:13], v[3:4], s[2:3], s[0:1]
	s_mov_b32 s0, 0x4fa461a7
	s_mov_b32 s2, 0xfebb003
	s_mov_b32 s1, 0xbc1d1db5
	s_mov_b32 s3, 0x3b3e1d3b
	s_mov_b32 s5, 0x3e765866
	v_fma_f64 v[14:15], v[3:4], s[2:3], s[0:1]
	;; [unrolled: 6-line block ×4, first 2 shown]
	s_mov_b32 s0, 0x6fecf7e5
	s_mov_b32 s2, 0xc08fd91
	;; [unrolled: 1-line block ×9, first 2 shown]
	v_fma_f64 v[22:23], v[3:4], s[12:13], s[8:9]
	s_mov_b32 s16, 0xac38c4c6
	s_mov_b32 s15, 0xbda01dc6
	s_mov_b32 s17, 0x3cc526b0
	s_mov_b32 s8, 0xb48d3ae7
	v_fma_f64 v[28:29], v[3:4], s[16:17], s[14:15]
	s_mov_b32 s12, 0xe2f6b32b
	s_mov_b32 s9, 0x409101d4
	s_mov_b32 s13, 0xbe80f496
	s_mov_b32 s14, 0x624dd2f2
	;; [unrolled: 5-line block ×3, first 2 shown]
	s_mov_b32 s17, 0x3e56a395
	v_fma_f64 v[14:15], v[3:4], v[14:15], s[4:5]
	s_mov_b32 s4, 0x5033c5c3
	s_mov_b32 s5, 0xbd6d5f58
	;; [unrolled: 1-line block ×3, first 2 shown]
	v_fma_f64 v[20:21], v[3:4], s[6:7], s[4:5]
	s_mov_b32 s4, 0xea8ff5b3
	v_fma_f64 v[16:17], v[5:6], s[0:1], v[16:17]
	s_mov_b32 s0, 0x15798ee
	s_mov_b32 s1, 0x40040000
	;; [unrolled: 1-line block ×5, first 2 shown]
	v_fma_f64 v[18:19], v[5:6], s[0:1], v[18:19]
	s_mov_b32 s0, 0xab1f280e
	s_mov_b32 s1, 0x40132329
	v_fma_f64 v[26:27], v[7:8], s[8:9], s[6:7]
	s_mov_b32 s8, 0x5be85e2
	s_mov_b32 s9, 0x4011e823
	;; [unrolled: 1-line block ×6, first 2 shown]
	v_fma_f64 v[22:23], v[3:4], v[22:23], s[12:13]
	s_mov_b32 s12, 0x652b82fe
	s_mov_b32 s13, 0x3ff71547
	;; [unrolled: 1-line block ×9, first 2 shown]
	v_fma_f64 v[12:13], v[3:4], v[12:13], s[2:3]
	s_mov_b32 s2, 0xea91e1b0
	s_mov_b32 s3, 0xbda961a6
	;; [unrolled: 1-line block ×5, first 2 shown]
	v_fma_f64 v[14:15], v[3:4], v[14:15], s[2:3]
	s_mov_b32 s2, 0xff97247
	s_mov_b32 s3, 0xc0dc8865
	;; [unrolled: 1-line block ×3, first 2 shown]
	v_fma_f64 v[24:25], v[7:8], s[2:3], s[0:1]
	v_fma_f64 v[20:21], v[3:4], v[20:21], s[4:5]
	s_mov_b32 s0, 0x7b5e1a3d
	s_mov_b32 s2, 0x73e4c12
	;; [unrolled: 1-line block ×15, first 2 shown]
	v_fma_f64 v[71:72], v[3:4], s[50:51], s[48:49]
	v_fma_f64 v[22:23], v[3:4], v[22:23], s[6:7]
	s_mov_b32 s6, 0x3b39803f
	s_mov_b32 s7, 0xbc7abc9e
	;; [unrolled: 1-line block ×9, first 2 shown]
	v_fma_f64 v[37:38], v[3:4], v[12:13], v[16:17]
	v_fma_f64 v[12:13], v[7:8], s[14:15], s[8:9]
	;; [unrolled: 1-line block ×3, first 2 shown]
	s_mov_b32 s8, 0xfefa39ef
	s_mov_b32 s9, 0xbfe62e42
	;; [unrolled: 1-line block ×3, first 2 shown]
	v_fma_f64 v[35:36], v[3:4], v[14:15], v[18:19]
	v_fma_f64 v[18:19], v[3:4], v[28:29], s[16:17]
	s_mov_b32 s16, 0x6a5dcb37
	s_mov_b32 s4, 0xd7e284d4
	v_fma_f64 v[14:15], v[5:6], s[0:1], v[24:25]
	v_fma_f64 v[20:21], v[3:4], v[20:21], s[2:3]
	s_mov_b32 s0, 0xe406d029
	s_mov_b32 s2, 0xd8e1440e
	;; [unrolled: 1-line block ×12, first 2 shown]
	v_fma_f64 v[77:78], v[3:4], s[60:61], s[58:59]
	s_mov_b32 s50, 0xfd8adaba
	s_mov_b32 s49, 0x402140c4
	v_fma_f64 v[71:72], v[3:4], v[71:72], s[52:53]
	s_mov_b32 s51, 0xc0e8ddbf
	s_mov_b32 s54, 0x91aeeb3c
	;; [unrolled: 1-line block ×7, first 2 shown]
	v_add_co_u32 v51, vcc_lo, s10, v10
	v_add_co_ci_u32_e32 v52, vcc_lo, s11, v11, vcc_lo
	v_mul_f64 v[24:25], v[37:38], s[12:13]
	v_fma_f64 v[12:13], v[5:6], s[0:1], v[12:13]
	v_fma_f64 v[27:28], v[3:4], v[22:23], v[16:17]
	s_mov_b32 s0, 0x59c3fa88
	s_mov_b32 s1, 0xbda1c87b
	v_mul_f64 v[31:32], v[35:36], s[12:13]
	v_fma_f64 v[18:19], v[3:4], v[18:19], s[2:3]
	s_mov_b32 s2, 0xd148b330
	s_mov_b32 s3, 0x3cce4ce6
	v_mov_b32_e32 v10, 0
	v_fma_f64 v[29:30], v[3:4], v[20:21], v[14:15]
	s_delay_alu instid0(VALU_DEP_2) | instskip(SKIP_1) | instid1(VALU_DEP_2)
	v_lshlrev_b64 v[93:94], 3, v[9:10]
	v_add_nc_u32_e32 v9, s33, v9
	v_add_co_u32 v93, vcc_lo, s10, v93
	s_delay_alu instid0(VALU_DEP_3)
	v_add_co_ci_u32_e32 v94, vcc_lo, s11, v94, vcc_lo
	v_cmp_nlt_f64_e32 vcc_lo, 0x40900000, v[37:38]
	v_rndne_f64_e32 v[47:48], v[24:25]
	v_mul_f64 v[16:17], v[27:28], s[12:13]
	v_rndne_f64_e32 v[49:50], v[31:32]
	v_fma_f64 v[12:13], v[3:4], v[18:19], v[12:13]
	v_mul_f64 v[14:15], v[29:30], s[12:13]
	v_fma_f64 v[18:19], v[47:48], s[8:9], v[37:38]
	v_cvt_i32_f64_e32 v0, v[47:48]
	v_rndne_f64_e32 v[45:46], v[16:17]
	v_fma_f64 v[20:21], v[49:50], s[8:9], v[35:36]
	v_mul_f64 v[22:23], v[12:13], s[12:13]
	v_cvt_i32_f64_e32 v2, v[49:50]
	v_rndne_f64_e32 v[43:44], v[14:15]
	v_fma_f64 v[14:15], v[3:4], s[2:3], s[0:1]
	s_mov_b32 s0, 0xfb2900aa
	s_mov_b32 s2, 0x3afb7e9
	;; [unrolled: 1-line block ×4, first 2 shown]
	v_fma_f64 v[41:42], v[47:48], s[6:7], v[18:19]
	v_fma_f64 v[18:19], v[45:46], s[8:9], v[27:28]
	;; [unrolled: 1-line block ×3, first 2 shown]
	v_rndne_f64_e32 v[53:54], v[22:23]
	v_fma_f64 v[22:23], v[7:8], s[2:3], s[0:1]
	s_mov_b32 s0, 0x17557031
	s_mov_b32 s2, 0x1f4bb474
	v_fma_f64 v[16:17], v[43:44], s[8:9], v[29:30]
	v_fma_f64 v[14:15], v[3:4], v[14:15], s[4:5]
	s_mov_b32 s1, 0x3da4ef95
	s_mov_b32 s3, 0xbcc37067
	;; [unrolled: 1-line block ×3, first 2 shown]
	v_fma_f64 v[31:32], v[3:4], s[2:3], s[0:1]
	s_mov_b32 s0, 0xdac6e07a
	s_mov_b32 s2, 0xf9364039
	;; [unrolled: 1-line block ×5, first 2 shown]
	v_cvt_i32_f64_e32 v11, v[43:44]
	v_fma_f64 v[20:21], v[41:42], s[16:17], s[14:15]
	v_fma_f64 v[57:58], v[45:46], s[6:7], v[18:19]
	;; [unrolled: 1-line block ×5, first 2 shown]
	s_mov_b32 s0, 0x5989b4a8
	s_mov_b32 s1, 0xbe7c5971
	v_fma_f64 v[59:60], v[43:44], s[6:7], v[16:17]
	v_fma_f64 v[14:15], v[3:4], v[14:15], s[2:3]
	s_mov_b32 s2, 0xa2d22780
	s_mov_b32 s3, 0x400e47e3
	s_delay_alu instid0(SALU_CYCLE_1)
	v_fma_f64 v[22:23], v[7:8], s[4:5], s[2:3]
	v_fma_f64 v[31:32], v[3:4], v[31:32], s[0:1]
	s_mov_b32 s0, 0xbbf289f6
	s_mov_b32 s2, 0x4801d1dd
	s_mov_b32 s1, 0x4010119f
	s_mov_b32 s3, 0x3f52593e
	s_mov_b32 s4, 0xec074fab
	s_mov_b32 s5, 0x40075449
	s_delay_alu instid0(SALU_CYCLE_1)
	v_fma_f64 v[69:70], v[7:8], s[38:39], s[4:5]
	s_mov_b32 s38, 0xdede96a2
	s_mov_b32 s39, 0x3dc32540
	;; [unrolled: 1-line block ×4, first 2 shown]
	v_fma_f64 v[16:17], v[41:42], v[20:21], s[26:27]
	v_fma_f64 v[39:40], v[57:58], s[16:17], s[14:15]
	;; [unrolled: 1-line block ×5, first 2 shown]
	s_mov_b32 s30, 0xb64fe36e
	s_mov_b32 s34, 0xab01922f
	v_fma_f64 v[33:34], v[59:60], s[16:17], s[14:15]
	s_mov_b32 s31, 0x3dc10150
	s_mov_b32 s35, 0xbcd9eeb6
	s_delay_alu instid0(SALU_CYCLE_1)
	v_fma_f64 v[63:64], v[3:4], s[34:35], s[30:31]
	s_mov_b32 s34, 0x98310ec1
	s_mov_b32 s35, 0x4015f09e
	;; [unrolled: 1-line block ×4, first 2 shown]
	v_fma_f64 v[79:80], v[5:6], s[36:37], v[69:70]
	s_mov_b32 s36, 0xf45c2785
	s_mov_b32 s37, 0x3f6da795
	v_fma_f64 v[61:62], v[41:42], v[16:17], s[28:29]
	v_fma_f64 v[17:18], v[3:4], v[14:15], v[18:19]
	;; [unrolled: 1-line block ×10, first 2 shown]
	s_mov_b32 s34, 0x417680ee
	s_mov_b32 s35, 0x3f3fd09d
	v_fma_f64 v[63:64], v[3:4], v[63:64], s[40:41]
	s_mov_b32 s40, 0x79c0fa21
	s_mov_b32 s41, 0xbcde9953
	;; [unrolled: 1-line block ×4, first 2 shown]
	v_fma_f64 v[75:76], v[3:4], s[40:41], s[38:39]
	s_mov_b32 s45, 0x4018af4d
	s_mov_b32 s47, 0xc0e696f3
	;; [unrolled: 1-line block ×10, first 2 shown]
	v_fma_f64 v[71:72], v[3:4], v[71:72], s[2:3]
	v_fma_f64 v[85:86], v[7:8], s[40:41], s[38:39]
	s_mov_b32 s2, 0x12dc25b0
	s_mov_b32 s38, 0xaacd9e84
	;; [unrolled: 1-line block ×6, first 2 shown]
	v_fma_f64 v[61:62], v[41:42], v[61:62], s[24:25]
	v_mul_f64 v[73:74], v[17:18], s[12:13]
	v_fma_f64 v[14:15], v[55:56], v[14:15], s[24:25]
	v_fma_f64 v[19:20], v[5:6], s[30:31], v[19:20]
	s_mov_b32 s30, 0xfbc69f5e
	v_fma_f64 v[23:24], v[3:4], v[23:24], s[34:35]
	v_fma_f64 v[33:34], v[3:4], v[25:26], v[21:22]
	;; [unrolled: 1-line block ×7, first 2 shown]
	s_mov_b32 s44, 0x62f32c9a
	s_mov_b32 s46, 0x97ad9a01
	;; [unrolled: 1-line block ×5, first 2 shown]
	v_fma_f64 v[81:82], v[3:4], s[46:47], s[44:45]
	s_mov_b32 s46, 0x3029e0e7
	s_mov_b32 s47, 0x3db5142e
	v_fma_f64 v[75:76], v[3:4], v[75:76], s[54:55]
	s_mov_b32 s43, 0xbea0b48f
	s_mov_b32 s44, 0x128bf3bf
	;; [unrolled: 3-line block ×3, first 2 shown]
	s_mov_b32 s34, 0x5f3a4d2e
	s_mov_b32 s35, 0x40024926
	;; [unrolled: 1-line block ×3, first 2 shown]
	v_fma_f64 v[85:86], v[5:6], s[34:35], v[85:86]
	s_mov_b32 s34, 11
	s_mov_b32 s35, 0x3fe00000
	;; [unrolled: 1-line block ×3, first 2 shown]
	v_fma_f64 v[61:62], v[41:42], v[61:62], s[22:23]
	v_rndne_f64_e32 v[69:70], v[73:74]
	v_fma_f64 v[73:74], v[7:8], s[50:51], s[48:49]
	s_mov_b32 s48, 0xef78f170
	s_mov_b32 s49, 0xbcd257cb
	v_fma_f64 v[14:15], v[55:56], v[14:15], s[22:23]
	s_mov_b32 s50, 0x1b866e44
	s_mov_b32 s51, 0x40c27e2c
	v_fma_f64 v[39:40], v[3:4], v[23:24], v[19:20]
	v_mul_f64 v[19:20], v[33:34], s[12:13]
	v_fma_f64 v[25:26], v[59:60], v[25:26], s[24:25]
	v_fma_f64 v[23:24], v[3:4], s[48:49], s[46:47]
	s_mov_b32 s46, 0xcf280ec0
	s_mov_b32 s48, 0x854e86a3
	;; [unrolled: 1-line block ×4, first 2 shown]
	v_fma_f64 v[21:22], v[67:68], v[21:22], s[28:29]
	v_fma_f64 v[31:32], v[57:58], v[31:32], s[24:25]
	;; [unrolled: 1-line block ×4, first 2 shown]
	s_mov_b32 s0, 0x5acd06a5
	s_mov_b32 s1, 0xbeb007bd
	s_delay_alu instid0(SALU_CYCLE_1)
	v_fma_f64 v[81:82], v[3:4], v[81:82], s[0:1]
	v_fma_f64 v[75:76], v[3:4], v[75:76], s[30:31]
	s_mov_b32 s0, 0x9340641e
	s_mov_b32 s30, 0xdbd7ce26
	;; [unrolled: 1-line block ×4, first 2 shown]
	v_fma_f64 v[77:78], v[3:4], v[77:78], s[36:37]
	s_mov_b32 s36, 0x2cb996d4
	s_mov_b32 s37, 0x3dcafdc3
	v_fma_f64 v[83:84], v[41:42], v[61:62], s[20:21]
	v_fma_f64 v[61:62], v[3:4], v[63:64], v[79:80]
	v_fma_f64 v[63:64], v[69:70], s[8:9], v[17:18]
	v_fma_f64 v[79:80], v[7:8], s[50:51], s[44:45]
	v_fma_f64 v[89:90], v[5:6], s[4:5], v[73:74]
	v_fma_f64 v[14:15], v[55:56], v[14:15], s[20:21]
	s_mov_b32 s4, 0x4fdf3b64
	s_mov_b32 s5, 0x40e7cee5
	v_mul_f64 v[91:92], v[39:40], s[12:13]
	v_rndne_f64_e32 v[73:74], v[19:20]
	v_fma_f64 v[25:26], v[59:60], v[25:26], s[22:23]
	v_fma_f64 v[19:20], v[7:8], s[38:39], s[2:3]
	;; [unrolled: 1-line block ×4, first 2 shown]
	s_mov_b32 s0, 0xb314eac9
	s_mov_b32 s2, 0x711ca116
	v_fma_f64 v[21:22], v[67:68], v[21:22], s[24:25]
	v_fma_f64 v[97:98], v[57:58], v[31:32], s[22:23]
	;; [unrolled: 1-line block ×4, first 2 shown]
	s_mov_b32 s1, 0x3fb32977
	s_mov_b32 s3, 0x3f7b6cb6
	;; [unrolled: 1-line block ×4, first 2 shown]
	v_cmp_ngt_f64_e64 s4, 0xc090cc00, v[27:28]
	s_mov_b32 s38, 0xc9942ee8
	s_mov_b32 s40, 0xc0090e8f
	;; [unrolled: 1-line block ×4, first 2 shown]
	v_fma_f64 v[83:84], v[41:42], v[83:84], s[18:19]
	v_mul_f64 v[65:66], v[61:62], s[12:13]
	v_fma_f64 v[101:102], v[69:70], s[6:7], v[63:64]
	v_fma_f64 v[63:64], v[5:6], s[0:1], v[79:80]
	;; [unrolled: 1-line block ×4, first 2 shown]
	s_mov_b32 s0, 0x3bac2892
	s_mov_b32 s2, 0xfcdc62d9
	v_rndne_f64_e32 v[71:72], v[91:92]
	v_fma_f64 v[81:82], v[73:74], s[8:9], v[33:34]
	v_fma_f64 v[91:92], v[59:60], v[25:26], s[20:21]
	s_mov_b32 s1, 0x4005b8b3
	s_mov_b32 s3, 0x3f50e56e
	v_fma_f64 v[23:24], v[3:4], v[75:76], v[89:90]
	v_fma_f64 v[19:20], v[5:6], s[0:1], v[19:20]
	;; [unrolled: 1-line block ×3, first 2 shown]
	s_mov_b32 s0, 0x23f95973
	s_mov_b32 s2, 0x7e62db66
	s_mov_b32 s1, 0x400edc14
	s_mov_b32 s3, 0x3f6214cd
	v_fma_f64 v[95:96], v[57:58], v[97:98], s[20:21]
	v_fma_f64 v[97:98], v[67:68], v[21:22], s[22:23]
	;; [unrolled: 1-line block ×5, first 2 shown]
	v_cmp_ngt_f64_e64 s0, 0xc090cc00, v[37:38]
	v_cmp_nlt_f64_e64 s1, 0x40900000, v[35:36]
	v_cmp_ngt_f64_e64 s2, 0xc090cc00, v[35:36]
	v_cmp_nlt_f64_e64 s3, 0x40900000, v[27:28]
	v_fma_f64 v[83:84], v[41:42], v[83:84], s[30:31]
	v_rndne_f64_e32 v[75:76], v[65:66]
	v_fma_f64 v[65:66], v[101:102], s[16:17], s[14:15]
	v_fma_f64 v[21:22], v[3:4], v[79:80], v[63:64]
	;; [unrolled: 1-line block ×3, first 2 shown]
	v_cvt_i32_f64_e32 v14, v[45:46]
	v_fma_f64 v[63:64], v[71:72], s[8:9], v[39:40]
	v_fma_f64 v[79:80], v[73:74], s[6:7], v[81:82]
	;; [unrolled: 1-line block ×4, first 2 shown]
	v_mul_f64 v[89:90], v[31:32], s[12:13]
	v_fma_f64 v[85:86], v[57:58], v[95:96], s[18:19]
	v_fma_f64 v[91:92], v[67:68], v[97:98], s[20:21]
	v_cvt_i32_f64_e32 v97, v[53:54]
	v_fma_f64 v[15:16], v[3:4], v[87:88], v[99:100]
	v_fma_f64 v[83:84], v[41:42], v[83:84], s[34:35]
	;; [unrolled: 1-line block ×8, first 2 shown]
	v_rndne_f64_e32 v[63:64], v[89:90]
	v_fma_f64 v[85:86], v[57:58], v[85:86], s[30:31]
	v_fma_f64 v[89:90], v[67:68], v[91:92], s[18:19]
	v_fma_f64 v[83:84], v[41:42], v[83:84], 1.0
	v_fma_f64 v[49:50], v[75:76], s[6:7], v[95:96]
	v_fma_f64 v[65:66], v[101:102], v[65:66], s[28:29]
	v_fma_f64 v[87:88], v[55:56], v[87:88], 1.0
	v_fma_f64 v[43:44], v[77:78], s[16:17], s[14:15]
	v_fma_f64 v[45:46], v[79:80], v[47:48], s[26:27]
	;; [unrolled: 1-line block ×5, first 2 shown]
	v_fma_f64 v[41:42], v[41:42], v[83:84], 1.0
	v_fma_f64 v[83:84], v[63:64], s[8:9], v[31:32]
	v_fma_f64 v[89:90], v[101:102], v[65:66], s[24:25]
	v_fma_f64 v[55:56], v[55:56], v[87:88], 1.0
	v_fma_f64 v[87:88], v[49:50], s[16:17], s[14:15]
	v_fma_f64 v[43:44], v[77:78], v[43:44], s[26:27]
	;; [unrolled: 1-line block ×3, first 2 shown]
	v_fma_f64 v[47:48], v[59:60], v[47:48], 1.0
	v_fma_f64 v[81:82], v[57:58], v[81:82], 1.0
	v_fma_f64 v[53:54], v[67:68], v[85:86], s[34:35]
	v_fma_f64 v[65:66], v[63:64], s[6:7], v[83:84]
	v_ldexp_f64 v[83:84], v[41:42], v0
	v_mul_f64 v[41:42], v[23:24], s[12:13]
	v_ldexp_f64 v[55:56], v[55:56], v2
	v_fma_f64 v[85:86], v[49:50], v[87:88], s[26:27]
	v_fma_f64 v[87:88], v[101:102], v[89:90], s[22:23]
	;; [unrolled: 1-line block ×4, first 2 shown]
	v_fma_f64 v[47:48], v[59:60], v[47:48], 1.0
	v_mul_f64 v[59:60], v[25:26], s[12:13]
	v_mul_f64 v[89:90], v[21:22], s[12:13]
	v_fma_f64 v[57:58], v[57:58], v[81:82], 1.0
	v_fma_f64 v[53:54], v[67:68], v[53:54], 1.0
	v_fma_f64 v[81:82], v[65:66], s[16:17], s[14:15]
	v_cndmask_b32_e32 v0, 0x7ff00000, v84, vcc_lo
	v_rndne_f64_e32 v[41:42], v[41:42]
	s_and_b32 vcc_lo, s0, vcc_lo
	v_cndmask_b32_e64 v2, 0x7ff00000, v56, s1
	v_fma_f64 v[85:86], v[49:50], v[85:86], s[28:29]
	v_fma_f64 v[87:88], v[101:102], v[87:88], s[20:21]
	;; [unrolled: 1-line block ×4, first 2 shown]
	v_ldexp_f64 v[91:92], v[47:48], v11
	v_rndne_f64_e32 v[37:38], v[59:60]
	v_mul_f64 v[47:48], v[19:20], s[12:13]
	v_rndne_f64_e32 v[35:36], v[89:90]
	v_cndmask_b32_e64 v89, 0, v0, s0
	v_cmp_ngt_f64_e64 s0, 0xc090cc00, v[29:30]
	s_and_b32 s1, s2, s1
	v_ldexp_f64 v[56:57], v[57:58], v14
	v_fma_f64 v[53:54], v[67:68], v[53:54], 1.0
	v_fma_f64 v[59:60], v[65:66], v[81:82], s[26:27]
	v_fma_f64 v[67:68], v[41:42], s[8:9], v[23:24]
	;; [unrolled: 1-line block ×6, first 2 shown]
	v_cndmask_b32_e32 v88, 0, v83, vcc_lo
	v_fma_f64 v[95:96], v[37:38], s[8:9], v[25:26]
	v_cmp_nlt_f64_e32 vcc_lo, 0x40900000, v[29:30]
	v_mul_f64 v[29:30], v[15:16], s[12:13]
	global_store_b64 v[51:52], v[88:89], off
	v_cndmask_b32_e64 v52, 0, v2, s2
	v_cndmask_b32_e64 v51, 0, v55, s1
	v_cmp_ngt_f64_e64 s2, 0xc090cc00, v[12:13]
	v_cndmask_b32_e64 v57, 0x7ff00000, v57, s3
	v_ldexp_f64 v[97:98], v[53:54], v97
	v_fma_f64 v[53:54], v[35:36], s[8:9], v[21:22]
	global_store_b64 v[93:94], v[51:52], off
	v_cndmask_b32_e64 v57, 0, v57, s4
	v_fma_f64 v[58:59], v[65:66], v[59:60], s[28:29]
	v_fma_f64 v[45:46], v[41:42], s[6:7], v[67:68]
	;; [unrolled: 1-line block ×6, first 2 shown]
	v_rndne_f64_e32 v[43:44], v[47:48]
	v_fma_f64 v[47:48], v[37:38], s[6:7], v[95:96]
	v_lshlrev_b64 v[87:88], 3, v[9:10]
	v_add_nc_u32_e32 v9, s33, v9
	v_cndmask_b32_e32 v0, 0x7ff00000, v92, vcc_lo
	s_and_b32 vcc_lo, s0, vcc_lo
	s_delay_alu instid0(VALU_DEP_2) | instskip(NEXT) | instid1(VALU_DEP_4)
	v_lshlrev_b64 v[51:52], 3, v[9:10]
	v_add_co_u32 v87, s1, s10, v87
	s_delay_alu instid0(VALU_DEP_1) | instskip(SKIP_1) | instid1(VALU_DEP_4)
	v_add_co_ci_u32_e64 v88, s1, s11, v88, s1
	v_cndmask_b32_e64 v14, 0, v0, s0
	v_add_co_u32 v89, s1, s10, v51
	s_delay_alu instid0(VALU_DEP_1)
	v_add_co_ci_u32_e64 v90, s1, s11, v52, s1
	v_cmp_nlt_f64_e64 s1, 0x40900000, v[12:13]
	v_cndmask_b32_e32 v13, 0, v91, vcc_lo
	s_and_b32 vcc_lo, s4, s3
	v_fma_f64 v[11:12], v[3:4], s[38:39], s[36:37]
	v_cndmask_b32_e32 v56, 0, v56, vcc_lo
	v_rndne_f64_e32 v[51:52], v[29:30]
	global_store_b64 v[87:88], v[13:14], off
	v_fma_f64 v[87:88], v[3:4], s[42:43], s[40:41]
	v_fma_f64 v[53:54], v[35:36], s[6:7], v[53:54]
	v_add_nc_u32_e32 v9, s33, v9
	global_store_b64 v[89:90], v[56:57], off
	v_fma_f64 v[58:59], v[65:66], v[58:59], s[24:25]
	s_mov_b32 s4, 0xaa54a7cd
	v_fma_f64 v[27:28], v[45:46], s[16:17], s[14:15]
	v_lshlrev_b64 v[55:56], 3, v[9:10]
	s_mov_b32 s36, 0x17c1bda5
	v_fma_f64 v[67:68], v[49:50], v[67:68], s[20:21]
	v_fma_f64 v[81:82], v[101:102], v[81:82], s[34:35]
	;; [unrolled: 1-line block ×6, first 2 shown]
	v_add_co_u32 v55, vcc_lo, s10, v55
	v_add_co_ci_u32_e32 v56, vcc_lo, s11, v56, vcc_lo
	s_mov_b32 s5, 0x402398c0
	s_mov_b32 s37, 0xc0af57d6
	s_mov_b32 s38, 0x9a9876e7
	s_mov_b32 s40, 0x917939a8
	s_mov_b32 s42, 0x88ce703b
	v_fma_f64 v[89:90], v[7:8], s[36:37], s[4:5]
	s_mov_b32 s39, 0xbe9bc9c5
	s_mov_b32 s41, 0x402b5009
	;; [unrolled: 1-line block ×3, first 2 shown]
	v_cvt_i32_f64_e32 v0, v[69:70]
	s_mov_b32 s4, 0x5c7fddb1
	s_mov_b32 s5, 0x3ffc2bc9
	v_cndmask_b32_e64 v2, 0x7ff00000, v98, s1
	s_and_b32 vcc_lo, s2, s1
	s_mov_b32 s0, 0xb126df11
	v_cndmask_b32_e32 v91, 0, v97, vcc_lo
	s_mov_b32 s1, 0xbea8bb9f
	v_cndmask_b32_e64 v92, 0, v2, s2
	v_fma_f64 v[11:12], v[3:4], v[11:12], s[38:39]
	v_fma_f64 v[87:88], v[3:4], v[87:88], s[0:1]
	v_fma_f64 v[93:94], v[51:52], s[8:9], v[15:16]
	s_mov_b32 s0, 0xc2e745ca
	global_store_b64 v[55:56], v[91:92], off
	v_fma_f64 v[59:60], v[65:66], v[58:59], s[22:23]
	v_fma_f64 v[91:92], v[7:8], s[42:43], s[40:41]
	;; [unrolled: 1-line block ×4, first 2 shown]
	s_mov_b32 s1, 0x40062d69
	v_fma_f64 v[67:68], v[49:50], v[67:68], s[18:19]
	v_fma_f64 v[81:82], v[101:102], v[81:82], 1.0
	v_fma_f64 v[83:84], v[77:78], v[83:84], s[30:31]
	v_fma_f64 v[85:86], v[79:80], v[85:86], s[34:35]
	;; [unrolled: 1-line block ×4, first 2 shown]
	s_mov_b32 s2, 0x8babc438
	s_mov_b32 s3, 0x3f644dbe
	v_add_nc_u32_e32 v9, s33, v9
	s_mov_b32 s36, 0x6e577b4c
	s_mov_b32 s37, 0xbccad121
	v_cmp_nlt_f64_e32 vcc_lo, 0x40900000, v[17:18]
	s_mov_b32 s38, 0x53747141
	s_mov_b32 s40, 0x4189375
	;; [unrolled: 1-line block ×6, first 2 shown]
	v_cvt_i32_f64_e32 v97, v[71:72]
	v_fma_f64 v[11:12], v[3:4], v[11:12], s[2:3]
	s_mov_b32 s2, 0x2ab960e9
	s_mov_b32 s3, 0xbce044c2
	v_fma_f64 v[29:30], v[65:66], v[59:60], s[20:21]
	v_fma_f64 v[91:92], v[5:6], s[4:5], v[91:92]
	;; [unrolled: 1-line block ×6, first 2 shown]
	v_fma_f64 v[69:70], v[101:102], v[81:82], 1.0
	v_fma_f64 v[81:82], v[77:78], v[83:84], s[34:35]
	v_fma_f64 v[83:84], v[79:80], v[85:86], 1.0
	v_fma_f64 v[85:86], v[5:6], s[0:1], v[89:90]
	s_mov_b32 s0, 0x35291c21
	s_mov_b32 s1, 0x3f72d773
	v_fma_f64 v[89:90], v[57:58], s[16:17], s[14:15]
	v_fma_f64 v[13:14], v[47:48], v[13:14], s[28:29]
	;; [unrolled: 1-line block ×3, first 2 shown]
	s_mov_b32 s0, 0x301a0c52
	s_mov_b32 s1, 0x3dc569de
	;; [unrolled: 1-line block ×3, first 2 shown]
	v_fma_f64 v[93:94], v[3:4], s[2:3], s[0:1]
	s_mov_b32 s0, 0x72bbd7ea
	s_mov_b32 s1, 0x3db7549e
	;; [unrolled: 1-line block ×5, first 2 shown]
	v_fma_f64 v[29:30], v[65:66], v[29:30], s[18:19]
	v_fma_f64 v[27:28], v[45:46], v[27:28], s[24:25]
	;; [unrolled: 1-line block ×4, first 2 shown]
	v_ldexp_f64 v[69:70], v[69:70], v0
	v_cvt_i32_f64_e32 v0, v[73:74]
	v_fma_f64 v[73:74], v[59:60], s[16:17], s[14:15]
	v_fma_f64 v[11:12], v[3:4], v[11:12], v[85:86]
	v_fma_f64 v[81:82], v[77:78], v[81:82], 1.0
	v_fma_f64 v[79:80], v[79:80], v[83:84], 1.0
	v_fma_f64 v[85:86], v[57:58], v[89:90], s[26:27]
	v_fma_f64 v[89:90], v[47:48], v[13:14], s[24:25]
	;; [unrolled: 1-line block ×3, first 2 shown]
	v_lshlrev_b64 v[87:88], 3, v[9:10]
	v_fma_f64 v[83:84], v[3:4], s[36:37], s[0:1]
	s_mov_b32 s36, 0xa8ef5fe7
	s_mov_b32 s37, 0xbe9a8a7d
	v_cmp_ngt_f64_e64 s0, 0xc090cc00, v[17:18]
	v_fma_f64 v[91:92], v[3:4], v[93:94], s[36:37]
	v_add_co_u32 v17, s1, s10, v87
	s_delay_alu instid0(VALU_DEP_1)
	v_add_co_ci_u32_e64 v18, s1, s11, v88, s1
	v_fma_f64 v[87:88], v[7:8], s[4:5], s[2:3]
	s_mov_b32 s36, 0x7ee6bae0
	s_mov_b32 s37, 0x4010971c
	v_add_nc_u32_e32 v9, s33, v9
	s_mov_b32 s2, 0xdd3f9809
	s_mov_b32 s4, 0x5faa9762
	;; [unrolled: 1-line block ×4, first 2 shown]
	v_fma_f64 v[29:30], v[65:66], v[29:30], s[30:31]
	v_fma_f64 v[27:28], v[45:46], v[27:28], s[22:23]
	;; [unrolled: 1-line block ×3, first 2 shown]
	v_fma_f64 v[67:68], v[49:50], v[67:68], 1.0
	v_cndmask_b32_e32 v2, 0x7ff00000, v70, vcc_lo
	v_fma_f64 v[72:73], v[59:60], v[73:74], s[26:27]
	v_fma_f64 v[77:78], v[77:78], v[81:82], 1.0
	v_fma_f64 v[81:82], v[7:8], s[40:41], s[38:39]
	s_mov_b32 s38, 0xb3f9ab1e
	s_mov_b32 s39, 0x3f686b42
	v_ldexp_f64 v[70:71], v[79:80], v0
	v_mul_f64 v[79:80], v[11:12], s[12:13]
	v_fma_f64 v[83:84], v[3:4], v[83:84], s[42:43]
	v_fma_f64 v[85:86], v[57:58], v[85:86], s[28:29]
	;; [unrolled: 1-line block ×3, first 2 shown]
	s_and_b32 vcc_lo, s0, vcc_lo
	v_fma_f64 v[91:92], v[3:4], v[91:92], s[38:39]
	v_cvt_i32_f64_e32 v0, v[75:76]
	v_cndmask_b32_e64 v56, 0, v2, s0
	v_cndmask_b32_e32 v55, 0, v69, vcc_lo
	v_lshlrev_b64 v[74:75], 3, v[9:10]
	v_fma_f64 v[87:88], v[5:6], s[36:37], v[87:88]
	v_add_nc_u32_e32 v9, s33, v9
	s_mov_b32 s40, 0xf1e4b44a
	global_store_b64 v[17:18], v[55:56], off
	s_mov_b32 s0, 0x4c4c3598
	v_add_co_u32 v74, vcc_lo, s10, v74
	v_lshlrev_b64 v[17:18], 3, v[9:10]
	v_add_nc_u32_e32 v9, s33, v9
	v_add_co_ci_u32_e32 v75, vcc_lo, s11, v75, vcc_lo
	s_mov_b32 s41, 0x40111cb4
	s_mov_b32 s1, 0x3f637b52
	v_fma_f64 v[29:30], v[65:66], v[29:30], s[34:35]
	v_add_co_u32 v95, vcc_lo, s10, v17
	v_fma_f64 v[27:28], v[45:46], v[27:28], s[20:21]
	v_add_co_ci_u32_e32 v96, vcc_lo, s11, v18, vcc_lo
	v_fma_f64 v[67:68], v[49:50], v[67:68], 1.0
	v_mul_f64 v[49:50], v[13:14], s[12:13]
	v_lshlrev_b64 v[17:18], 3, v[9:10]
	v_fma_f64 v[72:73], v[59:60], v[72:73], s[28:29]
	v_cmp_nlt_f64_e32 vcc_lo, 0x40900000, v[33:34]
	v_fma_f64 v[81:82], v[5:6], s[40:41], v[81:82]
	v_ldexp_f64 v[76:77], v[77:78], v97
	s_mov_b32 s36, 0x10bb4ee8
	s_mov_b32 s37, 0xbe9db60e
	v_rndne_f64_e32 v[55:56], v[79:80]
	v_fma_f64 v[83:84], v[3:4], v[83:84], s[0:1]
	v_cmp_ngt_f64_e64 s0, 0xc090cc00, v[33:34]
	v_fma_f64 v[33:34], v[3:4], s[4:5], s[2:3]
	s_mov_b32 s2, 0x5a61e093
	s_mov_b32 s4, 0x4de2fce9
	v_add_co_u32 v97, s1, s10, v17
	s_mov_b32 s3, 0x3dd74f76
	s_mov_b32 s5, 0xbcf36c97
	v_add_co_ci_u32_e64 v98, s1, s11, v18, s1
	v_fma_f64 v[17:18], v[3:4], v[91:92], v[87:88]
	v_fma_f64 v[87:88], v[3:4], s[4:5], s[2:3]
	;; [unrolled: 1-line block ×5, first 2 shown]
	s_mov_b32 s2, 0x4816f00
	s_mov_b32 s4, 0x1f75105
	;; [unrolled: 1-line block ×6, first 2 shown]
	v_fma_f64 v[29:30], v[65:66], v[29:30], 1.0
	s_mov_b32 s39, 0x401f2638
	s_mov_b32 s41, 0xc0e0e69b
	v_fma_f64 v[93:94], v[45:46], v[27:28], s[18:19]
	v_cmp_nlt_f64_e64 s1, 0x40900000, v[39:40]
	v_add_nc_u32_e32 v9, s33, v9
	v_ldexp_f64 v[67:68], v[67:68], v0
	v_rndne_f64_e32 v[49:50], v[49:50]
	v_cndmask_b32_e32 v2, 0x7ff00000, v71, vcc_lo
	v_fma_f64 v[71:72], v[59:60], v[72:73], s[24:25]
	v_cvt_i32_f64_e32 v73, v[63:64]
	v_fma_f64 v[27:28], v[3:4], v[83:84], v[81:82]
	v_fma_f64 v[81:82], v[7:8], s[4:5], s[2:3]
	;; [unrolled: 1-line block ×3, first 2 shown]
	s_mov_b32 s4, 0xf36c8028
	s_and_b32 vcc_lo, s0, vcc_lo
	s_mov_b32 s5, 0xbeaa2d53
	v_cmp_ngt_f64_e64 s2, 0xc090cc00, v[39:40]
	v_cndmask_b32_e64 v40, 0, v2, s0
	v_cndmask_b32_e32 v39, 0, v70, vcc_lo
	v_cmp_nlt_f64_e32 vcc_lo, 0x40900000, v[61:62]
	v_cmp_ngt_f64_e64 s0, 0xc090cc00, v[61:62]
	v_fma_f64 v[61:62], v[7:8], s[40:41], s[38:39]
	v_fma_f64 v[87:88], v[3:4], v[87:88], s[4:5]
	;; [unrolled: 1-line block ×5, first 2 shown]
	s_mov_b32 s4, 0xaa8650e7
	s_mov_b32 s36, 0x717c07fd
	;; [unrolled: 1-line block ×6, first 2 shown]
	v_fma_f64 v[29:30], v[65:66], v[29:30], 1.0
	v_fma_f64 v[65:66], v[55:56], s[8:9], v[11:12]
	v_fma_f64 v[89:90], v[45:46], v[93:94], s[30:31]
	v_cndmask_b32_e64 v0, 0x7ff00000, v77, s1
	v_fma_f64 v[69:70], v[49:50], s[8:9], v[13:14]
	v_fma_f64 v[71:72], v[59:60], v[71:72], s[22:23]
	;; [unrolled: 1-line block ×4, first 2 shown]
	s_mov_b32 s4, 0x31487768
	s_mov_b32 s36, 0xe497ede9
	;; [unrolled: 1-line block ×4, first 2 shown]
	v_cndmask_b32_e64 v94, 0, v0, s2
	v_cndmask_b32_e32 v2, 0x7ff00000, v68, vcc_lo
	s_and_b32 vcc_lo, s0, vcc_lo
	v_fma_f64 v[61:62], v[5:6], s[4:5], v[61:62]
	s_mov_b32 s4, 0x2ac75602
	s_mov_b32 s5, 0x3de0dc9f
	v_fma_f64 v[77:78], v[57:58], v[78:79], s[20:21]
	v_fma_f64 v[79:80], v[53:54], v[83:84], s[18:19]
	;; [unrolled: 1-line block ×3, first 2 shown]
	v_ldexp_f64 v[91:92], v[29:30], v73
	v_fma_f64 v[65:66], v[55:56], s[6:7], v[65:66]
	v_fma_f64 v[85:86], v[45:46], v[89:90], s[34:35]
	;; [unrolled: 1-line block ×4, first 2 shown]
	s_mov_b32 s36, 0x753f615
	s_mov_b32 s37, 0xbcfc4e76
	v_fma_f64 v[70:71], v[59:60], v[71:72], s[20:21]
	v_fma_f64 v[89:90], v[3:4], s[36:37], s[4:5]
	s_mov_b32 s4, 0xddc6e95a
	s_mov_b32 s36, 0xf12db09f
	;; [unrolled: 1-line block ×4, first 2 shown]
	v_cndmask_b32_e64 v88, 0, v2, s0
	v_fma_f64 v[99:100], v[3:4], s[36:37], s[4:5]
	v_cndmask_b32_e32 v87, 0, v67, vcc_lo
	s_and_b32 vcc_lo, s2, s1
	s_mov_b32 s0, 0x5d6967a3
	s_mov_b32 s2, 0xda122fad
	;; [unrolled: 1-line block ×5, first 2 shown]
	v_cndmask_b32_e32 v93, 0, v76, vcc_lo
	s_mov_b32 s5, 0xc0c91cc2
	s_clause 0x1
	global_store_b64 v[74:75], v[39:40], off
	global_store_b64 v[95:96], v[87:88], off
	v_fma_f64 v[33:34], v[3:4], v[33:34], v[81:82]
	v_fma_f64 v[72:73], v[57:58], v[77:78], s[18:19]
	;; [unrolled: 1-line block ×4, first 2 shown]
	v_mul_f64 v[80:81], v[17:18], s[12:13]
	global_store_b64 v[97:98], v[93:94], off
	v_cmp_nlt_f64_e32 vcc_lo, 0x40900000, v[31:32]
	v_cvt_i32_f64_e32 v2, v[41:42]
	s_mov_b32 s36, 0x5460aa65
	s_mov_b32 s37, 0x40c65132
	v_fma_f64 v[39:40], v[65:66], s[16:17], s[14:15]
	v_cvt_i32_f64_e32 v97, v[37:38]
	v_fma_f64 v[83:84], v[45:46], v[85:86], 1.0
	v_mul_f64 v[85:86], v[27:28], s[12:13]
	v_fma_f64 v[74:75], v[63:64], s[16:17], s[14:15]
	v_fma_f64 v[29:30], v[3:4], v[68:69], v[61:62]
	;; [unrolled: 1-line block ×3, first 2 shown]
	s_mov_b32 s0, 0x485b62c8
	s_mov_b32 s2, 0x304618e9
	;; [unrolled: 1-line block ×4, first 2 shown]
	v_fma_f64 v[67:68], v[3:4], v[89:90], s[0:1]
	v_fma_f64 v[87:88], v[7:8], s[4:5], s[2:3]
	s_mov_b32 s0, 0x57ef94a2
	s_mov_b32 s2, 0xdfc0f594
	;; [unrolled: 1-line block ×6, first 2 shown]
	v_fma_f64 v[89:90], v[3:4], s[2:3], s[0:1]
	v_fma_f64 v[93:94], v[3:4], v[99:100], s[4:5]
	;; [unrolled: 1-line block ×3, first 2 shown]
	s_mov_b32 s0, 0xa5d9c3d6
	s_mov_b32 s2, 0xcf6d1024
	s_mov_b32 s1, 0x400049f4
	s_mov_b32 s3, 0x3fff4645
	s_mov_b32 s4, 0x535f22a5
	s_mov_b32 s5, 0x402e3b31
	v_fma_f64 v[76:77], v[53:54], v[76:77], s[34:35]
	v_fma_f64 v[78:79], v[47:48], v[78:79], 1.0
	v_fma_f64 v[72:73], v[57:58], v[72:73], s[30:31]
	v_mul_f64 v[95:96], v[33:34], s[12:13]
	v_cndmask_b32_e32 v0, 0x7ff00000, v92, vcc_lo
	v_fma_f64 v[39:40], v[65:66], v[39:40], s[26:27]
	v_fma_f64 v[82:83], v[45:46], v[83:84], 1.0
	v_rndne_f64_e32 v[41:42], v[85:86]
	v_rndne_f64_e32 v[45:46], v[80:81]
	v_fma_f64 v[74:75], v[63:64], v[74:75], s[26:27]
	v_mul_f64 v[80:81], v[29:30], s[12:13]
	v_fma_f64 v[61:62], v[5:6], s[0:1], v[61:62]
	s_mov_b32 s0, 0x5720731e
	s_mov_b32 s1, 0x3f7dfe6a
	s_delay_alu instid0(SALU_CYCLE_1)
	v_fma_f64 v[67:68], v[3:4], v[67:68], s[0:1]
	v_fma_f64 v[84:85], v[5:6], s[2:3], v[87:88]
	s_mov_b32 s2, 0x2c8defc6
	s_mov_b32 s3, 0x3f81d097
	v_fma_f64 v[86:87], v[7:8], s[36:37], s[4:5]
	v_cmp_ngt_f64_e64 s0, 0xc090cc00, v[31:32]
	s_mov_b32 s4, 0xb006255b
	s_mov_b32 s5, 0x3f8634a9
	v_fma_f64 v[88:89], v[3:4], v[89:90], s[38:39]
	v_fma_f64 v[92:93], v[3:4], v[93:94], s[2:3]
	;; [unrolled: 1-line block ×3, first 2 shown]
	s_mov_b32 s2, 0x373affb0
	s_mov_b32 s3, 0x3ff1266d
	v_cmp_ngt_f64_e64 s1, 0xc090cc00, v[23:24]
	s_mov_b32 s36, 0x31182340
	s_mov_b32 s37, 0xbcd17b24
	v_fma_f64 v[76:77], v[53:54], v[76:77], 1.0
	v_fma_f64 v[78:79], v[47:48], v[78:79], 1.0
	v_fma_f64 v[71:72], v[57:58], v[72:73], s[34:35]
	v_rndne_f64_e32 v[47:48], v[95:96]
	v_fma_f64 v[39:40], v[65:66], v[39:40], s[28:29]
	v_ldexp_f64 v[82:83], v[82:83], v2
	v_cvt_i32_f64_e32 v2, v[43:44]
	v_fma_f64 v[94:95], v[45:46], s[8:9], v[17:18]
	v_fma_f64 v[73:74], v[63:64], v[74:75], s[28:29]
	;; [unrolled: 1-line block ×4, first 2 shown]
	v_rndne_f64_e32 v[61:62], v[80:81]
	v_fma_f64 v[80:81], v[5:6], s[2:3], v[86:87]
	s_and_b32 vcc_lo, s0, vcc_lo
	v_cmp_ngt_f64_e64 s2, 0xc090cc00, v[25:26]
	v_fma_f64 v[86:87], v[3:4], v[88:89], s[4:5]
	v_fma_f64 v[37:38], v[3:4], v[92:93], v[84:85]
	v_cndmask_b32_e32 v88, 0, v91, vcc_lo
	v_fma_f64 v[90:91], v[59:60], v[69:70], s[34:35]
	v_cndmask_b32_e64 v89, 0, v0, s0
	v_cmp_nlt_f64_e64 s0, 0x40900000, v[25:26]
	v_lshlrev_b64 v[84:85], 3, v[9:10]
	v_cvt_i32_f64_e32 v0, v[35:36]
	v_add_nc_u32_e32 v9, s33, v9
	v_fma_f64 v[75:76], v[53:54], v[76:77], 1.0
	v_ldexp_f64 v[78:79], v[78:79], v97
	v_fma_f64 v[53:54], v[57:58], v[71:72], 1.0
	v_fma_f64 v[71:72], v[47:48], s[8:9], v[33:34]
	v_add_co_u32 v84, vcc_lo, s10, v84
	v_add_co_ci_u32_e32 v85, vcc_lo, s11, v85, vcc_lo
	v_fma_f64 v[92:93], v[65:66], v[39:40], s[24:25]
	v_cmp_nlt_f64_e32 vcc_lo, 0x40900000, v[23:24]
	v_cmp_ngt_f64_e64 s4, 0xc090cc00, v[19:20]
	global_store_b64 v[84:85], v[88:89], off
	v_fma_f64 v[69:70], v[45:46], s[6:7], v[94:95]
	v_fma_f64 v[73:74], v[63:64], v[73:74], s[24:25]
	v_mul_f64 v[96:97], v[31:32], s[12:13]
	v_fma_f64 v[67:68], v[41:42], s[6:7], v[67:68]
	v_fma_f64 v[94:95], v[61:62], s[8:9], v[29:30]
	;; [unrolled: 1-line block ×3, first 2 shown]
	v_mul_f64 v[80:81], v[37:38], s[12:13]
	v_fma_f64 v[86:87], v[59:60], v[90:91], 1.0
	v_ldexp_f64 v[75:76], v[75:76], v0
	v_fma_f64 v[90:91], v[65:66], v[92:93], s[22:23]
	v_fma_f64 v[92:93], v[57:58], v[53:54], 1.0
	v_fma_f64 v[57:58], v[47:48], s[6:7], v[71:72]
	v_cndmask_b32_e32 v77, 0x7ff00000, v83, vcc_lo
	v_fma_f64 v[71:72], v[69:70], s[16:17], s[14:15]
	s_and_b32 vcc_lo, s1, vcc_lo
	v_fma_f64 v[73:74], v[63:64], v[73:74], s[22:23]
	v_rndne_f64_e32 v[35:36], v[96:97]
	v_fma_f64 v[98:99], v[67:68], s[16:17], s[14:15]
	v_fma_f64 v[53:54], v[61:62], s[6:7], v[94:95]
	v_cndmask_b32_e64 v97, 0x7ff00000, v79, s0
	v_cvt_i32_f64_e32 v79, v[51:52]
	s_and_b32 s0, s2, s0
	v_rndne_f64_e32 v[43:44], v[80:81]
	v_mul_f64 v[80:81], v[39:40], s[12:13]
	v_fma_f64 v[59:60], v[59:60], v[86:87], 1.0
	v_fma_f64 v[51:52], v[65:66], v[90:91], s[20:21]
	v_ldexp_f64 v[91:92], v[92:93], v2
	v_fma_f64 v[25:26], v[57:58], s[16:17], s[14:15]
	v_fma_f64 v[71:72], v[69:70], v[71:72], s[26:27]
	v_fma_f64 v[73:74], v[63:64], v[73:74], s[20:21]
	v_fma_f64 v[87:88], v[35:36], s[8:9], v[31:32]
	v_fma_f64 v[83:84], v[67:68], v[98:99], s[26:27]
	v_fma_f64 v[85:86], v[53:54], s[16:17], s[14:15]
	v_fma_f64 v[89:90], v[43:44], s[8:9], v[37:38]
	v_rndne_f64_e32 v[23:24], v[80:81]
	v_ldexp_f64 v[59:60], v[59:60], v79
	v_cndmask_b32_e32 v79, 0, v82, vcc_lo
	v_cmp_nlt_f64_e32 vcc_lo, 0x40900000, v[21:22]
	v_lshlrev_b64 v[81:82], 3, v[9:10]
	v_cndmask_b32_e64 v80, 0, v77, s1
	v_cmp_ngt_f64_e64 s1, 0xc090cc00, v[21:22]
	v_add_nc_u32_e32 v9, s33, v9
	v_cndmask_b32_e64 v77, 0, v97, s2
	v_cmp_ngt_f64_e64 s2, 0xc090cc00, v[15:16]
	v_add_co_u32 v21, s3, s10, v81
	s_delay_alu instid0(VALU_DEP_1)
	v_add_co_ci_u32_e64 v22, s3, s11, v82, s3
	v_cmp_nlt_f64_e64 s3, 0x40900000, v[19:20]
	v_fma_f64 v[93:94], v[65:66], v[51:52], s[18:19]
	v_fma_f64 v[95:96], v[57:58], v[25:26], s[26:27]
	global_store_b64 v[21:22], v[79:80], off
	v_fma_f64 v[71:72], v[69:70], v[71:72], s[28:29]
	v_lshlrev_b64 v[21:22], 3, v[9:10]
	v_fma_f64 v[73:74], v[63:64], v[73:74], s[18:19]
	v_add_nc_u32_e32 v9, s33, v9
	v_fma_f64 v[51:52], v[35:36], s[6:7], v[87:88]
	v_fma_f64 v[83:84], v[67:68], v[83:84], s[28:29]
	;; [unrolled: 1-line block ×5, first 2 shown]
	v_cndmask_b32_e32 v0, 0x7ff00000, v76, vcc_lo
	v_cndmask_b32_e64 v76, 0, v78, s0
	v_add_co_u32 v21, s0, s10, v21
	s_delay_alu instid0(VALU_DEP_1)
	v_add_co_ci_u32_e64 v22, s0, s11, v22, s0
	v_cmp_nlt_f64_e64 s0, 0x40900000, v[15:16]
	v_lshlrev_b64 v[15:16], 3, v[9:10]
	v_add_nc_u32_e32 v9, s33, v9
	global_store_b64 v[21:22], v[76:77], off
	s_and_b32 vcc_lo, s1, vcc_lo
	v_cndmask_b32_e64 v2, 0x7ff00000, v92, s3
	v_fma_f64 v[78:79], v[65:66], v[93:94], s[30:31]
	v_lshlrev_b64 v[92:93], 3, v[9:10]
	v_fma_f64 v[21:22], v[57:58], v[95:96], s[28:29]
	v_cndmask_b32_e64 v87, 0, v0, s1
	v_fma_f64 v[71:72], v[69:70], v[71:72], s[24:25]
	v_add_nc_u32_e32 v9, s33, v9
	v_fma_f64 v[73:74], v[63:64], v[73:74], s[30:31]
	v_cvt_i32_f64_e32 v0, v[55:56]
	v_fma_f64 v[76:77], v[67:68], v[83:84], s[24:25]
	v_fma_f64 v[80:81], v[53:54], v[85:86], s[28:29]
	;; [unrolled: 1-line block ×3, first 2 shown]
	v_cndmask_b32_e32 v86, 0, v75, vcc_lo
	v_add_co_u32 v88, vcc_lo, s10, v15
	v_add_co_ci_u32_e32 v89, vcc_lo, s11, v16, vcc_lo
	v_fma_f64 v[84:85], v[25:26], s[16:17], s[14:15]
	s_and_b32 vcc_lo, s4, s3
	v_fma_f64 v[15:16], v[23:24], s[6:7], v[19:20]
	v_cndmask_b32_e64 v20, 0, v2, s4
	s_mov_b32 s4, 0x69f52f8
	v_cndmask_b32_e32 v19, 0, v91, vcc_lo
	v_add_co_u32 v90, vcc_lo, s10, v92
	s_mov_b32 s5, 0x3dba3a99
	v_add_co_ci_u32_e32 v91, vcc_lo, s11, v93, vcc_lo
	v_fma_f64 v[92:93], v[3:4], s[36:37], s[4:5]
	v_cndmask_b32_e64 v60, 0x7ff00000, v60, s0
	s_clause 0x1
	global_store_b64 v[88:89], v[86:87], off
	global_store_b64 v[90:91], v[19:20], off
	s_and_b32 vcc_lo, s2, s0
	s_mov_b32 s0, 0xb9561d1b
	s_mov_b32 s1, 0x3dd5268e
	v_cndmask_b32_e64 v20, 0, v60, s2
	s_mov_b32 s2, 0x25ffae6b
	s_mov_b32 s3, 0xbcf1e5ee
	v_fma_f64 v[78:79], v[65:66], v[78:79], s[34:35]
	v_fma_f64 v[21:22], v[57:58], v[21:22], s[24:25]
	;; [unrolled: 1-line block ×5, first 2 shown]
	s_mov_b32 s4, 0xe48a58b4
	s_mov_b32 s0, 0xc28f5c29
	;; [unrolled: 1-line block ×5, first 2 shown]
	v_fma_f64 v[75:76], v[67:68], v[76:77], s[22:23]
	v_fma_f64 v[80:81], v[53:54], v[80:81], s[24:25]
	;; [unrolled: 1-line block ×4, first 2 shown]
	s_mov_b32 s0, 0x2bd298
	s_mov_b32 s1, 0x3dc2a5b4
	;; [unrolled: 1-line block ×4, first 2 shown]
	v_fma_f64 v[84:85], v[25:26], v[84:85], s[26:27]
	v_fma_f64 v[94:95], v[3:4], s[2:3], s[0:1]
	;; [unrolled: 1-line block ×3, first 2 shown]
	s_mov_b32 s5, 0xbe91d28e
	v_cndmask_b32_e32 v19, 0, v59, vcc_lo
	v_lshlrev_b64 v[59:60], 3, v[9:10]
	s_mov_b32 s0, 0x7d8ecc0b
	s_mov_b32 s2, 0x989df117
	;; [unrolled: 1-line block ×5, first 2 shown]
	v_fma_f64 v[92:93], v[3:4], v[92:93], s[4:5]
	v_add_co_u32 v59, vcc_lo, s10, v59
	v_add_co_ci_u32_e32 v60, vcc_lo, s11, v60, vcc_lo
	s_mov_b32 s4, 0xec5be0be
	s_mov_b32 s5, 0xbea75123
	;; [unrolled: 1-line block ×3, first 2 shown]
	global_store_b64 v[59:60], v[19:20], off
	v_fma_f64 v[77:78], v[65:66], v[78:79], 1.0
	v_fma_f64 v[19:20], v[57:58], v[21:22], s[22:23]
	v_fma_f64 v[73:74], v[63:64], v[73:74], 1.0
	v_fma_f64 v[21:22], v[69:70], v[71:72], s[20:21]
	v_cvt_i32_f64_e32 v2, v[49:50]
	v_cmp_nlt_f64_e32 vcc_lo, 0x40900000, v[11:12]
	v_add_nc_u32_e32 v9, s33, v9
	v_fma_f64 v[59:60], v[67:68], v[75:76], s[20:21]
	v_fma_f64 v[71:72], v[53:54], v[80:81], s[22:23]
	;; [unrolled: 1-line block ×4, first 2 shown]
	s_mov_b32 s0, 0x6198a14c
	s_mov_b32 s1, 0x40168348
	;; [unrolled: 1-line block ×4, first 2 shown]
	v_fma_f64 v[79:80], v[25:26], v[84:85], s[28:29]
	v_fma_f64 v[83:84], v[3:4], v[86:87], s[4:5]
	v_fma_f64 v[85:86], v[15:16], v[88:89], s[26:27]
	v_fma_f64 v[87:88], v[5:6], s[0:1], v[90:91]
	s_mov_b32 s0, 0x21f5e9bf
	s_mov_b32 s4, 0x2c9081c
	v_fma_f64 v[94:95], v[3:4], v[94:95], s[36:37]
	s_mov_b32 s1, 0x3f60bbca
	s_mov_b32 s5, 0xc07ea526
	;; [unrolled: 1-line block ×3, first 2 shown]
	v_fma_f64 v[89:90], v[7:8], s[4:5], s[2:3]
	v_fma_f64 v[91:92], v[3:4], v[92:93], s[0:1]
	s_mov_b32 s0, 0x4c898508
	s_mov_b32 s2, 0xa556825f
	;; [unrolled: 1-line block ×5, first 2 shown]
	v_fma_f64 v[49:50], v[3:4], s[2:3], s[0:1]
	s_mov_b32 s0, 0x864fbad3
	s_mov_b32 s2, 0x6468c0fa
	;; [unrolled: 1-line block ×4, first 2 shown]
	v_fma_f64 v[55:56], v[63:64], v[73:74], 1.0
	v_fma_f64 v[65:66], v[65:66], v[77:78], 1.0
	s_mov_b32 s5, 0xbce0f623
	s_mov_b32 s37, 0x40d61047
	v_fma_f64 v[19:20], v[57:58], v[19:20], s[20:21]
	v_fma_f64 v[21:22], v[69:70], v[21:22], s[18:19]
	;; [unrolled: 1-line block ×6, first 2 shown]
	s_mov_b32 s0, 0xb537f4ca
	s_mov_b32 s1, 0x3dd961d9
	v_fma_f64 v[77:78], v[25:26], v[79:80], s[24:25]
	v_fma_f64 v[75:76], v[3:4], v[83:84], s[2:3]
	s_mov_b32 s2, 0x98fc07ef
	s_mov_b32 s3, 0xbcf4591f
	v_fma_f64 v[79:80], v[15:16], v[85:86], s[28:29]
	v_fma_f64 v[81:82], v[3:4], s[2:3], s[0:1]
	s_mov_b32 s2, 0x8147f6e1
	s_mov_b32 s3, 0x3f70a6c5
	;; [unrolled: 1-line block ×3, first 2 shown]
	v_fma_f64 v[85:86], v[3:4], v[94:95], s[2:3]
	s_mov_b32 s2, 0xa7078f7d
	s_mov_b32 s1, 0x4017e716
	;; [unrolled: 1-line block ×3, first 2 shown]
	v_fma_f64 v[83:84], v[5:6], s[0:1], v[89:90]
	s_mov_b32 s0, 0x519d8186
	v_fma_f64 v[89:90], v[3:4], s[4:5], s[2:3]
	s_mov_b32 s2, 0x5a47e1fe
	s_mov_b32 s1, 0xc00bd8a9
	;; [unrolled: 1-line block ×3, first 2 shown]
	v_fma_f64 v[87:88], v[3:4], v[91:92], v[87:88]
	v_fma_f64 v[91:92], v[7:8], s[36:37], s[0:1]
	;; [unrolled: 1-line block ×3, first 2 shown]
	s_mov_b32 s0, 0xcb295ea
	s_mov_b32 s2, 0xbc6a7efa
	;; [unrolled: 1-line block ×8, first 2 shown]
	v_fma_f64 v[19:20], v[57:58], v[19:20], s[18:19]
	v_fma_f64 v[21:22], v[69:70], v[21:22], s[30:31]
	;; [unrolled: 1-line block ×5, first 2 shown]
	v_ldexp_f64 v[65:66], v[65:66], v0
	v_ldexp_f64 v[55:56], v[55:56], v2
	v_cvt_i32_f64_e32 v0, v[45:46]
	v_fma_f64 v[77:78], v[25:26], v[77:78], s[22:23]
	v_fma_f64 v[73:74], v[3:4], v[75:76], v[73:74]
	;; [unrolled: 1-line block ×3, first 2 shown]
	s_mov_b32 s2, 0x69446738
	s_mov_b32 s3, 0xc02aa06f
	v_fma_f64 v[81:82], v[3:4], v[81:82], s[4:5]
	s_mov_b32 s4, 0xf9724745
	s_mov_b32 s5, 0x408cdc8f
	s_mov_b32 s0, 0x38b7d772
	s_mov_b32 s1, 0x40159dcf
	v_fma_f64 v[79:80], v[15:16], v[79:80], s[24:25]
	v_cvt_i32_f64_e32 v2, v[41:42]
	v_fma_f64 v[83:84], v[3:4], v[85:86], v[83:84]
	v_fma_f64 v[85:86], v[7:8], s[4:5], s[2:3]
	s_mov_b32 s2, 0x581cd52b
	s_mov_b32 s3, 0x3f780242
	v_fma_f64 v[89:90], v[3:4], v[89:90], s[36:37]
	v_cmp_ngt_f64_e64 s4, 0xc090cc00, v[33:34]
	v_fma_f64 v[91:92], v[5:6], s[0:1], v[91:92]
	v_fma_f64 v[49:50], v[3:4], v[49:50], s[2:3]
	s_mov_b32 s0, 0x7da6f4cc
	s_mov_b32 s2, 0xd95a1b4c
	;; [unrolled: 1-line block ×4, first 2 shown]
	v_fma_f64 v[19:20], v[57:58], v[19:20], s[30:31]
	v_fma_f64 v[21:22], v[69:70], v[21:22], s[34:35]
	;; [unrolled: 1-line block ×5, first 2 shown]
	v_cndmask_b32_e32 v95, 0x7ff00000, v66, vcc_lo
	v_fma_f64 v[77:78], v[25:26], v[77:78], s[20:21]
	v_fma_f64 v[75:76], v[5:6], s[0:1], v[75:76]
	s_mov_b32 s0, 0xc76d117b
	s_mov_b32 s1, 0x401aedd4
	v_fma_f64 v[81:82], v[3:4], v[81:82], s[2:3]
	s_mov_b32 s2, 0x85e6b455
	s_mov_b32 s3, 0x3f7e8843
	v_fma_f64 v[79:80], v[15:16], v[79:80], s[22:23]
	v_fma_f64 v[85:86], v[5:6], s[0:1], v[85:86]
	v_cmp_ngt_f64_e64 s0, 0xc090cc00, v[11:12]
	v_cmp_nlt_f64_e64 s1, 0x40900000, v[13:14]
	v_fma_f64 v[89:90], v[3:4], v[89:90], s[2:3]
	v_cmp_ngt_f64_e64 s2, 0xc090cc00, v[13:14]
	v_cmp_nlt_f64_e64 s3, 0x40900000, v[33:34]
	v_fma_f64 v[49:50], v[3:4], v[49:50], v[91:92]
	v_mul_f64 v[91:92], v[87:88], s[12:13]
	v_fma_f64 v[19:20], v[57:58], v[19:20], s[34:35]
	v_fma_f64 v[21:22], v[69:70], v[21:22], 1.0
	v_fma_f64 v[71:72], v[51:52], v[71:72], s[18:19]
	v_fma_f64 v[59:60], v[67:68], v[59:60], 1.0
	v_fma_f64 v[63:64], v[53:54], v[63:64], s[34:35]
	v_fma_f64 v[77:78], v[25:26], v[77:78], s[18:19]
	;; [unrolled: 1-line block ×3, first 2 shown]
	v_mul_f64 v[81:82], v[73:74], s[12:13]
	v_fma_f64 v[79:80], v[15:16], v[79:80], s[20:21]
	s_and_b32 vcc_lo, s0, vcc_lo
	v_fma_f64 v[85:86], v[3:4], v[89:90], v[85:86]
	v_mul_f64 v[89:90], v[83:84], s[12:13]
	v_mul_f64 v[93:94], v[49:50], s[12:13]
	v_rndne_f64_e32 v[91:92], v[91:92]
	v_fma_f64 v[19:20], v[57:58], v[19:20], 1.0
	v_fma_f64 v[21:22], v[69:70], v[21:22], 1.0
	v_fma_f64 v[71:72], v[51:52], v[71:72], s[30:31]
	v_fma_f64 v[59:60], v[67:68], v[59:60], 1.0
	v_fma_f64 v[63:64], v[53:54], v[63:64], 1.0
	v_fma_f64 v[11:12], v[25:26], v[77:78], s[30:31]
	v_mul_f64 v[69:70], v[75:76], s[12:13]
	v_rndne_f64_e32 v[81:82], v[81:82]
	v_fma_f64 v[45:46], v[15:16], v[79:80], s[18:19]
	v_mul_f64 v[41:42], v[85:86], s[12:13]
	v_rndne_f64_e32 v[66:67], v[89:90]
	v_cndmask_b32_e64 v89, 0x7ff00000, v56, s1
	s_mov_b32 s12, 0xd869b103
	v_rndne_f64_e32 v[13:14], v[93:94]
	v_fma_f64 v[77:78], v[91:92], s[8:9], v[87:88]
	s_mov_b32 s13, 0x3dd16223
	v_fma_f64 v[19:20], v[57:58], v[19:20], 1.0
	v_ldexp_f64 v[21:22], v[21:22], v0
	v_fma_f64 v[71:72], v[51:52], v[71:72], s[34:35]
	v_ldexp_f64 v[58:59], v[59:60], v2
	v_cvt_i32_f64_e32 v0, v[47:48]
	v_fma_f64 v[47:48], v[53:54], v[63:64], 1.0
	v_cvt_i32_f64_e32 v2, v[61:62]
	v_cndmask_b32_e32 v62, 0, v65, vcc_lo
	v_fma_f64 v[11:12], v[25:26], v[11:12], s[34:35]
	v_lshlrev_b64 v[56:57], 3, v[9:10]
	v_add_nc_u32_e32 v9, s33, v9
	v_cndmask_b32_e64 v63, 0, v95, s0
	v_cmp_ngt_f64_e64 s0, 0xc090cc00, v[17:18]
	v_rndne_f64_e32 v[68:69], v[69:70]
	v_fma_f64 v[79:80], v[81:82], s[8:9], v[73:74]
	v_add_co_u32 v56, vcc_lo, s10, v56
	v_add_co_ci_u32_e32 v57, vcc_lo, s11, v57, vcc_lo
	s_and_b32 vcc_lo, s2, s1
	v_cmp_nlt_f64_e64 s1, 0x40900000, v[27:28]
	v_fma_f64 v[45:46], v[15:16], v[45:46], s[30:31]
	v_lshlrev_b64 v[64:65], 3, v[9:10]
	v_add_nc_u32_e32 v9, s33, v9
	v_rndne_f64_e32 v[41:42], v[41:42]
	v_fma_f64 v[53:54], v[66:67], s[8:9], v[83:84]
	v_fma_f64 v[60:61], v[91:92], s[6:7], v[77:78]
	v_cndmask_b32_e64 v78, 0, v89, s2
	v_cmp_ngt_f64_e64 s2, 0xc090cc00, v[27:28]
	v_fma_f64 v[89:90], v[13:14], s[8:9], v[49:50]
	v_cndmask_b32_e32 v77, 0, v55, vcc_lo
	v_add_co_u32 v64, vcc_lo, s10, v64
	v_add_co_ci_u32_e32 v65, vcc_lo, s11, v65, vcc_lo
	v_cmp_nlt_f64_e32 vcc_lo, 0x40900000, v[17:18]
	v_fma_f64 v[70:71], v[51:52], v[71:72], 1.0
	s_clause 0x1
	global_store_b64 v[56:57], v[62:63], off
	global_store_b64 v[64:65], v[77:78], off
	v_ldexp_f64 v[19:20], v[19:20], v0
	v_cvt_i32_f64_e32 v0, v[35:36]
	v_ldexp_f64 v[47:48], v[47:48], v2
	v_cvt_i32_f64_e32 v2, v[43:44]
	v_fma_f64 v[11:12], v[25:26], v[11:12], 1.0
	v_fma_f64 v[79:80], v[81:82], s[6:7], v[79:80]
	v_cndmask_b32_e64 v72, 0x7ff00000, v59, s1
	v_fma_f64 v[17:18], v[15:16], v[45:46], s[34:35]
	v_fma_f64 v[45:46], v[68:69], s[8:9], v[75:76]
	;; [unrolled: 1-line block ×4, first 2 shown]
	s_mov_b32 s8, 0x3dd97f63
	s_mov_b32 s9, 0xc0bf2839
	v_fma_f64 v[93:94], v[60:61], s[16:17], s[14:15]
	s_and_b32 s1, s2, s1
	v_fma_f64 v[89:90], v[13:14], s[6:7], v[89:90]
	v_cvt_i32_f64_e32 v14, v[13:14]
	v_cndmask_b32_e32 v55, 0x7ff00000, v22, vcc_lo
	v_fma_f64 v[51:52], v[51:52], v[70:71], 1.0
	s_and_b32 vcc_lo, s0, vcc_lo
	v_cndmask_b32_e64 v20, 0x7ff00000, v20, s3
	s_and_b32 s3, s4, s3
	s_delay_alu instid0(SALU_CYCLE_1) | instskip(SKIP_1) | instid1(VALU_DEP_3)
	v_cndmask_b32_e64 v19, 0, v19, s3
	v_fma_f64 v[11:12], v[25:26], v[11:12], 1.0
	v_cndmask_b32_e64 v20, 0, v20, s4
	v_cmp_ngt_f64_e64 s4, 0xc090cc00, v[29:30]
	v_fma_f64 v[70:71], v[79:80], s[16:17], s[14:15]
	v_fma_f64 v[17:18], v[15:16], v[17:18], 1.0
	v_fma_f64 v[45:46], v[68:69], s[6:7], v[45:46]
	v_fma_f64 v[27:28], v[41:42], s[6:7], v[27:28]
	;; [unrolled: 1-line block ×3, first 2 shown]
	s_mov_b32 s6, 0x225742e
	s_mov_b32 s7, 0xc02f07d5
	v_fma_f64 v[93:94], v[60:61], v[93:94], s[26:27]
	v_fma_f64 v[7:8], v[7:8], s[8:9], s[6:7]
	v_cmp_ngt_f64_e64 s6, 0xc090cc00, v[85:86]
	v_fma_f64 v[35:36], v[89:90], s[16:17], s[14:15]
	s_mov_b32 s8, 0x274b9e64
	s_mov_b32 s9, 0x401ed6c8
	v_ldexp_f64 v[51:52], v[51:52], v0
	v_cvt_i32_f64_e32 v0, v[91:92]
	v_ldexp_f64 v[11:12], v[11:12], v2
	v_fma_f64 v[43:44], v[79:80], v[70:71], s[26:27]
	v_cvt_i32_f64_e32 v70, v[23:24]
	v_fma_f64 v[15:16], v[15:16], v[17:18], 1.0
	v_fma_f64 v[17:18], v[45:46], s[16:17], s[14:15]
	v_fma_f64 v[22:23], v[27:28], s[16:17], s[14:15]
	;; [unrolled: 1-line block ×3, first 2 shown]
	v_cndmask_b32_e64 v26, 0, v72, s2
	v_cmp_ngt_f64_e64 s2, 0xc090cc00, v[37:38]
	s_mov_b32 s14, 0x29f3eae
	v_fma_f64 v[33:34], v[60:61], v[93:94], s[28:29]
	s_mov_b32 s15, 0xbce18091
	v_fma_f64 v[35:36], v[89:90], v[35:36], s[26:27]
	v_fma_f64 v[43:44], v[79:80], v[43:44], s[28:29]
	v_ldexp_f64 v[15:16], v[15:16], v70
	v_fma_f64 v[17:18], v[45:46], v[17:18], s[26:27]
	v_fma_f64 v[22:23], v[27:28], v[22:23], s[26:27]
	;; [unrolled: 1-line block ×39, first 2 shown]
	v_fma_f64 v[33:34], v[60:61], v[33:34], 1.0
	v_fma_f64 v[35:36], v[89:90], v[35:36], s[34:35]
	v_fma_f64 v[43:44], v[79:80], v[43:44], 1.0
	v_fma_f64 v[17:18], v[45:46], v[17:18], s[34:35]
	v_fma_f64 v[22:23], v[27:28], v[22:23], s[34:35]
	v_fma_f64 v[24:25], v[53:54], v[24:25], 1.0
	v_fma_f64 v[33:34], v[60:61], v[33:34], 1.0
	v_lshlrev_b64 v[59:60], 3, v[9:10]
	v_add_nc_u32_e32 v9, s33, v9
	v_fma_f64 v[35:36], v[89:90], v[35:36], 1.0
	s_delay_alu instid0(VALU_DEP_3) | instskip(NEXT) | instid1(VALU_DEP_1)
	v_add_co_u32 v59, s3, s10, v59
	v_add_co_ci_u32_e64 v60, s3, s11, v60, s3
	v_cmp_nlt_f64_e64 s3, 0x40900000, v[29:30]
	v_cndmask_b32_e64 v30, 0, v55, s0
	v_cndmask_b32_e32 v29, 0, v21, vcc_lo
	global_store_b64 v[59:60], v[19:20], off
	v_cmp_ngt_f64_e64 s0, 0xc090cc00, v[31:32]
	v_fma_f64 v[19:20], v[79:80], v[43:44], 1.0
	v_lshlrev_b64 v[43:44], 3, v[9:10]
	v_add_nc_u32_e32 v9, s33, v9
	s_delay_alu instid0(VALU_DEP_1) | instskip(NEXT) | instid1(VALU_DEP_3)
	v_lshlrev_b64 v[55:56], 3, v[9:10]
	v_add_co_u32 v43, vcc_lo, s10, v43
	s_delay_alu instid0(VALU_DEP_4)
	v_add_co_ci_u32_e32 v44, vcc_lo, s11, v44, vcc_lo
	v_fma_f64 v[21:22], v[27:28], v[22:23], 1.0
	v_cmp_nlt_f64_e32 vcc_lo, 0x40900000, v[31:32]
	v_fma_f64 v[23:24], v[53:54], v[24:25], 1.0
	v_cndmask_b32_e64 v25, 0, v58, s1
	v_ldexp_f64 v[31:32], v[33:34], v0
	v_add_co_u32 v33, s1, s10, v55
	s_delay_alu instid0(VALU_DEP_1)
	v_add_co_ci_u32_e64 v34, s1, s11, v56, s1
	v_cmp_nlt_f64_e64 s1, 0x40900000, v[37:38]
	v_fma_f64 v[17:18], v[45:46], v[17:18], 1.0
	v_add_nc_u32_e32 v9, s33, v9
	s_clause 0x1
	global_store_b64 v[43:44], v[29:30], off
	global_store_b64 v[33:34], v[25:26], off
	v_fma_f64 v[29:30], v[89:90], v[35:36], 1.0
	v_cndmask_b32_e64 v2, 0x7ff00000, v48, s3
	v_cvt_i32_f64_e32 v48, v[81:82]
	s_and_b32 s3, s4, s3
	v_lshlrev_b64 v[25:26], 3, v[9:10]
	v_add_nc_u32_e32 v9, s33, v9
	v_cndmask_b32_e64 v13, 0, v2, s4
	v_cmp_ngt_f64_e64 s4, 0xc090cc00, v[39:40]
	v_cvt_i32_f64_e32 v43, v[41:42]
	v_cvt_i32_f64_e32 v53, v[66:67]
	v_lshlrev_b64 v[33:34], 3, v[9:10]
	v_add_nc_u32_e32 v9, s33, v9
	v_add_co_u32 v25, s5, s10, v25
	s_delay_alu instid0(VALU_DEP_1) | instskip(NEXT) | instid1(VALU_DEP_3)
	v_add_co_ci_u32_e64 v26, s5, s11, v26, s5
	v_lshlrev_b64 v[37:38], 3, v[9:10]
	v_add_nc_u32_e32 v9, s33, v9
	v_fma_f64 v[21:22], v[27:28], v[21:22], 1.0
	v_cndmask_b32_e32 v52, 0x7ff00000, v52, vcc_lo
	s_and_b32 vcc_lo, s0, vcc_lo
	v_cndmask_b32_e32 v27, 0, v51, vcc_lo
	v_add_co_u32 v33, vcc_lo, s10, v33
	v_add_co_ci_u32_e32 v34, vcc_lo, s11, v34, vcc_lo
	v_cndmask_b32_e64 v0, 0x7ff00000, v12, s1
	v_cndmask_b32_e64 v12, 0, v47, s3
	v_cmp_nlt_f64_e64 s3, 0x40900000, v[39:40]
	s_and_b32 s1, s2, s1
	v_cmp_nlt_f64_e32 vcc_lo, 0x40900000, v[87:88]
	v_cndmask_b32_e64 v35, 0, v11, s1
	v_add_co_u32 v37, s1, s10, v37
	s_delay_alu instid0(VALU_DEP_1)
	v_add_co_ci_u32_e64 v38, s1, s11, v38, s1
	v_ldexp_f64 v[19:20], v[19:20], v48
	v_cmp_nlt_f64_e64 s1, 0x40900000, v[73:74]
	v_cndmask_b32_e64 v28, 0, v52, s0
	v_cmp_ngt_f64_e64 s0, 0xc090cc00, v[87:88]
	v_cndmask_b32_e64 v36, 0, v0, s2
	v_cmp_ngt_f64_e64 s2, 0xc090cc00, v[73:74]
	v_lshlrev_b64 v[39:40], 3, v[9:10]
	v_add_nc_u32_e32 v9, s33, v9
	s_clause 0x2
	global_store_b64 v[25:26], v[12:13], off
	global_store_b64 v[33:34], v[27:28], off
	;; [unrolled: 1-line block ×3, first 2 shown]
	v_ldexp_f64 v[29:30], v[29:30], v14
	v_ldexp_f64 v[23:24], v[23:24], v53
	;; [unrolled: 1-line block ×3, first 2 shown]
	v_cndmask_b32_e64 v2, 0x7ff00000, v16, s3
	v_fma_f64 v[16:17], v[45:46], v[17:18], 1.0
	v_cvt_i32_f64_e32 v18, v[68:69]
	s_and_b32 s3, s4, s3
	v_cndmask_b32_e32 v32, 0x7ff00000, v32, vcc_lo
	v_cndmask_b32_e64 v41, 0, v15, s3
	v_add_co_u32 v14, s3, s10, v39
	v_cndmask_b32_e64 v42, 0, v2, s4
	v_cndmask_b32_e64 v0, 0x7ff00000, v20, s1
	v_lshlrev_b64 v[20:21], 3, v[9:10]
	v_add_co_ci_u32_e64 v15, s3, s11, v40, s3
	s_and_b32 vcc_lo, s0, vcc_lo
	s_and_b32 s1, s2, s1
	v_cndmask_b32_e32 v13, 0, v31, vcc_lo
	s_delay_alu instid0(VALU_DEP_3)
	v_add_co_u32 v20, vcc_lo, s10, v20
	global_store_b64 v[14:15], v[41:42], off
	v_cndmask_b32_e64 v14, 0, v32, s0
	v_add_co_ci_u32_e32 v21, vcc_lo, s11, v21, vcc_lo
	v_add_nc_u32_e32 v9, s33, v9
	v_cmp_nlt_f64_e64 s3, 0x40900000, v[83:84]
	v_cmp_nlt_f64_e32 vcc_lo, 0x40900000, v[49:50]
	global_store_b64 v[20:21], v[13:14], off
	v_cndmask_b32_e64 v13, 0, v19, s1
	v_cmp_nlt_f64_e64 s1, 0x40900000, v[75:76]
	v_cndmask_b32_e64 v14, 0, v0, s2
	v_cmp_ngt_f64_e64 s4, 0xc090cc00, v[83:84]
	v_cmp_ngt_f64_e64 s0, 0xc090cc00, v[49:50]
	;; [unrolled: 1-line block ×3, first 2 shown]
	v_ldexp_f64 v[16:17], v[16:17], v18
	v_lshlrev_b64 v[18:19], 3, v[9:10]
	v_add_nc_u32_e32 v9, s33, v9
	v_cndmask_b32_e64 v2, 0x7ff00000, v24, s3
	v_cndmask_b32_e32 v24, 0x7ff00000, v30, vcc_lo
	s_and_b32 s3, s4, s3
	s_and_b32 vcc_lo, s0, vcc_lo
	v_cndmask_b32_e64 v21, 0, v23, s3
	v_cndmask_b32_e64 v22, 0, v2, s4
	;; [unrolled: 1-line block ×3, first 2 shown]
	v_add_co_u32 v17, s5, s10, v18
	s_delay_alu instid0(VALU_DEP_1)
	v_add_co_ci_u32_e64 v18, s5, s11, v19, s5
	v_cmp_nlt_f64_e64 s5, 0x40900000, v[85:86]
	v_lshlrev_b64 v[19:20], 3, v[9:10]
	v_add_nc_u32_e32 v9, s33, v9
	global_store_b64 v[17:18], v[13:14], off
	v_fma_f64 v[14:15], v[3:4], s[14:15], s[12:13]
	v_cndmask_b32_e64 v26, 0, v0, s2
	v_mov_b32_e32 v0, s33
	v_lshlrev_b64 v[17:18], 3, v[9:10]
	v_add_nc_u32_e32 v9, s33, v9
	v_cndmask_b32_e64 v30, 0x7ff00000, v12, s5
	v_fma_f64 v[12:13], v[5:6], s[8:9], v[7:8]
	v_add_co_u32 v5, s3, s10, v19
	s_delay_alu instid0(VALU_DEP_1)
	v_add_co_ci_u32_e64 v6, s3, s11, v20, s3
	v_lshlrev_b64 v[19:20], 3, v[9:10]
	v_add_nc_u32_e32 v9, s33, v9
	v_cndmask_b32_e32 v7, 0, v29, vcc_lo
	v_add_co_u32 v23, vcc_lo, s10, v17
	v_cndmask_b32_e64 v8, 0, v24, s0
	v_add_co_ci_u32_e32 v24, vcc_lo, s11, v18, vcc_lo
	s_and_b32 vcc_lo, s2, s1
	v_lshlrev_b64 v[9:10], 3, v[9:10]
	v_cndmask_b32_e32 v25, 0, v16, vcc_lo
	v_add_co_u32 v27, vcc_lo, s10, v19
	s_mov_b32 s0, 0x27eb86be
	s_mov_b32 s2, 0xbf2010ed
	;; [unrolled: 1-line block ×4, first 2 shown]
	v_add_co_ci_u32_e32 v28, vcc_lo, s11, v20, vcc_lo
	s_and_b32 vcc_lo, s6, s5
	v_mov_b32_e32 v17, s1
	v_dual_mov_b32 v19, s3 :: v_dual_mov_b32 v16, s0
	v_dual_mov_b32 v18, s2 :: v_dual_cndmask_b32 v29, 0, v11
	v_add_co_u32 v9, vcc_lo, s10, v9
	v_cndmask_b32_e64 v30, 0, v30, s6
	v_add_co_ci_u32_e32 v10, vcc_lo, s11, v10, vcc_lo
	s_clause 0x3
	global_store_b64 v[5:6], v[21:22], off
	global_store_b64 v[23:24], v[7:8], off
	;; [unrolled: 1-line block ×4, first 2 shown]
.LBB28_4:
	s_or_b32 exec_lo, exec_lo, s56
	v_fma_f64 v[5:6], v[3:4], v[14:15], v[16:17]
	s_mov_b32 s0, 0x652b82fe
	s_mov_b32 s1, 0x3ff71547
	s_mov_b32 s2, 0x6a5dcb37
	s_mov_b32 s3, 0x3e5ade15
	s_delay_alu instid0(VALU_DEP_1) | instskip(NEXT) | instid1(VALU_DEP_1)
	v_fma_f64 v[5:6], v[3:4], v[5:6], v[18:19]
	v_fma_f64 v[2:3], v[3:4], v[5:6], v[12:13]
	s_delay_alu instid0(VALU_DEP_1) | instskip(SKIP_3) | instid1(VALU_DEP_2)
	v_mul_f64 v[4:5], v[2:3], s[0:1]
	s_mov_b32 s0, 0xfefa39ef
	s_mov_b32 s1, 0xbfe62e42
	v_cmp_nlt_f64_e32 vcc_lo, 0x40900000, v[2:3]
	v_rndne_f64_e32 v[4:5], v[4:5]
	s_delay_alu instid0(VALU_DEP_1) | instskip(SKIP_3) | instid1(VALU_DEP_2)
	v_fma_f64 v[6:7], v[4:5], s[0:1], v[2:3]
	s_mov_b32 s0, 0x3b39803f
	s_mov_b32 s1, 0xbc7abc9e
	v_cvt_i32_f64_e32 v10, v[4:5]
	v_fma_f64 v[6:7], v[4:5], s[0:1], v[6:7]
	s_mov_b32 s0, 0xfca7ab0c
	s_mov_b32 s1, 0x3e928af3
	s_delay_alu instid0(VALU_DEP_1) | instid1(SALU_CYCLE_1)
	v_fma_f64 v[8:9], v[6:7], s[2:3], s[0:1]
	s_mov_b32 s0, 0x623fde64
	s_mov_b32 s1, 0x3ec71dee
	s_delay_alu instid0(VALU_DEP_1) | instid1(SALU_CYCLE_1)
	;; [unrolled: 4-line block ×9, first 2 shown]
	v_fma_f64 v[8:9], v[6:7], v[8:9], s[0:1]
	v_cmp_ngt_f64_e64 s0, 0xc090cc00, v[2:3]
	v_mad_u64_u32 v[2:3], null, v0, 30, v[1:2]
	s_delay_alu instid0(VALU_DEP_3) | instskip(NEXT) | instid1(VALU_DEP_1)
	v_fma_f64 v[8:9], v[6:7], v[8:9], 1.0
	v_fma_f64 v[4:5], v[6:7], v[8:9], 1.0
	s_delay_alu instid0(VALU_DEP_1) | instskip(NEXT) | instid1(VALU_DEP_1)
	v_ldexp_f64 v[4:5], v[4:5], v10
	v_cndmask_b32_e32 v5, 0x7ff00000, v5, vcc_lo
	s_and_b32 vcc_lo, s0, vcc_lo
	v_mov_b32_e32 v3, 0
	s_delay_alu instid0(VALU_DEP_1) | instskip(NEXT) | instid1(VALU_DEP_4)
	v_lshlrev_b64 v[0:1], 3, v[2:3]
	v_cndmask_b32_e32 v2, 0, v4, vcc_lo
	v_cndmask_b32_e64 v3, 0, v5, s0
	s_delay_alu instid0(VALU_DEP_3) | instskip(NEXT) | instid1(VALU_DEP_4)
	v_add_co_u32 v0, vcc_lo, s10, v0
	v_add_co_ci_u32_e32 v1, vcc_lo, s11, v1, vcc_lo
	global_store_b64 v[0:1], v[2:3], off
	s_nop 0
	s_sendmsg sendmsg(MSG_DEALLOC_VGPRS)
	s_endpgm
	.section	.rodata,"a",@progbits
	.p2align	6, 0x0
	.amdhsa_kernel _Z12rdsmh_kernelIdEvPKT_PS0_S0_
		.amdhsa_group_segment_fixed_size 0
		.amdhsa_private_segment_fixed_size 0
		.amdhsa_kernarg_size 280
		.amdhsa_user_sgpr_count 15
		.amdhsa_user_sgpr_dispatch_ptr 0
		.amdhsa_user_sgpr_queue_ptr 0
		.amdhsa_user_sgpr_kernarg_segment_ptr 1
		.amdhsa_user_sgpr_dispatch_id 0
		.amdhsa_user_sgpr_private_segment_size 0
		.amdhsa_wavefront_size32 1
		.amdhsa_uses_dynamic_stack 0
		.amdhsa_enable_private_segment 0
		.amdhsa_system_sgpr_workgroup_id_x 1
		.amdhsa_system_sgpr_workgroup_id_y 0
		.amdhsa_system_sgpr_workgroup_id_z 0
		.amdhsa_system_sgpr_workgroup_info 0
		.amdhsa_system_vgpr_workitem_id 0
		.amdhsa_next_free_vgpr 103
		.amdhsa_next_free_sgpr 62
		.amdhsa_reserve_vcc 1
		.amdhsa_float_round_mode_32 0
		.amdhsa_float_round_mode_16_64 0
		.amdhsa_float_denorm_mode_32 3
		.amdhsa_float_denorm_mode_16_64 3
		.amdhsa_dx10_clamp 1
		.amdhsa_ieee_mode 1
		.amdhsa_fp16_overflow 0
		.amdhsa_workgroup_processor_mode 1
		.amdhsa_memory_ordered 1
		.amdhsa_forward_progress 0
		.amdhsa_shared_vgpr_count 0
		.amdhsa_exception_fp_ieee_invalid_op 0
		.amdhsa_exception_fp_denorm_src 0
		.amdhsa_exception_fp_ieee_div_zero 0
		.amdhsa_exception_fp_ieee_overflow 0
		.amdhsa_exception_fp_ieee_underflow 0
		.amdhsa_exception_fp_ieee_inexact 0
		.amdhsa_exception_int_div_zero 0
	.end_amdhsa_kernel
	.section	.text._Z12rdsmh_kernelIdEvPKT_PS0_S0_,"axG",@progbits,_Z12rdsmh_kernelIdEvPKT_PS0_S0_,comdat
.Lfunc_end28:
	.size	_Z12rdsmh_kernelIdEvPKT_PS0_S0_, .Lfunc_end28-_Z12rdsmh_kernelIdEvPKT_PS0_S0_
                                        ; -- End function
	.section	.AMDGPU.csdata,"",@progbits
; Kernel info:
; codeLenInByte = 25000
; NumSgprs: 64
; NumVgprs: 103
; ScratchSize: 0
; MemoryBound: 0
; FloatMode: 240
; IeeeMode: 1
; LDSByteSize: 0 bytes/workgroup (compile time only)
; SGPRBlocks: 7
; VGPRBlocks: 12
; NumSGPRsForWavesPerEU: 64
; NumVGPRsForWavesPerEU: 103
; Occupancy: 12
; WaveLimiterHint : 0
; COMPUTE_PGM_RSRC2:SCRATCH_EN: 0
; COMPUTE_PGM_RSRC2:USER_SGPR: 15
; COMPUTE_PGM_RSRC2:TRAP_HANDLER: 0
; COMPUTE_PGM_RSRC2:TGID_X_EN: 1
; COMPUTE_PGM_RSRC2:TGID_Y_EN: 0
; COMPUTE_PGM_RSRC2:TGID_Z_EN: 0
; COMPUTE_PGM_RSRC2:TIDIG_COMP_CNT: 0
	.section	.text._Z7gr_baseIdEvPKT_S2_S2_PS0_S0_S0_,"axG",@progbits,_Z7gr_baseIdEvPKT_S2_S2_PS0_S0_S0_,comdat
	.protected	_Z7gr_baseIdEvPKT_S2_S2_PS0_S0_S0_ ; -- Begin function _Z7gr_baseIdEvPKT_S2_S2_PS0_S0_S0_
	.globl	_Z7gr_baseIdEvPKT_S2_S2_PS0_S0_S0_
	.p2align	8
	.type	_Z7gr_baseIdEvPKT_S2_S2_PS0_S0_S0_,@function
_Z7gr_baseIdEvPKT_S2_S2_PS0_S0_S0_:     ; @_Z7gr_baseIdEvPKT_S2_S2_PS0_S0_S0_
; %bb.0:
	s_clause 0x2
	s_load_b32 s2, s[0:1], 0x3c
	s_load_b256 s[4:11], s[0:1], 0x0
	s_load_b32 s33, s[0:1], 0x30
	s_mov_b32 s16, 0xcbf5178c
	s_mov_b32 s17, 0x3fac6b93
	;; [unrolled: 1-line block ×17, first 2 shown]
	s_waitcnt lgkmcnt(0)
	s_and_b32 s12, s2, 0xffff
	s_mov_b32 s2, 0xe83f553c
	v_mad_u64_u32 v[1:2], null, s15, s12, v[0:1]
	s_mul_i32 s33, s33, s12
	v_mov_b32_e32 v2, 0
	s_mov_b32 s3, 0x3fdfbf39
	s_mov_b32 s12, 0x4ff7a56e
	;; [unrolled: 1-line block ×4, first 2 shown]
	s_delay_alu instid0(VALU_DEP_2)
	v_lshlrev_b64 v[3:4], 3, v[1:2]
	v_add_nc_u32_e32 v1, s33, v1
	s_mov_b32 s15, 0x3fae1ac6
	s_mov_b32 s35, 0x3fa3a9d3
	;; [unrolled: 1-line block ×4, first 2 shown]
	v_add_co_u32 v5, vcc_lo, s8, v3
	v_add_co_ci_u32_e32 v6, vcc_lo, s9, v4, vcc_lo
	v_lshlrev_b64 v[9:10], 3, v[1:2]
	v_add_nc_u32_e32 v1, s33, v1
	s_mov_b32 s38, 0xe12a1ca1
	global_load_b64 v[17:18], v[5:6], off
	v_add_co_u32 v5, vcc_lo, s6, v3
	v_add_co_ci_u32_e32 v6, vcc_lo, s7, v4, vcc_lo
	v_add_co_u32 v13, vcc_lo, s4, v3
	v_add_co_ci_u32_e32 v14, vcc_lo, s5, v4, vcc_lo
	;; [unrolled: 2-line block ×4, first 2 shown]
	global_load_b64 v[11:12], v[5:6], off
	global_load_b64 v[5:6], v[13:14], off
	s_mov_b32 s4, 0xe8c8c59b
	s_mov_b32 s5, 0x3fefbf39
	;; [unrolled: 1-line block ×11, first 2 shown]
	s_waitcnt vmcnt(2)
	v_mul_f64 v[7:8], v[17:18], s[2:3]
	v_fma_f64 v[17:18], v[17:18], s[2:3], 0
	s_mov_b32 s2, 0x77603fce
	s_mov_b32 s3, 0x3f98ee58
	global_store_b64 v[3:4], v[7:8], off
	global_load_b64 v[21:22], v[15:16], off
	v_lshlrev_b64 v[15:16], 3, v[1:2]
	v_add_co_u32 v7, vcc_lo, s10, v9
	v_add_co_ci_u32_e32 v8, vcc_lo, s11, v10, vcc_lo
	v_add_nc_u32_e32 v1, s33, v1
	s_delay_alu instid0(VALU_DEP_4)
	v_add_co_u32 v9, vcc_lo, s8, v15
	v_add_co_ci_u32_e32 v10, vcc_lo, s9, v16, vcc_lo
	v_add_co_u32 v15, vcc_lo, s10, v15
	v_add_co_ci_u32_e32 v16, vcc_lo, s11, v16, vcc_lo
	s_waitcnt vmcnt(0)
	v_mul_f64 v[13:14], v[21:22], s[4:5]
	v_fma_f64 v[17:18], v[21:22], s[4:5], v[17:18]
	s_mov_b32 s4, 0x3a4aeae5
	s_mov_b32 s5, 0x3f985578
	global_store_b64 v[7:8], v[13:14], off
	global_load_b64 v[25:26], v[9:10], off
	v_lshlrev_b64 v[13:14], 3, v[1:2]
	v_add_nc_u32_e32 v1, s33, v1
	s_delay_alu instid0(VALU_DEP_2) | instskip(NEXT) | instid1(VALU_DEP_3)
	v_add_co_u32 v19, vcc_lo, s8, v13
	v_add_co_ci_u32_e32 v20, vcc_lo, s9, v14, vcc_lo
	s_waitcnt vmcnt(0)
	v_mul_f64 v[9:10], v[25:26], s[6:7]
	v_fma_f64 v[17:18], v[25:26], s[6:7], v[17:18]
	global_store_b64 v[15:16], v[9:10], off
	global_load_b64 v[27:28], v[19:20], off
	v_lshlrev_b64 v[19:20], 3, v[1:2]
	v_add_co_u32 v9, vcc_lo, s10, v13
	v_add_co_ci_u32_e32 v10, vcc_lo, s11, v14, vcc_lo
	v_add_nc_u32_e32 v1, s33, v1
	s_delay_alu instid0(VALU_DEP_4)
	v_add_co_u32 v13, vcc_lo, s8, v19
	v_add_co_ci_u32_e32 v14, vcc_lo, s9, v20, vcc_lo
	v_add_co_u32 v19, vcc_lo, s10, v19
	v_add_co_ci_u32_e32 v20, vcc_lo, s11, v20, vcc_lo
	s_waitcnt vmcnt(0)
	v_mul_f64 v[15:16], v[27:28], s[12:13]
	v_fma_f64 v[17:18], v[27:28], s[12:13], v[17:18]
	global_store_b64 v[9:10], v[15:16], off
	global_load_b64 v[31:32], v[13:14], off
	v_lshlrev_b64 v[15:16], 3, v[1:2]
	v_add_nc_u32_e32 v1, s33, v1
	s_delay_alu instid0(VALU_DEP_2) | instskip(NEXT) | instid1(VALU_DEP_3)
	v_add_co_u32 v23, vcc_lo, s8, v15
	v_add_co_ci_u32_e32 v24, vcc_lo, s9, v16, vcc_lo
	s_waitcnt vmcnt(0)
	v_mul_f64 v[13:14], v[31:32], s[14:15]
	v_fma_f64 v[17:18], v[31:32], s[14:15], v[17:18]
	global_store_b64 v[19:20], v[13:14], off
	global_load_b64 v[35:36], v[23:24], off
	v_lshlrev_b64 v[23:24], 3, v[1:2]
	v_add_co_u32 v13, vcc_lo, s10, v15
	v_add_co_ci_u32_e32 v14, vcc_lo, s11, v16, vcc_lo
	v_add_nc_u32_e32 v1, s33, v1
	s_delay_alu instid0(VALU_DEP_4) | instskip(SKIP_1) | instid1(VALU_DEP_3)
	v_add_co_u32 v15, vcc_lo, s8, v23
	v_add_co_ci_u32_e32 v16, vcc_lo, s9, v24, vcc_lo
	v_lshlrev_b64 v[29:30], 3, v[1:2]
	v_add_nc_u32_e32 v1, s33, v1
	s_delay_alu instid0(VALU_DEP_1)
	v_lshlrev_b64 v[33:34], 3, v[1:2]
	v_add_nc_u32_e32 v1, s33, v1
	s_waitcnt vmcnt(0)
	v_mul_f64 v[19:20], v[35:36], s[16:17]
	v_fma_f64 v[17:18], v[35:36], s[16:17], v[17:18]
	global_store_b64 v[13:14], v[19:20], off
	global_load_b64 v[37:38], v[15:16], off
	v_add_co_u32 v15, vcc_lo, s10, v23
	v_add_co_ci_u32_e32 v16, vcc_lo, s11, v24, vcc_lo
	v_add_co_u32 v23, vcc_lo, s8, v29
	v_add_co_ci_u32_e32 v24, vcc_lo, s9, v30, vcc_lo
	s_waitcnt vmcnt(0)
	v_mul_f64 v[19:20], v[37:38], s[18:19]
	v_fma_f64 v[17:18], v[37:38], s[18:19], v[17:18]
	global_store_b64 v[15:16], v[19:20], off
	global_load_b64 v[39:40], v[23:24], off
	v_add_co_u32 v19, vcc_lo, s10, v29
	v_add_co_ci_u32_e32 v20, vcc_lo, s11, v30, vcc_lo
	v_add_co_u32 v29, vcc_lo, s8, v33
	v_add_co_ci_u32_e32 v30, vcc_lo, s9, v34, vcc_lo
	;; [unrolled: 2-line block ×3, first 2 shown]
	s_waitcnt vmcnt(0)
	v_mul_f64 v[23:24], v[39:40], s[20:21]
	v_fma_f64 v[17:18], v[39:40], s[20:21], v[17:18]
	global_store_b64 v[19:20], v[23:24], off
	global_load_b64 v[41:42], v[29:30], off
	v_lshlrev_b64 v[29:30], 3, v[1:2]
	v_add_nc_u32_e32 v1, s33, v1
	s_delay_alu instid0(VALU_DEP_1) | instskip(NEXT) | instid1(VALU_DEP_3)
	v_lshlrev_b64 v[45:46], 3, v[1:2]
	v_add_co_u32 v43, vcc_lo, s8, v29
	s_delay_alu instid0(VALU_DEP_4) | instskip(SKIP_1) | instid1(VALU_DEP_1)
	v_add_co_ci_u32_e32 v44, vcc_lo, s9, v30, vcc_lo
	v_add_nc_u32_e32 v1, s33, v1
	v_lshlrev_b64 v[49:50], 3, v[1:2]
	v_add_nc_u32_e32 v1, s33, v1
	s_delay_alu instid0(VALU_DEP_1) | instskip(SKIP_1) | instid1(VALU_DEP_1)
	v_lshlrev_b64 v[53:54], 3, v[1:2]
	v_add_nc_u32_e32 v1, s33, v1
	v_lshlrev_b64 v[55:56], 3, v[1:2]
	v_add_nc_u32_e32 v1, s33, v1
	s_delay_alu instid0(VALU_DEP_1) | instskip(SKIP_1) | instid1(VALU_DEP_1)
	v_lshlrev_b64 v[59:60], 3, v[1:2]
	;; [unrolled: 5-line block ×3, first 2 shown]
	v_add_nc_u32_e32 v1, s33, v1
	v_lshlrev_b64 v[71:72], 3, v[1:2]
	v_add_nc_u32_e32 v1, s33, v1
	s_waitcnt vmcnt(0)
	v_mul_f64 v[23:24], v[41:42], s[22:23]
	v_fma_f64 v[17:18], v[41:42], s[22:23], v[17:18]
	global_store_b64 v[33:34], v[23:24], off
	global_load_b64 v[43:44], v[43:44], off
	v_add_co_u32 v23, vcc_lo, s10, v29
	v_add_co_ci_u32_e32 v24, vcc_lo, s11, v30, vcc_lo
	v_add_co_u32 v29, vcc_lo, s8, v45
	v_add_co_ci_u32_e32 v30, vcc_lo, s9, v46, vcc_lo
	s_waitcnt vmcnt(0)
	v_mul_f64 v[33:34], v[43:44], s[24:25]
	v_fma_f64 v[17:18], v[43:44], s[24:25], v[17:18]
	global_store_b64 v[23:24], v[33:34], off
	global_load_b64 v[47:48], v[29:30], off
	v_add_co_u32 v29, vcc_lo, s10, v45
	v_add_co_ci_u32_e32 v30, vcc_lo, s11, v46, vcc_lo
	v_add_co_u32 v45, vcc_lo, s8, v49
	v_add_co_ci_u32_e32 v46, vcc_lo, s9, v50, vcc_lo
	;; [unrolled: 9-line block ×3, first 2 shown]
	v_add_co_u32 v53, vcc_lo, s10, v53
	v_add_co_ci_u32_e32 v54, vcc_lo, s11, v54, vcc_lo
	v_add_co_u32 v57, vcc_lo, s8, v55
	v_add_co_ci_u32_e32 v58, vcc_lo, s9, v56, vcc_lo
	;; [unrolled: 2-line block ×11, first 2 shown]
	s_waitcnt vmcnt(0)
	v_mul_f64 v[51:52], v[45:46], s[28:29]
	v_fma_f64 v[17:18], v[45:46], s[28:29], v[17:18]
	global_store_b64 v[33:34], v[51:52], off
	global_load_b64 v[49:50], v[49:50], off
	s_waitcnt vmcnt(0)
	v_mul_f64 v[51:52], v[49:50], s[30:31]
	v_fma_f64 v[17:18], v[49:50], s[30:31], v[17:18]
	global_store_b64 v[53:54], v[51:52], off
	global_load_b64 v[51:52], v[57:58], off
	;; [unrolled: 5-line block ×6, first 2 shown]
	v_lshlrev_b64 v[73:74], 3, v[1:2]
	v_add_nc_u32_e32 v1, s33, v1
	s_delay_alu instid0(VALU_DEP_1) | instskip(NEXT) | instid1(VALU_DEP_3)
	v_lshlrev_b64 v[77:78], 3, v[1:2]
	v_add_co_u32 v75, vcc_lo, s8, v73
	s_delay_alu instid0(VALU_DEP_4)
	v_add_co_ci_u32_e32 v76, vcc_lo, s9, v74, vcc_lo
	v_add_co_u32 v73, vcc_lo, s10, v73
	v_add_co_ci_u32_e32 v74, vcc_lo, s11, v74, vcc_lo
	v_add_co_u32 v79, vcc_lo, s8, v77
	v_add_co_ci_u32_e32 v80, vcc_lo, s9, v78, vcc_lo
	v_add_nc_u32_e32 v1, s33, v1
	v_add_co_u32 v77, vcc_lo, s10, v77
	v_add_co_ci_u32_e32 v78, vcc_lo, s11, v78, vcc_lo
	s_delay_alu instid0(VALU_DEP_3) | instskip(SKIP_1) | instid1(VALU_DEP_1)
	v_lshlrev_b64 v[25:26], 3, v[1:2]
	v_add_nc_u32_e32 v1, s33, v1
	v_lshlrev_b64 v[31:32], 3, v[1:2]
	s_waitcnt vmcnt(0)
	v_mul_f64 v[69:70], v[67:68], s[42:43]
	v_fma_f64 v[17:18], v[67:68], s[42:43], v[17:18]
	global_store_b64 v[71:72], v[69:70], off
	global_load_b64 v[69:70], v[75:76], off
	s_waitcnt vmcnt(0)
	v_mul_f64 v[75:76], v[69:70], s[44:45]
	v_fma_f64 v[17:18], v[69:70], s[44:45], v[17:18]
	global_store_b64 v[73:74], v[75:76], off
	global_load_b64 v[75:76], v[79:80], off
	v_add_co_u32 v79, vcc_lo, s8, v25
	v_add_co_ci_u32_e32 v80, vcc_lo, s9, v26, vcc_lo
	v_add_co_u32 v25, vcc_lo, s10, v25
	v_add_co_ci_u32_e32 v26, vcc_lo, s11, v26, vcc_lo
	;; [unrolled: 2-line block ×3, first 2 shown]
	s_waitcnt vmcnt(0)
	v_mul_f64 v[21:22], v[75:76], s[2:3]
	v_fma_f64 v[17:18], v[75:76], s[2:3], v[17:18]
	s_load_b128 s[0:3], s[0:1], 0x20
	s_waitcnt lgkmcnt(0)
	v_mul_f64 v[11:12], v[11:12], s[0:1]
	s_brev_b32 s0, 12
	s_mov_b32 s1, 0x4193d2c6
	v_mul_f64 v[5:6], v[5:6], s[2:3]
	global_store_b64 v[77:78], v[21:22], off
	global_load_b64 v[21:22], v[79:80], off
	s_waitcnt vmcnt(0)
	v_mul_f64 v[27:28], v[21:22], s[4:5]
	v_fma_f64 v[17:18], v[21:22], s[4:5], v[17:18]
	s_mov_b32 s4, 0x609af71c
	s_mov_b32 s5, 0x3fa246e7
	global_store_b64 v[25:26], v[27:28], off
	global_load_b64 v[27:28], v[35:36], off
	s_waitcnt vmcnt(0)
	v_fma_f64 v[17:18], v[27:28], s[4:5], v[17:18]
	s_delay_alu instid0(VALU_DEP_1) | instskip(SKIP_3) | instid1(VALU_DEP_4)
	v_mul_f64 v[11:12], v[11:12], v[17:18]
	v_mul_f64 v[17:18], v[27:28], s[4:5]
	v_add_co_u32 v27, vcc_lo, s10, v31
	v_add_co_ci_u32_e32 v28, vcc_lo, s11, v32, vcc_lo
	v_mul_f64 v[11:12], v[11:12], s[0:1]
	global_store_b64 v[27:28], v[17:18], off
	global_load_b64 v[17:18], v[3:4], off
	v_div_scale_f64 v[21:22], null, v[11:12], v[11:12], 1.0
	v_div_scale_f64 v[37:38], vcc_lo, 1.0, v[11:12], 1.0
	s_delay_alu instid0(VALU_DEP_2) | instskip(SKIP_2) | instid1(VALU_DEP_1)
	v_rcp_f64_e32 v[31:32], v[21:22]
	s_waitcnt_depctr 0xfff
	v_fma_f64 v[35:36], -v[21:22], v[31:32], 1.0
	v_fma_f64 v[31:32], v[31:32], v[35:36], v[31:32]
	s_delay_alu instid0(VALU_DEP_1) | instskip(NEXT) | instid1(VALU_DEP_1)
	v_fma_f64 v[35:36], -v[21:22], v[31:32], 1.0
	v_fma_f64 v[31:32], v[31:32], v[35:36], v[31:32]
	s_delay_alu instid0(VALU_DEP_1) | instskip(NEXT) | instid1(VALU_DEP_1)
	v_mul_f64 v[35:36], v[37:38], v[31:32]
	v_fma_f64 v[21:22], -v[21:22], v[35:36], v[37:38]
	s_waitcnt vmcnt(0)
	v_max_f64 v[17:18], v[17:18], v[17:18]
	s_delay_alu instid0(VALU_DEP_2) | instskip(NEXT) | instid1(VALU_DEP_1)
	v_div_fmas_f64 v[21:22], v[21:22], v[31:32], v[35:36]
	v_div_fixup_f64 v[11:12], v[21:22], v[11:12], 1.0
	s_delay_alu instid0(VALU_DEP_1) | instskip(NEXT) | instid1(VALU_DEP_4)
	v_mul_f64 v[5:6], v[5:6], v[11:12]
	v_max_f64 v[11:12], 0x38100000, v[17:18]
	s_delay_alu instid0(VALU_DEP_1) | instskip(SKIP_4) | instid1(VALU_DEP_1)
	v_mul_f64 v[11:12], v[5:6], v[11:12]
	global_store_b64 v[3:4], v[11:12], off
	global_load_b64 v[3:4], v[7:8], off
	v_mad_u64_u32 v[11:12], null, 0xffffffed, s33, v[1:2]
	v_mov_b32_e32 v12, v2
	v_lshlrev_b64 v[0:1], 3, v[11:12]
	s_delay_alu instid0(VALU_DEP_1) | instskip(NEXT) | instid1(VALU_DEP_2)
	v_add_co_u32 v0, vcc_lo, s10, v0
	v_add_co_ci_u32_e32 v1, vcc_lo, s11, v1, vcc_lo
	s_waitcnt vmcnt(0)
	v_max_f64 v[3:4], v[3:4], v[3:4]
	s_delay_alu instid0(VALU_DEP_1) | instskip(NEXT) | instid1(VALU_DEP_1)
	v_max_f64 v[3:4], 0x38100000, v[3:4]
	v_mul_f64 v[3:4], v[5:6], v[3:4]
	global_store_b64 v[7:8], v[3:4], off
	global_load_b64 v[3:4], v[0:1], off
	s_waitcnt vmcnt(0)
	v_max_f64 v[3:4], v[3:4], v[3:4]
	s_delay_alu instid0(VALU_DEP_1) | instskip(NEXT) | instid1(VALU_DEP_1)
	v_max_f64 v[3:4], 0x38100000, v[3:4]
	v_mul_f64 v[3:4], v[5:6], v[3:4]
	global_store_b64 v[0:1], v[3:4], off
	global_load_b64 v[0:1], v[9:10], off
	s_waitcnt vmcnt(0)
	v_max_f64 v[0:1], v[0:1], v[0:1]
	s_delay_alu instid0(VALU_DEP_1) | instskip(NEXT) | instid1(VALU_DEP_1)
	v_max_f64 v[0:1], 0x38100000, v[0:1]
	v_mul_f64 v[3:4], v[5:6], v[0:1]
	v_lshl_add_u32 v1, s33, 1, v11
	s_delay_alu instid0(VALU_DEP_1) | instskip(SKIP_1) | instid1(VALU_DEP_2)
	v_lshlrev_b64 v[7:8], 3, v[1:2]
	v_lshl_add_u32 v1, s33, 2, v1
	v_add_co_u32 v7, vcc_lo, s10, v7
	s_delay_alu instid0(VALU_DEP_3) | instskip(SKIP_4) | instid1(VALU_DEP_1)
	v_add_co_ci_u32_e32 v8, vcc_lo, s11, v8, vcc_lo
	global_store_b64 v[9:10], v[3:4], off
	global_load_b64 v[3:4], v[7:8], off
	s_waitcnt vmcnt(0)
	v_max_f64 v[3:4], v[3:4], v[3:4]
	v_max_f64 v[3:4], 0x38100000, v[3:4]
	s_delay_alu instid0(VALU_DEP_1) | instskip(SKIP_4) | instid1(VALU_DEP_1)
	v_mul_f64 v[3:4], v[5:6], v[3:4]
	global_store_b64 v[7:8], v[3:4], off
	global_load_b64 v[3:4], v[13:14], off
	v_lshlrev_b64 v[7:8], 3, v[1:2]
	v_lshl_add_u32 v1, s33, 3, v1
	v_lshlrev_b64 v[0:1], 3, v[1:2]
	s_delay_alu instid0(VALU_DEP_3) | instskip(NEXT) | instid1(VALU_DEP_4)
	v_add_co_u32 v7, vcc_lo, s10, v7
	v_add_co_ci_u32_e32 v8, vcc_lo, s11, v8, vcc_lo
	s_delay_alu instid0(VALU_DEP_3) | instskip(NEXT) | instid1(VALU_DEP_4)
	v_add_co_u32 v0, vcc_lo, s10, v0
	v_add_co_ci_u32_e32 v1, vcc_lo, s11, v1, vcc_lo
	s_waitcnt vmcnt(0)
	v_max_f64 v[3:4], v[3:4], v[3:4]
	s_delay_alu instid0(VALU_DEP_1) | instskip(NEXT) | instid1(VALU_DEP_1)
	v_max_f64 v[3:4], 0x38100000, v[3:4]
	v_mul_f64 v[3:4], v[5:6], v[3:4]
	global_store_b64 v[13:14], v[3:4], off
	global_load_b64 v[3:4], v[15:16], off
	s_waitcnt vmcnt(0)
	v_max_f64 v[3:4], v[3:4], v[3:4]
	s_delay_alu instid0(VALU_DEP_1) | instskip(NEXT) | instid1(VALU_DEP_1)
	v_max_f64 v[3:4], 0x38100000, v[3:4]
	v_mul_f64 v[3:4], v[5:6], v[3:4]
	global_store_b64 v[15:16], v[3:4], off
	global_load_b64 v[3:4], v[19:20], off
	;; [unrolled: 7-line block ×16, first 2 shown]
	s_waitcnt vmcnt(0)
	v_max_f64 v[0:1], v[0:1], v[0:1]
	s_delay_alu instid0(VALU_DEP_1) | instskip(NEXT) | instid1(VALU_DEP_1)
	v_max_f64 v[0:1], 0x38100000, v[0:1]
	v_mul_f64 v[0:1], v[5:6], v[0:1]
	global_store_b64 v[27:28], v[0:1], off
	s_nop 0
	s_sendmsg sendmsg(MSG_DEALLOC_VGPRS)
	s_endpgm
	.section	.rodata,"a",@progbits
	.p2align	6, 0x0
	.amdhsa_kernel _Z7gr_baseIdEvPKT_S2_S2_PS0_S0_S0_
		.amdhsa_group_segment_fixed_size 0
		.amdhsa_private_segment_fixed_size 0
		.amdhsa_kernarg_size 304
		.amdhsa_user_sgpr_count 15
		.amdhsa_user_sgpr_dispatch_ptr 0
		.amdhsa_user_sgpr_queue_ptr 0
		.amdhsa_user_sgpr_kernarg_segment_ptr 1
		.amdhsa_user_sgpr_dispatch_id 0
		.amdhsa_user_sgpr_private_segment_size 0
		.amdhsa_wavefront_size32 1
		.amdhsa_uses_dynamic_stack 0
		.amdhsa_enable_private_segment 0
		.amdhsa_system_sgpr_workgroup_id_x 1
		.amdhsa_system_sgpr_workgroup_id_y 0
		.amdhsa_system_sgpr_workgroup_id_z 0
		.amdhsa_system_sgpr_workgroup_info 0
		.amdhsa_system_vgpr_workitem_id 0
		.amdhsa_next_free_vgpr 81
		.amdhsa_next_free_sgpr 46
		.amdhsa_reserve_vcc 1
		.amdhsa_float_round_mode_32 0
		.amdhsa_float_round_mode_16_64 0
		.amdhsa_float_denorm_mode_32 3
		.amdhsa_float_denorm_mode_16_64 3
		.amdhsa_dx10_clamp 1
		.amdhsa_ieee_mode 1
		.amdhsa_fp16_overflow 0
		.amdhsa_workgroup_processor_mode 1
		.amdhsa_memory_ordered 1
		.amdhsa_forward_progress 0
		.amdhsa_shared_vgpr_count 0
		.amdhsa_exception_fp_ieee_invalid_op 0
		.amdhsa_exception_fp_denorm_src 0
		.amdhsa_exception_fp_ieee_div_zero 0
		.amdhsa_exception_fp_ieee_overflow 0
		.amdhsa_exception_fp_ieee_underflow 0
		.amdhsa_exception_fp_ieee_inexact 0
		.amdhsa_exception_int_div_zero 0
	.end_amdhsa_kernel
	.section	.text._Z7gr_baseIdEvPKT_S2_S2_PS0_S0_S0_,"axG",@progbits,_Z7gr_baseIdEvPKT_S2_S2_PS0_S0_S0_,comdat
.Lfunc_end29:
	.size	_Z7gr_baseIdEvPKT_S2_S2_PS0_S0_S0_, .Lfunc_end29-_Z7gr_baseIdEvPKT_S2_S2_PS0_S0_S0_
                                        ; -- End function
	.section	.AMDGPU.csdata,"",@progbits
; Kernel info:
; codeLenInByte = 3560
; NumSgprs: 48
; NumVgprs: 81
; ScratchSize: 0
; MemoryBound: 1
; FloatMode: 240
; IeeeMode: 1
; LDSByteSize: 0 bytes/workgroup (compile time only)
; SGPRBlocks: 5
; VGPRBlocks: 10
; NumSGPRsForWavesPerEU: 48
; NumVGPRsForWavesPerEU: 81
; Occupancy: 16
; WaveLimiterHint : 1
; COMPUTE_PGM_RSRC2:SCRATCH_EN: 0
; COMPUTE_PGM_RSRC2:USER_SGPR: 15
; COMPUTE_PGM_RSRC2:TRAP_HANDLER: 0
; COMPUTE_PGM_RSRC2:TGID_X_EN: 1
; COMPUTE_PGM_RSRC2:TGID_Y_EN: 0
; COMPUTE_PGM_RSRC2:TGID_Z_EN: 0
; COMPUTE_PGM_RSRC2:TIDIG_COMP_CNT: 0
	.section	.text._Z12ratt2_kernelIdEvPKT_S2_PS0_S2_S0_,"axG",@progbits,_Z12ratt2_kernelIdEvPKT_S2_PS0_S2_S0_,comdat
	.protected	_Z12ratt2_kernelIdEvPKT_S2_PS0_S2_S0_ ; -- Begin function _Z12ratt2_kernelIdEvPKT_S2_PS0_S2_S0_
	.globl	_Z12ratt2_kernelIdEvPKT_S2_PS0_S2_S0_
	.p2align	8
	.type	_Z12ratt2_kernelIdEvPKT_S2_PS0_S2_S0_,@function
_Z12ratt2_kernelIdEvPKT_S2_PS0_S2_S0_:  ; @_Z12ratt2_kernelIdEvPKT_S2_PS0_S2_S0_
; %bb.0:
	s_clause 0x3
	s_load_b256 s[4:11], s[0:1], 0x0
	s_load_b64 s[2:3], s[0:1], 0x20
	s_load_b32 s12, s[0:1], 0x28
	s_load_b32 s0, s[0:1], 0x34
	s_waitcnt lgkmcnt(0)
	s_and_b32 s13, s0, 0xffff
	s_brev_b32 s0, 12
	v_mad_u64_u32 v[1:2], null, s15, s13, v[0:1]
	v_mov_b32_e32 v2, 0
	s_mov_b32 s1, 0x4193d2c6
	s_delay_alu instid0(VALU_DEP_1) | instskip(NEXT) | instid1(VALU_DEP_1)
	v_lshlrev_b64 v[7:8], 3, v[1:2]
	v_add_co_u32 v3, vcc_lo, s4, v7
	s_delay_alu instid0(VALU_DEP_2) | instskip(SKIP_4) | instid1(VALU_DEP_1)
	v_add_co_ci_u32_e32 v4, vcc_lo, s5, v8, vcc_lo
	global_load_b64 v[3:4], v[3:4], off
	s_waitcnt vmcnt(0)
	v_mul_f64 v[3:4], v[3:4], s[2:3]
	s_mul_i32 s2, s12, s13
	v_mul_f64 v[3:4], v[3:4], s[0:1]
	s_lshl_b32 s0, s2, 1
	s_delay_alu instid0(VALU_DEP_1) | instskip(NEXT) | instid1(VALU_DEP_1)
	v_div_scale_f64 v[5:6], null, v[3:4], v[3:4], 1.0
	v_rcp_f64_e32 v[9:10], v[5:6]
	s_waitcnt_depctr 0xfff
	v_fma_f64 v[11:12], -v[5:6], v[9:10], 1.0
	s_delay_alu instid0(VALU_DEP_1) | instskip(NEXT) | instid1(VALU_DEP_1)
	v_fma_f64 v[9:10], v[9:10], v[11:12], v[9:10]
	v_fma_f64 v[11:12], -v[5:6], v[9:10], 1.0
	s_delay_alu instid0(VALU_DEP_1) | instskip(SKIP_1) | instid1(VALU_DEP_1)
	v_fma_f64 v[9:10], v[9:10], v[11:12], v[9:10]
	v_div_scale_f64 v[11:12], vcc_lo, 1.0, v[3:4], 1.0
	v_mul_f64 v[13:14], v[11:12], v[9:10]
	s_delay_alu instid0(VALU_DEP_1) | instskip(NEXT) | instid1(VALU_DEP_1)
	v_fma_f64 v[5:6], -v[5:6], v[13:14], v[11:12]
	v_div_fmas_f64 v[5:6], v[5:6], v[9:10], v[13:14]
	s_delay_alu instid0(VALU_DEP_1) | instskip(NEXT) | instid1(VALU_DEP_1)
	v_div_fixup_f64 v[3:4], v[5:6], v[3:4], 1.0
	v_mul_f64 v[17:18], 0x412eec04, v[3:4]
	v_dual_mov_b32 v4, v2 :: v_dual_add_nc_u32 v3, s2, v1
	v_add_nc_u32_e32 v1, s0, v1
	s_delay_alu instid0(VALU_DEP_2) | instskip(SKIP_1) | instid1(VALU_DEP_3)
	v_lshlrev_b64 v[11:12], 3, v[3:4]
	v_add_nc_u32_e32 v3, s0, v3
	v_lshlrev_b64 v[15:16], 3, v[1:2]
	v_add_nc_u32_e32 v1, s0, v1
	s_mov_b32 s0, 0x4357691b
	s_mov_b32 s1, 0x479e17b8
	v_add_co_u32 v4, vcc_lo, s10, v11
	v_add_co_ci_u32_e32 v5, vcc_lo, s11, v12, vcc_lo
	v_lshlrev_b64 v[25:26], 3, v[1:2]
	v_add_nc_u32_e32 v1, s2, v1
	global_load_b64 v[5:6], v[4:5], off
	v_mov_b32_e32 v4, v2
	s_delay_alu instid0(VALU_DEP_1) | instskip(NEXT) | instid1(VALU_DEP_1)
	v_lshlrev_b64 v[23:24], 3, v[3:4]
	v_add_co_u32 v3, vcc_lo, s10, v23
	s_delay_alu instid0(VALU_DEP_2)
	v_add_co_ci_u32_e32 v4, vcc_lo, s11, v24, vcc_lo
	global_load_b64 v[9:10], v[3:4], off
	v_add_co_u32 v3, vcc_lo, s10, v15
	v_add_co_ci_u32_e32 v4, vcc_lo, s11, v16, vcc_lo
	global_load_b64 v[13:14], v[3:4], off
	v_add_co_u32 v3, vcc_lo, s10, v25
	v_add_co_ci_u32_e32 v4, vcc_lo, s11, v26, vcc_lo
	global_load_b64 v[3:4], v[3:4], off
	s_waitcnt vmcnt(2)
	v_mul_f64 v[19:20], v[5:6], v[9:10]
	s_waitcnt vmcnt(0)
	v_mul_f64 v[21:22], v[13:14], v[3:4]
	s_delay_alu instid0(VALU_DEP_1) | instskip(NEXT) | instid1(VALU_DEP_1)
	v_div_scale_f64 v[27:28], null, v[21:22], v[21:22], 1.0
	v_rcp_f64_e32 v[29:30], v[27:28]
	s_waitcnt_depctr 0xfff
	v_fma_f64 v[31:32], -v[27:28], v[29:30], 1.0
	s_delay_alu instid0(VALU_DEP_1) | instskip(NEXT) | instid1(VALU_DEP_1)
	v_fma_f64 v[29:30], v[29:30], v[31:32], v[29:30]
	v_fma_f64 v[31:32], -v[27:28], v[29:30], 1.0
	s_delay_alu instid0(VALU_DEP_1) | instskip(SKIP_1) | instid1(VALU_DEP_1)
	v_fma_f64 v[29:30], v[29:30], v[31:32], v[29:30]
	v_div_scale_f64 v[31:32], vcc_lo, 1.0, v[21:22], 1.0
	v_mul_f64 v[33:34], v[31:32], v[29:30]
	s_delay_alu instid0(VALU_DEP_1) | instskip(NEXT) | instid1(VALU_DEP_1)
	v_fma_f64 v[27:28], -v[27:28], v[33:34], v[31:32]
	v_div_fmas_f64 v[27:28], v[27:28], v[29:30], v[33:34]
	s_delay_alu instid0(VALU_DEP_1) | instskip(SKIP_4) | instid1(VALU_DEP_1)
	v_div_fixup_f64 v[21:22], v[27:28], v[21:22], 1.0
	v_add_co_u32 v27, vcc_lo, s6, v7
	v_add_co_ci_u32_e32 v28, vcc_lo, s7, v8, vcc_lo
	global_load_b64 v[27:28], v[27:28], off
	v_mul_f64 v[21:22], v[19:20], v[21:22]
	v_min_f64 v[21:22], v[21:22], s[0:1]
	s_waitcnt vmcnt(0)
	s_delay_alu instid0(VALU_DEP_1)
	v_mul_f64 v[21:22], v[27:28], v[21:22]
	v_add_co_u32 v27, vcc_lo, s8, v7
	v_add_co_ci_u32_e32 v28, vcc_lo, s9, v8, vcc_lo
	v_add_co_u32 v7, vcc_lo, s10, v7
	v_add_co_ci_u32_e32 v8, vcc_lo, s11, v8, vcc_lo
	global_load_b64 v[7:8], v[7:8], off
	global_store_b64 v[27:28], v[21:22], off
	v_mul_f64 v[27:28], v[5:6], v[3:4]
	s_delay_alu instid0(VALU_DEP_1) | instskip(NEXT) | instid1(VALU_DEP_1)
	v_div_scale_f64 v[29:30], null, v[27:28], v[27:28], 1.0
	v_rcp_f64_e32 v[31:32], v[29:30]
	s_waitcnt_depctr 0xfff
	v_fma_f64 v[33:34], -v[29:30], v[31:32], 1.0
	s_delay_alu instid0(VALU_DEP_1) | instskip(NEXT) | instid1(VALU_DEP_1)
	v_fma_f64 v[31:32], v[31:32], v[33:34], v[31:32]
	v_fma_f64 v[33:34], -v[29:30], v[31:32], 1.0
	s_delay_alu instid0(VALU_DEP_1) | instskip(SKIP_1) | instid1(VALU_DEP_1)
	v_fma_f64 v[31:32], v[31:32], v[33:34], v[31:32]
	v_div_scale_f64 v[33:34], vcc_lo, 1.0, v[27:28], 1.0
	v_mul_f64 v[35:36], v[33:34], v[31:32]
	s_waitcnt vmcnt(0)
	v_mul_f64 v[21:22], v[13:14], v[7:8]
	s_delay_alu instid0(VALU_DEP_2) | instskip(NEXT) | instid1(VALU_DEP_1)
	v_fma_f64 v[29:30], -v[29:30], v[35:36], v[33:34]
	v_div_fmas_f64 v[29:30], v[29:30], v[31:32], v[35:36]
	s_delay_alu instid0(VALU_DEP_1) | instskip(NEXT) | instid1(VALU_DEP_1)
	v_div_fixup_f64 v[29:30], v[29:30], v[27:28], 1.0
	v_mul_f64 v[21:22], v[29:30], v[21:22]
	v_add_co_u32 v29, vcc_lo, s6, v11
	v_add_co_ci_u32_e32 v30, vcc_lo, s7, v12, vcc_lo
	v_add_co_u32 v11, vcc_lo, s8, v11
	v_add_co_ci_u32_e32 v12, vcc_lo, s9, v12, vcc_lo
	global_load_b64 v[29:30], v[29:30], off
	v_min_f64 v[21:22], v[21:22], s[0:1]
	s_waitcnt vmcnt(0)
	s_delay_alu instid0(VALU_DEP_1)
	v_mul_f64 v[21:22], v[29:30], v[21:22]
	v_lshlrev_b64 v[29:30], 3, v[1:2]
	v_add_nc_u32_e32 v1, s2, v1
	global_store_b64 v[11:12], v[21:22], off
	v_add_co_u32 v11, vcc_lo, s10, v29
	v_add_co_ci_u32_e32 v12, vcc_lo, s11, v30, vcc_lo
	v_mul_f64 v[21:22], v[3:4], v[7:8]
	global_load_b64 v[11:12], v[11:12], off
	s_waitcnt vmcnt(0)
	v_mul_f64 v[31:32], v[5:6], v[11:12]
	s_delay_alu instid0(VALU_DEP_1) | instskip(NEXT) | instid1(VALU_DEP_1)
	v_div_scale_f64 v[33:34], null, v[31:32], v[31:32], 1.0
	v_rcp_f64_e32 v[35:36], v[33:34]
	s_waitcnt_depctr 0xfff
	v_fma_f64 v[37:38], -v[33:34], v[35:36], 1.0
	s_delay_alu instid0(VALU_DEP_1) | instskip(NEXT) | instid1(VALU_DEP_1)
	v_fma_f64 v[35:36], v[35:36], v[37:38], v[35:36]
	v_fma_f64 v[37:38], -v[33:34], v[35:36], 1.0
	s_delay_alu instid0(VALU_DEP_1) | instskip(SKIP_1) | instid1(VALU_DEP_1)
	v_fma_f64 v[35:36], v[35:36], v[37:38], v[35:36]
	v_div_scale_f64 v[37:38], vcc_lo, 1.0, v[31:32], 1.0
	v_mul_f64 v[39:40], v[37:38], v[35:36]
	s_delay_alu instid0(VALU_DEP_1) | instskip(NEXT) | instid1(VALU_DEP_1)
	v_fma_f64 v[33:34], -v[33:34], v[39:40], v[37:38]
	v_div_fmas_f64 v[33:34], v[33:34], v[35:36], v[39:40]
	s_delay_alu instid0(VALU_DEP_1) | instskip(NEXT) | instid1(VALU_DEP_1)
	v_div_fixup_f64 v[31:32], v[33:34], v[31:32], 1.0
	v_mul_f64 v[21:22], v[21:22], v[31:32]
	v_add_co_u32 v31, vcc_lo, s6, v15
	v_add_co_ci_u32_e32 v32, vcc_lo, s7, v16, vcc_lo
	v_add_co_u32 v15, vcc_lo, s8, v15
	v_add_co_ci_u32_e32 v16, vcc_lo, s9, v16, vcc_lo
	global_load_b64 v[31:32], v[31:32], off
	v_min_f64 v[21:22], v[21:22], s[0:1]
	s_waitcnt vmcnt(0)
	s_delay_alu instid0(VALU_DEP_1) | instskip(SKIP_3) | instid1(VALU_DEP_2)
	v_mul_f64 v[21:22], v[31:32], v[21:22]
	global_store_b64 v[15:16], v[21:22], off
	v_mul_f64 v[21:22], v[13:14], v[11:12]
	v_mul_f64 v[15:16], v[3:4], v[3:4]
	v_div_scale_f64 v[31:32], null, v[21:22], v[21:22], 1.0
	s_delay_alu instid0(VALU_DEP_1) | instskip(SKIP_2) | instid1(VALU_DEP_1)
	v_rcp_f64_e32 v[33:34], v[31:32]
	s_waitcnt_depctr 0xfff
	v_fma_f64 v[35:36], -v[31:32], v[33:34], 1.0
	v_fma_f64 v[33:34], v[33:34], v[35:36], v[33:34]
	s_delay_alu instid0(VALU_DEP_1) | instskip(NEXT) | instid1(VALU_DEP_1)
	v_fma_f64 v[35:36], -v[31:32], v[33:34], 1.0
	v_fma_f64 v[33:34], v[33:34], v[35:36], v[33:34]
	v_div_scale_f64 v[35:36], vcc_lo, 1.0, v[21:22], 1.0
	s_delay_alu instid0(VALU_DEP_1) | instskip(NEXT) | instid1(VALU_DEP_1)
	v_mul_f64 v[37:38], v[35:36], v[33:34]
	v_fma_f64 v[31:32], -v[31:32], v[37:38], v[35:36]
	s_delay_alu instid0(VALU_DEP_1)
	v_div_fmas_f64 v[31:32], v[31:32], v[33:34], v[37:38]
	v_add_co_u32 v33, vcc_lo, s6, v23
	v_add_co_ci_u32_e32 v34, vcc_lo, s7, v24, vcc_lo
	v_add_co_u32 v23, vcc_lo, s8, v23
	v_add_co_ci_u32_e32 v24, vcc_lo, s9, v24, vcc_lo
	global_load_b64 v[33:34], v[33:34], off
	v_div_fixup_f64 v[21:22], v[31:32], v[21:22], 1.0
	s_delay_alu instid0(VALU_DEP_1) | instskip(NEXT) | instid1(VALU_DEP_1)
	v_mul_f64 v[31:32], v[15:16], v[21:22]
	v_min_f64 v[31:32], v[31:32], s[0:1]
	s_waitcnt vmcnt(0)
	s_delay_alu instid0(VALU_DEP_1) | instskip(SKIP_3) | instid1(VALU_DEP_2)
	v_mul_f64 v[31:32], v[33:34], v[31:32]
	global_store_b64 v[23:24], v[31:32], off
	v_div_scale_f64 v[31:32], null, v[7:8], v[7:8], 1.0
	v_mul_f64 v[23:24], v[5:6], v[5:6]
	v_rcp_f64_e32 v[33:34], v[31:32]
	s_delay_alu instid0(VALU_DEP_1) | instskip(SKIP_2) | instid1(VALU_DEP_1)
	v_mul_f64 v[23:24], v[23:24], v[17:18]
	s_waitcnt_depctr 0xfff
	v_fma_f64 v[35:36], -v[31:32], v[33:34], 1.0
	v_fma_f64 v[33:34], v[33:34], v[35:36], v[33:34]
	s_delay_alu instid0(VALU_DEP_1) | instskip(NEXT) | instid1(VALU_DEP_1)
	v_fma_f64 v[35:36], -v[31:32], v[33:34], 1.0
	v_fma_f64 v[33:34], v[33:34], v[35:36], v[33:34]
	v_div_scale_f64 v[35:36], vcc_lo, 1.0, v[7:8], 1.0
	s_delay_alu instid0(VALU_DEP_1) | instskip(NEXT) | instid1(VALU_DEP_1)
	v_mul_f64 v[37:38], v[35:36], v[33:34]
	v_fma_f64 v[31:32], -v[31:32], v[37:38], v[35:36]
	s_delay_alu instid0(VALU_DEP_1) | instskip(NEXT) | instid1(VALU_DEP_1)
	v_div_fmas_f64 v[31:32], v[31:32], v[33:34], v[37:38]
	v_div_fixup_f64 v[31:32], v[31:32], v[7:8], 1.0
	s_delay_alu instid0(VALU_DEP_1)
	v_mul_f64 v[23:24], v[23:24], v[31:32]
	v_add_co_u32 v31, vcc_lo, s6, v25
	v_add_co_ci_u32_e32 v32, vcc_lo, s7, v26, vcc_lo
	v_add_co_u32 v25, vcc_lo, s8, v25
	v_add_co_ci_u32_e32 v26, vcc_lo, s9, v26, vcc_lo
	global_load_b64 v[31:32], v[31:32], off
	v_min_f64 v[23:24], v[23:24], s[0:1]
	s_waitcnt vmcnt(0)
	s_delay_alu instid0(VALU_DEP_1)
	v_mul_f64 v[31:32], v[23:24], v[31:32]
	global_store_b64 v[25:26], v[31:32], off
	v_add_co_u32 v25, vcc_lo, s6, v29
	v_add_co_ci_u32_e32 v26, vcc_lo, s7, v30, vcc_lo
	v_add_co_u32 v29, vcc_lo, s8, v29
	v_add_co_ci_u32_e32 v30, vcc_lo, s9, v30, vcc_lo
	global_load_b64 v[25:26], v[25:26], off
	s_waitcnt vmcnt(0)
	v_mul_f64 v[25:26], v[23:24], v[25:26]
	global_store_b64 v[29:30], v[25:26], off
	v_lshlrev_b64 v[25:26], 3, v[1:2]
	v_add_nc_u32_e32 v1, s2, v1
	s_delay_alu instid0(VALU_DEP_2) | instskip(NEXT) | instid1(VALU_DEP_3)
	v_add_co_u32 v29, vcc_lo, s6, v25
	v_add_co_ci_u32_e32 v30, vcc_lo, s7, v26, vcc_lo
	v_add_co_u32 v31, vcc_lo, s8, v25
	v_add_co_ci_u32_e32 v32, vcc_lo, s9, v26, vcc_lo
	global_load_b64 v[29:30], v[29:30], off
	s_waitcnt vmcnt(0)
	v_mul_f64 v[29:30], v[23:24], v[29:30]
	global_store_b64 v[31:32], v[29:30], off
	v_lshlrev_b64 v[29:30], 3, v[1:2]
	v_add_nc_u32_e32 v1, s2, v1
	s_delay_alu instid0(VALU_DEP_2) | instskip(NEXT) | instid1(VALU_DEP_3)
	v_add_co_u32 v31, vcc_lo, s6, v29
	v_add_co_ci_u32_e32 v32, vcc_lo, s7, v30, vcc_lo
	global_load_b64 v[31:32], v[31:32], off
	s_waitcnt vmcnt(0)
	v_mul_f64 v[23:24], v[23:24], v[31:32]
	v_add_co_u32 v31, vcc_lo, s8, v29
	v_add_co_ci_u32_e32 v32, vcc_lo, s9, v30, vcc_lo
	global_store_b64 v[31:32], v[23:24], off
	v_mul_f64 v[23:24], v[17:18], v[27:28]
	v_div_scale_f64 v[27:28], null, v[11:12], v[11:12], 1.0
	s_delay_alu instid0(VALU_DEP_1) | instskip(SKIP_2) | instid1(VALU_DEP_1)
	v_rcp_f64_e32 v[31:32], v[27:28]
	s_waitcnt_depctr 0xfff
	v_fma_f64 v[33:34], -v[27:28], v[31:32], 1.0
	v_fma_f64 v[31:32], v[31:32], v[33:34], v[31:32]
	s_delay_alu instid0(VALU_DEP_1) | instskip(NEXT) | instid1(VALU_DEP_1)
	v_fma_f64 v[33:34], -v[27:28], v[31:32], 1.0
	v_fma_f64 v[31:32], v[31:32], v[33:34], v[31:32]
	v_div_scale_f64 v[33:34], vcc_lo, 1.0, v[11:12], 1.0
	s_delay_alu instid0(VALU_DEP_1) | instskip(NEXT) | instid1(VALU_DEP_1)
	v_mul_f64 v[35:36], v[33:34], v[31:32]
	v_fma_f64 v[27:28], -v[27:28], v[35:36], v[33:34]
	s_delay_alu instid0(VALU_DEP_1) | instskip(NEXT) | instid1(VALU_DEP_1)
	v_div_fmas_f64 v[27:28], v[27:28], v[31:32], v[35:36]
	v_div_fixup_f64 v[27:28], v[27:28], v[11:12], 1.0
	s_delay_alu instid0(VALU_DEP_1) | instskip(SKIP_2) | instid1(VALU_DEP_2)
	v_mul_f64 v[23:24], v[23:24], v[27:28]
	v_lshlrev_b64 v[27:28], 3, v[1:2]
	v_add_nc_u32_e32 v1, s2, v1
	v_add_co_u32 v31, vcc_lo, s6, v27
	s_delay_alu instid0(VALU_DEP_3)
	v_add_co_ci_u32_e32 v32, vcc_lo, s7, v28, vcc_lo
	v_add_co_u32 v27, vcc_lo, s8, v27
	v_add_co_ci_u32_e32 v28, vcc_lo, s9, v28, vcc_lo
	global_load_b64 v[31:32], v[31:32], off
	v_min_f64 v[23:24], v[23:24], s[0:1]
	s_waitcnt vmcnt(0)
	s_delay_alu instid0(VALU_DEP_1) | instskip(SKIP_3) | instid1(VALU_DEP_2)
	v_mul_f64 v[23:24], v[23:24], v[31:32]
	global_store_b64 v[27:28], v[23:24], off
	v_div_scale_f64 v[27:28], null, v[3:4], v[3:4], 1.0
	v_mul_f64 v[23:24], v[5:6], v[13:14]
	v_rcp_f64_e32 v[31:32], v[27:28]
	s_delay_alu instid0(VALU_DEP_1) | instskip(SKIP_2) | instid1(VALU_DEP_1)
	v_mul_f64 v[23:24], v[23:24], v[17:18]
	s_waitcnt_depctr 0xfff
	v_fma_f64 v[33:34], -v[27:28], v[31:32], 1.0
	v_fma_f64 v[31:32], v[31:32], v[33:34], v[31:32]
	s_delay_alu instid0(VALU_DEP_1) | instskip(NEXT) | instid1(VALU_DEP_1)
	v_fma_f64 v[33:34], -v[27:28], v[31:32], 1.0
	v_fma_f64 v[31:32], v[31:32], v[33:34], v[31:32]
	v_div_scale_f64 v[33:34], vcc_lo, 1.0, v[3:4], 1.0
	s_delay_alu instid0(VALU_DEP_1) | instskip(NEXT) | instid1(VALU_DEP_1)
	v_mul_f64 v[35:36], v[33:34], v[31:32]
	v_fma_f64 v[27:28], -v[27:28], v[35:36], v[33:34]
	s_delay_alu instid0(VALU_DEP_1) | instskip(NEXT) | instid1(VALU_DEP_1)
	v_div_fmas_f64 v[27:28], v[27:28], v[31:32], v[35:36]
	v_div_fixup_f64 v[27:28], v[27:28], v[3:4], 1.0
	s_delay_alu instid0(VALU_DEP_1) | instskip(SKIP_2) | instid1(VALU_DEP_2)
	v_mul_f64 v[23:24], v[27:28], v[23:24]
	v_lshlrev_b64 v[27:28], 3, v[1:2]
	v_add_nc_u32_e32 v1, s2, v1
	v_add_co_u32 v31, vcc_lo, s6, v27
	s_delay_alu instid0(VALU_DEP_3)
	v_add_co_ci_u32_e32 v32, vcc_lo, s7, v28, vcc_lo
	v_add_co_u32 v27, vcc_lo, s8, v27
	v_add_co_ci_u32_e32 v28, vcc_lo, s9, v28, vcc_lo
	global_load_b64 v[31:32], v[31:32], off
	v_min_f64 v[23:24], v[23:24], s[0:1]
	s_waitcnt vmcnt(0)
	s_delay_alu instid0(VALU_DEP_1) | instskip(SKIP_3) | instid1(VALU_DEP_2)
	v_mul_f64 v[23:24], v[23:24], v[31:32]
	global_store_b64 v[27:28], v[23:24], off
	v_div_scale_f64 v[27:28], null, v[9:10], v[9:10], 1.0
	v_mul_f64 v[23:24], v[13:14], v[13:14]
	v_rcp_f64_e32 v[31:32], v[27:28]
	s_delay_alu instid0(VALU_DEP_1) | instskip(SKIP_2) | instid1(VALU_DEP_1)
	v_mul_f64 v[23:24], v[23:24], v[17:18]
	s_waitcnt_depctr 0xfff
	v_fma_f64 v[33:34], -v[27:28], v[31:32], 1.0
	v_fma_f64 v[31:32], v[31:32], v[33:34], v[31:32]
	s_delay_alu instid0(VALU_DEP_1) | instskip(NEXT) | instid1(VALU_DEP_1)
	v_fma_f64 v[33:34], -v[27:28], v[31:32], 1.0
	v_fma_f64 v[31:32], v[31:32], v[33:34], v[31:32]
	v_div_scale_f64 v[33:34], vcc_lo, 1.0, v[9:10], 1.0
	s_delay_alu instid0(VALU_DEP_1) | instskip(NEXT) | instid1(VALU_DEP_1)
	v_mul_f64 v[35:36], v[33:34], v[31:32]
	v_fma_f64 v[27:28], -v[27:28], v[35:36], v[33:34]
	s_delay_alu instid0(VALU_DEP_1) | instskip(NEXT) | instid1(VALU_DEP_1)
	v_div_fmas_f64 v[27:28], v[27:28], v[31:32], v[35:36]
	v_div_fixup_f64 v[27:28], v[27:28], v[9:10], 1.0
	s_delay_alu instid0(VALU_DEP_1) | instskip(SKIP_2) | instid1(VALU_DEP_2)
	v_mul_f64 v[23:24], v[27:28], v[23:24]
	v_lshlrev_b64 v[27:28], 3, v[1:2]
	v_add_nc_u32_e32 v1, s2, v1
	v_add_co_u32 v31, vcc_lo, s6, v27
	s_delay_alu instid0(VALU_DEP_3)
	v_add_co_ci_u32_e32 v32, vcc_lo, s7, v28, vcc_lo
	v_add_co_u32 v27, vcc_lo, s8, v27
	v_add_co_ci_u32_e32 v28, vcc_lo, s9, v28, vcc_lo
	global_load_b64 v[31:32], v[31:32], off
	v_min_f64 v[23:24], v[23:24], s[0:1]
	s_waitcnt vmcnt(0)
	s_delay_alu instid0(VALU_DEP_1)
	v_mul_f64 v[23:24], v[23:24], v[31:32]
	global_store_b64 v[27:28], v[23:24], off
	v_mul_f64 v[23:24], v[19:20], v[17:18]
	v_add_co_u32 v19, vcc_lo, s10, v25
	v_add_co_ci_u32_e32 v20, vcc_lo, s11, v26, vcc_lo
	global_load_b64 v[19:20], v[19:20], off
	s_waitcnt vmcnt(0)
	v_div_scale_f64 v[25:26], null, v[19:20], v[19:20], 1.0
	v_mul_f64 v[13:14], v[13:14], v[19:20]
	s_delay_alu instid0(VALU_DEP_2) | instskip(SKIP_2) | instid1(VALU_DEP_1)
	v_rcp_f64_e32 v[27:28], v[25:26]
	s_waitcnt_depctr 0xfff
	v_fma_f64 v[31:32], -v[25:26], v[27:28], 1.0
	v_fma_f64 v[27:28], v[27:28], v[31:32], v[27:28]
	s_delay_alu instid0(VALU_DEP_1) | instskip(NEXT) | instid1(VALU_DEP_1)
	v_fma_f64 v[31:32], -v[25:26], v[27:28], 1.0
	v_fma_f64 v[27:28], v[27:28], v[31:32], v[27:28]
	v_div_scale_f64 v[31:32], vcc_lo, 1.0, v[19:20], 1.0
	s_delay_alu instid0(VALU_DEP_1) | instskip(NEXT) | instid1(VALU_DEP_1)
	v_mul_f64 v[33:34], v[31:32], v[27:28]
	v_fma_f64 v[25:26], -v[25:26], v[33:34], v[31:32]
	s_delay_alu instid0(VALU_DEP_1) | instskip(NEXT) | instid1(VALU_DEP_1)
	v_div_fmas_f64 v[25:26], v[25:26], v[27:28], v[33:34]
	v_div_fixup_f64 v[25:26], v[25:26], v[19:20], 1.0
	s_delay_alu instid0(VALU_DEP_1) | instskip(SKIP_2) | instid1(VALU_DEP_2)
	v_mul_f64 v[23:24], v[23:24], v[25:26]
	v_lshlrev_b64 v[25:26], 3, v[1:2]
	v_add_nc_u32_e32 v1, s2, v1
	v_add_co_u32 v27, vcc_lo, s6, v25
	s_delay_alu instid0(VALU_DEP_3)
	v_add_co_ci_u32_e32 v28, vcc_lo, s7, v26, vcc_lo
	v_add_co_u32 v25, vcc_lo, s8, v25
	v_add_co_ci_u32_e32 v26, vcc_lo, s9, v26, vcc_lo
	global_load_b64 v[27:28], v[27:28], off
	v_min_f64 v[23:24], v[23:24], s[0:1]
	s_waitcnt vmcnt(0)
	s_delay_alu instid0(VALU_DEP_1) | instskip(SKIP_3) | instid1(VALU_DEP_2)
	v_mul_f64 v[27:28], v[27:28], v[23:24]
	global_store_b64 v[25:26], v[27:28], off
	v_lshlrev_b64 v[25:26], 3, v[1:2]
	v_add_nc_u32_e32 v1, s2, v1
	v_add_co_u32 v27, vcc_lo, s6, v25
	s_delay_alu instid0(VALU_DEP_3)
	v_add_co_ci_u32_e32 v28, vcc_lo, s7, v26, vcc_lo
	v_add_co_u32 v25, vcc_lo, s8, v25
	v_add_co_ci_u32_e32 v26, vcc_lo, s9, v26, vcc_lo
	global_load_b64 v[27:28], v[27:28], off
	s_waitcnt vmcnt(0)
	v_mul_f64 v[27:28], v[27:28], v[23:24]
	global_store_b64 v[25:26], v[27:28], off
	v_lshlrev_b64 v[25:26], 3, v[1:2]
	v_add_nc_u32_e32 v1, s2, v1
	s_delay_alu instid0(VALU_DEP_2) | instskip(NEXT) | instid1(VALU_DEP_3)
	v_add_co_u32 v27, vcc_lo, s6, v25
	v_add_co_ci_u32_e32 v28, vcc_lo, s7, v26, vcc_lo
	v_add_co_u32 v25, vcc_lo, s8, v25
	v_add_co_ci_u32_e32 v26, vcc_lo, s9, v26, vcc_lo
	global_load_b64 v[27:28], v[27:28], off
	s_waitcnt vmcnt(0)
	v_mul_f64 v[27:28], v[23:24], v[27:28]
	global_store_b64 v[25:26], v[27:28], off
	v_lshlrev_b64 v[25:26], 3, v[1:2]
	v_add_nc_u32_e32 v1, s2, v1
	s_delay_alu instid0(VALU_DEP_2) | instskip(NEXT) | instid1(VALU_DEP_3)
	v_add_co_u32 v27, vcc_lo, s6, v25
	v_add_co_ci_u32_e32 v28, vcc_lo, s7, v26, vcc_lo
	v_add_co_u32 v25, vcc_lo, s8, v25
	v_add_co_ci_u32_e32 v26, vcc_lo, s9, v26, vcc_lo
	global_load_b64 v[27:28], v[27:28], off
	s_waitcnt vmcnt(0)
	v_mul_f64 v[23:24], v[23:24], v[27:28]
	global_store_b64 v[25:26], v[23:24], off
	v_mul_f64 v[23:24], v[17:18], v[15:16]
	v_add_co_u32 v17, vcc_lo, s10, v29
	v_add_co_ci_u32_e32 v18, vcc_lo, s11, v30, vcc_lo
	global_load_b64 v[17:18], v[17:18], off
	s_waitcnt vmcnt(0)
	v_div_scale_f64 v[25:26], null, v[17:18], v[17:18], 1.0
	s_delay_alu instid0(VALU_DEP_1) | instskip(SKIP_2) | instid1(VALU_DEP_1)
	v_rcp_f64_e32 v[27:28], v[25:26]
	s_waitcnt_depctr 0xfff
	v_fma_f64 v[29:30], -v[25:26], v[27:28], 1.0
	v_fma_f64 v[27:28], v[27:28], v[29:30], v[27:28]
	s_delay_alu instid0(VALU_DEP_1) | instskip(NEXT) | instid1(VALU_DEP_1)
	v_fma_f64 v[29:30], -v[25:26], v[27:28], 1.0
	v_fma_f64 v[27:28], v[27:28], v[29:30], v[27:28]
	v_div_scale_f64 v[29:30], vcc_lo, 1.0, v[17:18], 1.0
	s_delay_alu instid0(VALU_DEP_1) | instskip(NEXT) | instid1(VALU_DEP_1)
	v_mul_f64 v[31:32], v[29:30], v[27:28]
	v_fma_f64 v[25:26], -v[25:26], v[31:32], v[29:30]
	s_delay_alu instid0(VALU_DEP_1) | instskip(NEXT) | instid1(VALU_DEP_1)
	v_div_fmas_f64 v[25:26], v[25:26], v[27:28], v[31:32]
	v_div_fixup_f64 v[25:26], v[25:26], v[17:18], 1.0
	s_delay_alu instid0(VALU_DEP_1) | instskip(SKIP_2) | instid1(VALU_DEP_2)
	v_mul_f64 v[23:24], v[23:24], v[25:26]
	v_lshlrev_b64 v[25:26], 3, v[1:2]
	v_add_nc_u32_e32 v1, s2, v1
	v_add_co_u32 v27, vcc_lo, s6, v25
	s_delay_alu instid0(VALU_DEP_3)
	v_add_co_ci_u32_e32 v28, vcc_lo, s7, v26, vcc_lo
	v_add_co_u32 v25, vcc_lo, s8, v25
	v_add_co_ci_u32_e32 v26, vcc_lo, s9, v26, vcc_lo
	global_load_b64 v[27:28], v[27:28], off
	v_min_f64 v[23:24], v[23:24], s[0:1]
	s_waitcnt vmcnt(0)
	s_delay_alu instid0(VALU_DEP_1)
	v_mul_f64 v[23:24], v[27:28], v[23:24]
	global_store_b64 v[25:26], v[23:24], off
	v_lshlrev_b64 v[25:26], 3, v[1:2]
	v_mul_f64 v[23:24], v[5:6], v[19:20]
	v_add_nc_u32_e32 v1, s2, v1
	v_mul_f64 v[5:6], v[5:6], v[17:18]
	s_delay_alu instid0(VALU_DEP_4)
	v_add_co_u32 v27, vcc_lo, s6, v25
	v_add_co_ci_u32_e32 v28, vcc_lo, s7, v26, vcc_lo
	v_add_co_u32 v25, vcc_lo, s8, v25
	v_add_co_ci_u32_e32 v26, vcc_lo, s9, v26, vcc_lo
	global_load_b64 v[27:28], v[27:28], off
	v_mul_f64 v[21:22], v[21:22], v[23:24]
	s_delay_alu instid0(VALU_DEP_1) | instskip(SKIP_1) | instid1(VALU_DEP_1)
	v_min_f64 v[21:22], v[21:22], s[0:1]
	s_waitcnt vmcnt(0)
	v_mul_f64 v[21:22], v[21:22], v[27:28]
	global_store_b64 v[25:26], v[21:22], off
	v_mul_f64 v[21:22], v[9:10], v[7:8]
	v_mul_f64 v[7:8], v[7:8], v[19:20]
	s_delay_alu instid0(VALU_DEP_2) | instskip(NEXT) | instid1(VALU_DEP_1)
	v_div_scale_f64 v[25:26], null, v[21:22], v[21:22], 1.0
	v_rcp_f64_e32 v[27:28], v[25:26]
	s_waitcnt_depctr 0xfff
	v_fma_f64 v[29:30], -v[25:26], v[27:28], 1.0
	s_delay_alu instid0(VALU_DEP_1) | instskip(NEXT) | instid1(VALU_DEP_1)
	v_fma_f64 v[27:28], v[27:28], v[29:30], v[27:28]
	v_fma_f64 v[29:30], -v[25:26], v[27:28], 1.0
	s_delay_alu instid0(VALU_DEP_1) | instskip(SKIP_1) | instid1(VALU_DEP_1)
	v_fma_f64 v[27:28], v[27:28], v[29:30], v[27:28]
	v_div_scale_f64 v[29:30], vcc_lo, 1.0, v[21:22], 1.0
	v_mul_f64 v[31:32], v[29:30], v[27:28]
	s_delay_alu instid0(VALU_DEP_1) | instskip(NEXT) | instid1(VALU_DEP_1)
	v_fma_f64 v[25:26], -v[25:26], v[31:32], v[29:30]
	v_div_fmas_f64 v[25:26], v[25:26], v[27:28], v[31:32]
	s_delay_alu instid0(VALU_DEP_1) | instskip(SKIP_2) | instid1(VALU_DEP_2)
	v_div_fixup_f64 v[21:22], v[25:26], v[21:22], 1.0
	v_lshlrev_b64 v[25:26], 3, v[1:2]
	v_add_nc_u32_e32 v1, s2, v1
	v_add_co_u32 v27, vcc_lo, s6, v25
	s_delay_alu instid0(VALU_DEP_3) | instskip(SKIP_4) | instid1(VALU_DEP_1)
	v_add_co_ci_u32_e32 v28, vcc_lo, s7, v26, vcc_lo
	v_add_co_u32 v25, vcc_lo, s8, v25
	v_add_co_ci_u32_e32 v26, vcc_lo, s9, v26, vcc_lo
	global_load_b64 v[27:28], v[27:28], off
	v_mul_f64 v[21:22], v[21:22], v[23:24]
	v_min_f64 v[21:22], v[21:22], s[0:1]
	s_waitcnt vmcnt(0)
	s_delay_alu instid0(VALU_DEP_1) | instskip(SKIP_2) | instid1(VALU_DEP_1)
	v_mul_f64 v[21:22], v[21:22], v[27:28]
	global_store_b64 v[25:26], v[21:22], off
	v_div_scale_f64 v[21:22], null, v[15:16], v[15:16], 1.0
	v_rcp_f64_e32 v[25:26], v[21:22]
	s_waitcnt_depctr 0xfff
	v_fma_f64 v[27:28], -v[21:22], v[25:26], 1.0
	s_delay_alu instid0(VALU_DEP_1) | instskip(NEXT) | instid1(VALU_DEP_1)
	v_fma_f64 v[25:26], v[25:26], v[27:28], v[25:26]
	v_fma_f64 v[27:28], -v[21:22], v[25:26], 1.0
	s_delay_alu instid0(VALU_DEP_1) | instskip(SKIP_1) | instid1(VALU_DEP_1)
	v_fma_f64 v[25:26], v[25:26], v[27:28], v[25:26]
	v_div_scale_f64 v[27:28], vcc_lo, 1.0, v[15:16], 1.0
	v_mul_f64 v[29:30], v[27:28], v[25:26]
	s_delay_alu instid0(VALU_DEP_1) | instskip(NEXT) | instid1(VALU_DEP_1)
	v_fma_f64 v[21:22], -v[21:22], v[29:30], v[27:28]
	v_div_fmas_f64 v[21:22], v[21:22], v[25:26], v[29:30]
	s_delay_alu instid0(VALU_DEP_1) | instskip(SKIP_2) | instid1(VALU_DEP_3)
	v_div_fixup_f64 v[15:16], v[21:22], v[15:16], 1.0
	v_lshlrev_b64 v[21:22], 3, v[1:2]
	v_add_nc_u32_e32 v1, s2, v1
	v_mul_f64 v[15:16], v[15:16], v[23:24]
	s_delay_alu instid0(VALU_DEP_3) | instskip(NEXT) | instid1(VALU_DEP_4)
	v_add_co_u32 v23, vcc_lo, s6, v21
	v_add_co_ci_u32_e32 v24, vcc_lo, s7, v22, vcc_lo
	v_add_co_u32 v21, vcc_lo, s8, v21
	v_add_co_ci_u32_e32 v22, vcc_lo, s9, v22, vcc_lo
	global_load_b64 v[23:24], v[23:24], off
	v_min_f64 v[15:16], v[15:16], s[0:1]
	s_waitcnt vmcnt(0)
	s_delay_alu instid0(VALU_DEP_1) | instskip(SKIP_2) | instid1(VALU_DEP_1)
	v_mul_f64 v[15:16], v[15:16], v[23:24]
	global_store_b64 v[21:22], v[15:16], off
	v_mul_f64 v[15:16], v[9:10], v[3:4]
	v_div_scale_f64 v[21:22], null, v[15:16], v[15:16], 1.0
	s_delay_alu instid0(VALU_DEP_1) | instskip(SKIP_2) | instid1(VALU_DEP_1)
	v_rcp_f64_e32 v[23:24], v[21:22]
	s_waitcnt_depctr 0xfff
	v_fma_f64 v[25:26], -v[21:22], v[23:24], 1.0
	v_fma_f64 v[23:24], v[23:24], v[25:26], v[23:24]
	s_delay_alu instid0(VALU_DEP_1) | instskip(NEXT) | instid1(VALU_DEP_1)
	v_fma_f64 v[25:26], -v[21:22], v[23:24], 1.0
	v_fma_f64 v[23:24], v[23:24], v[25:26], v[23:24]
	v_div_scale_f64 v[25:26], vcc_lo, 1.0, v[15:16], 1.0
	s_delay_alu instid0(VALU_DEP_1) | instskip(NEXT) | instid1(VALU_DEP_1)
	v_mul_f64 v[27:28], v[25:26], v[23:24]
	v_fma_f64 v[21:22], -v[21:22], v[27:28], v[25:26]
	s_delay_alu instid0(VALU_DEP_1) | instskip(NEXT) | instid1(VALU_DEP_1)
	v_div_fmas_f64 v[21:22], v[21:22], v[23:24], v[27:28]
	v_div_fixup_f64 v[15:16], v[21:22], v[15:16], 1.0
	s_delay_alu instid0(VALU_DEP_1) | instskip(SKIP_2) | instid1(VALU_DEP_2)
	v_mul_f64 v[13:14], v[15:16], v[13:14]
	v_lshlrev_b64 v[15:16], 3, v[1:2]
	v_add_nc_u32_e32 v1, s2, v1
	v_add_co_u32 v21, vcc_lo, s6, v15
	s_delay_alu instid0(VALU_DEP_3)
	v_add_co_ci_u32_e32 v22, vcc_lo, s7, v16, vcc_lo
	v_add_co_u32 v15, vcc_lo, s8, v15
	v_add_co_ci_u32_e32 v16, vcc_lo, s9, v16, vcc_lo
	global_load_b64 v[21:22], v[21:22], off
	v_min_f64 v[13:14], v[13:14], s[0:1]
	s_waitcnt vmcnt(0)
	s_delay_alu instid0(VALU_DEP_1)
	v_mul_f64 v[13:14], v[13:14], v[21:22]
	global_store_b64 v[15:16], v[13:14], off
	v_mul_f64 v[15:16], v[9:10], v[11:12]
	v_mul_f64 v[13:14], v[3:4], v[19:20]
	;; [unrolled: 1-line block ×4, first 2 shown]
	s_delay_alu instid0(VALU_DEP_4) | instskip(NEXT) | instid1(VALU_DEP_1)
	v_div_scale_f64 v[21:22], null, v[15:16], v[15:16], 1.0
	v_rcp_f64_e32 v[23:24], v[21:22]
	s_waitcnt_depctr 0xfff
	v_fma_f64 v[25:26], -v[21:22], v[23:24], 1.0
	s_delay_alu instid0(VALU_DEP_1) | instskip(NEXT) | instid1(VALU_DEP_1)
	v_fma_f64 v[23:24], v[23:24], v[25:26], v[23:24]
	v_fma_f64 v[25:26], -v[21:22], v[23:24], 1.0
	s_delay_alu instid0(VALU_DEP_1) | instskip(SKIP_1) | instid1(VALU_DEP_1)
	v_fma_f64 v[23:24], v[23:24], v[25:26], v[23:24]
	v_div_scale_f64 v[25:26], vcc_lo, 1.0, v[15:16], 1.0
	v_mul_f64 v[27:28], v[25:26], v[23:24]
	s_delay_alu instid0(VALU_DEP_1) | instskip(NEXT) | instid1(VALU_DEP_1)
	v_fma_f64 v[21:22], -v[21:22], v[27:28], v[25:26]
	v_div_fmas_f64 v[21:22], v[21:22], v[23:24], v[27:28]
	s_delay_alu instid0(VALU_DEP_1) | instskip(NEXT) | instid1(VALU_DEP_1)
	v_div_fixup_f64 v[15:16], v[21:22], v[15:16], 1.0
	v_mul_f64 v[13:14], v[15:16], v[13:14]
	v_lshlrev_b64 v[15:16], 3, v[1:2]
	v_add_nc_u32_e32 v1, s2, v1
	s_delay_alu instid0(VALU_DEP_2) | instskip(NEXT) | instid1(VALU_DEP_3)
	v_add_co_u32 v21, vcc_lo, s6, v15
	v_add_co_ci_u32_e32 v22, vcc_lo, s7, v16, vcc_lo
	v_add_co_u32 v15, vcc_lo, s8, v15
	v_add_co_ci_u32_e32 v16, vcc_lo, s9, v16, vcc_lo
	global_load_b64 v[21:22], v[21:22], off
	v_min_f64 v[13:14], v[13:14], s[0:1]
	s_waitcnt vmcnt(0)
	s_delay_alu instid0(VALU_DEP_1) | instskip(SKIP_3) | instid1(VALU_DEP_2)
	v_mul_f64 v[13:14], v[13:14], v[21:22]
	global_store_b64 v[15:16], v[13:14], off
	v_div_scale_f64 v[15:16], null, v[9:10], v[9:10], 1.0
	v_mul_f64 v[13:14], v[19:20], v[19:20]
	v_rcp_f64_e32 v[21:22], v[15:16]
	s_waitcnt_depctr 0xfff
	v_fma_f64 v[23:24], -v[15:16], v[21:22], 1.0
	s_delay_alu instid0(VALU_DEP_1) | instskip(NEXT) | instid1(VALU_DEP_1)
	v_fma_f64 v[21:22], v[21:22], v[23:24], v[21:22]
	v_fma_f64 v[23:24], -v[15:16], v[21:22], 1.0
	s_delay_alu instid0(VALU_DEP_1) | instskip(SKIP_1) | instid1(VALU_DEP_1)
	v_fma_f64 v[21:22], v[21:22], v[23:24], v[21:22]
	v_div_scale_f64 v[23:24], vcc_lo, 1.0, v[9:10], 1.0
	v_mul_f64 v[25:26], v[23:24], v[21:22]
	s_delay_alu instid0(VALU_DEP_1) | instskip(NEXT) | instid1(VALU_DEP_1)
	v_fma_f64 v[15:16], -v[15:16], v[25:26], v[23:24]
	v_div_fmas_f64 v[15:16], v[15:16], v[21:22], v[25:26]
	s_delay_alu instid0(VALU_DEP_1) | instskip(NEXT) | instid1(VALU_DEP_1)
	v_div_fixup_f64 v[9:10], v[15:16], v[9:10], 1.0
	v_mul_f64 v[9:10], v[13:14], v[9:10]
	v_lshlrev_b64 v[13:14], 3, v[1:2]
	v_add_nc_u32_e32 v1, s2, v1
	s_delay_alu instid0(VALU_DEP_2) | instskip(NEXT) | instid1(VALU_DEP_3)
	v_add_co_u32 v15, vcc_lo, s6, v13
	v_add_co_ci_u32_e32 v16, vcc_lo, s7, v14, vcc_lo
	v_add_co_u32 v13, vcc_lo, s8, v13
	v_add_co_ci_u32_e32 v14, vcc_lo, s9, v14, vcc_lo
	global_load_b64 v[15:16], v[15:16], off
	v_min_f64 v[9:10], v[9:10], s[0:1]
	s_waitcnt vmcnt(0)
	s_delay_alu instid0(VALU_DEP_1) | instskip(SKIP_3) | instid1(VALU_DEP_2)
	v_mul_f64 v[15:16], v[9:10], v[15:16]
	global_store_b64 v[13:14], v[15:16], off
	v_lshlrev_b64 v[13:14], 3, v[1:2]
	v_add_nc_u32_e32 v1, s2, v1
	v_add_co_u32 v15, vcc_lo, s6, v13
	s_delay_alu instid0(VALU_DEP_3)
	v_add_co_ci_u32_e32 v16, vcc_lo, s7, v14, vcc_lo
	v_add_co_u32 v13, vcc_lo, s8, v13
	v_add_co_ci_u32_e32 v14, vcc_lo, s9, v14, vcc_lo
	global_load_b64 v[15:16], v[15:16], off
	s_waitcnt vmcnt(0)
	v_mul_f64 v[9:10], v[9:10], v[15:16]
	global_store_b64 v[13:14], v[9:10], off
	v_div_scale_f64 v[9:10], null, v[7:8], v[7:8], 1.0
	s_delay_alu instid0(VALU_DEP_1) | instskip(SKIP_2) | instid1(VALU_DEP_1)
	v_rcp_f64_e32 v[13:14], v[9:10]
	s_waitcnt_depctr 0xfff
	v_fma_f64 v[15:16], -v[9:10], v[13:14], 1.0
	v_fma_f64 v[13:14], v[13:14], v[15:16], v[13:14]
	s_delay_alu instid0(VALU_DEP_1) | instskip(NEXT) | instid1(VALU_DEP_1)
	v_fma_f64 v[15:16], -v[9:10], v[13:14], 1.0
	v_fma_f64 v[13:14], v[13:14], v[15:16], v[13:14]
	v_div_scale_f64 v[15:16], vcc_lo, 1.0, v[7:8], 1.0
	s_delay_alu instid0(VALU_DEP_1) | instskip(NEXT) | instid1(VALU_DEP_1)
	v_mul_f64 v[17:18], v[15:16], v[13:14]
	v_fma_f64 v[9:10], -v[9:10], v[17:18], v[15:16]
	s_delay_alu instid0(VALU_DEP_1) | instskip(NEXT) | instid1(VALU_DEP_1)
	v_div_fmas_f64 v[9:10], v[9:10], v[13:14], v[17:18]
	v_div_fixup_f64 v[7:8], v[9:10], v[7:8], 1.0
	v_lshlrev_b64 v[9:10], 3, v[1:2]
	v_add_nc_u32_e32 v1, s2, v1
	s_delay_alu instid0(VALU_DEP_2) | instskip(NEXT) | instid1(VALU_DEP_3)
	v_add_co_u32 v13, vcc_lo, s6, v9
	v_add_co_ci_u32_e32 v14, vcc_lo, s7, v10, vcc_lo
	v_add_co_u32 v9, vcc_lo, s8, v9
	v_add_co_ci_u32_e32 v10, vcc_lo, s9, v10, vcc_lo
	global_load_b64 v[13:14], v[13:14], off
	v_lshlrev_b64 v[0:1], 3, v[1:2]
	v_mul_f64 v[7:8], v[7:8], v[5:6]
	s_delay_alu instid0(VALU_DEP_1) | instskip(SKIP_1) | instid1(VALU_DEP_1)
	v_min_f64 v[7:8], v[7:8], s[0:1]
	s_waitcnt vmcnt(0)
	v_mul_f64 v[7:8], v[7:8], v[13:14]
	global_store_b64 v[9:10], v[7:8], off
	v_div_scale_f64 v[7:8], null, v[3:4], v[3:4], 1.0
	s_delay_alu instid0(VALU_DEP_1) | instskip(SKIP_2) | instid1(VALU_DEP_1)
	v_rcp_f64_e32 v[9:10], v[7:8]
	s_waitcnt_depctr 0xfff
	v_fma_f64 v[11:12], -v[7:8], v[9:10], 1.0
	v_fma_f64 v[9:10], v[9:10], v[11:12], v[9:10]
	s_delay_alu instid0(VALU_DEP_1) | instskip(NEXT) | instid1(VALU_DEP_1)
	v_fma_f64 v[11:12], -v[7:8], v[9:10], 1.0
	v_fma_f64 v[9:10], v[9:10], v[11:12], v[9:10]
	v_div_scale_f64 v[11:12], vcc_lo, 1.0, v[3:4], 1.0
	s_delay_alu instid0(VALU_DEP_1) | instskip(NEXT) | instid1(VALU_DEP_1)
	v_mul_f64 v[13:14], v[11:12], v[9:10]
	v_fma_f64 v[7:8], -v[7:8], v[13:14], v[11:12]
	s_delay_alu instid0(VALU_DEP_1) | instskip(NEXT) | instid1(VALU_DEP_1)
	v_div_fmas_f64 v[7:8], v[7:8], v[9:10], v[13:14]
	v_div_fixup_f64 v[3:4], v[7:8], v[3:4], 1.0
	s_delay_alu instid0(VALU_DEP_1)
	v_mul_f64 v[3:4], v[3:4], v[5:6]
	v_add_co_u32 v5, vcc_lo, s6, v0
	v_add_co_ci_u32_e32 v6, vcc_lo, s7, v1, vcc_lo
	v_add_co_u32 v0, vcc_lo, s8, v0
	v_add_co_ci_u32_e32 v1, vcc_lo, s9, v1, vcc_lo
	global_load_b64 v[5:6], v[5:6], off
	v_min_f64 v[2:3], v[3:4], s[0:1]
	s_waitcnt vmcnt(0)
	s_delay_alu instid0(VALU_DEP_1)
	v_mul_f64 v[2:3], v[2:3], v[5:6]
	global_store_b64 v[0:1], v[2:3], off
	s_nop 0
	s_sendmsg sendmsg(MSG_DEALLOC_VGPRS)
	s_endpgm
	.section	.rodata,"a",@progbits
	.p2align	6, 0x0
	.amdhsa_kernel _Z12ratt2_kernelIdEvPKT_S2_PS0_S2_S0_
		.amdhsa_group_segment_fixed_size 0
		.amdhsa_private_segment_fixed_size 0
		.amdhsa_kernarg_size 296
		.amdhsa_user_sgpr_count 15
		.amdhsa_user_sgpr_dispatch_ptr 0
		.amdhsa_user_sgpr_queue_ptr 0
		.amdhsa_user_sgpr_kernarg_segment_ptr 1
		.amdhsa_user_sgpr_dispatch_id 0
		.amdhsa_user_sgpr_private_segment_size 0
		.amdhsa_wavefront_size32 1
		.amdhsa_uses_dynamic_stack 0
		.amdhsa_enable_private_segment 0
		.amdhsa_system_sgpr_workgroup_id_x 1
		.amdhsa_system_sgpr_workgroup_id_y 0
		.amdhsa_system_sgpr_workgroup_id_z 0
		.amdhsa_system_sgpr_workgroup_info 0
		.amdhsa_system_vgpr_workitem_id 0
		.amdhsa_next_free_vgpr 41
		.amdhsa_next_free_sgpr 16
		.amdhsa_reserve_vcc 1
		.amdhsa_float_round_mode_32 0
		.amdhsa_float_round_mode_16_64 0
		.amdhsa_float_denorm_mode_32 3
		.amdhsa_float_denorm_mode_16_64 3
		.amdhsa_dx10_clamp 1
		.amdhsa_ieee_mode 1
		.amdhsa_fp16_overflow 0
		.amdhsa_workgroup_processor_mode 1
		.amdhsa_memory_ordered 1
		.amdhsa_forward_progress 0
		.amdhsa_shared_vgpr_count 0
		.amdhsa_exception_fp_ieee_invalid_op 0
		.amdhsa_exception_fp_denorm_src 0
		.amdhsa_exception_fp_ieee_div_zero 0
		.amdhsa_exception_fp_ieee_overflow 0
		.amdhsa_exception_fp_ieee_underflow 0
		.amdhsa_exception_fp_ieee_inexact 0
		.amdhsa_exception_int_div_zero 0
	.end_amdhsa_kernel
	.section	.text._Z12ratt2_kernelIdEvPKT_S2_PS0_S2_S0_,"axG",@progbits,_Z12ratt2_kernelIdEvPKT_S2_PS0_S2_S0_,comdat
.Lfunc_end30:
	.size	_Z12ratt2_kernelIdEvPKT_S2_PS0_S2_S0_, .Lfunc_end30-_Z12ratt2_kernelIdEvPKT_S2_PS0_S2_S0_
                                        ; -- End function
	.section	.AMDGPU.csdata,"",@progbits
; Kernel info:
; codeLenInByte = 4556
; NumSgprs: 18
; NumVgprs: 41
; ScratchSize: 0
; MemoryBound: 0
; FloatMode: 240
; IeeeMode: 1
; LDSByteSize: 0 bytes/workgroup (compile time only)
; SGPRBlocks: 2
; VGPRBlocks: 5
; NumSGPRsForWavesPerEU: 18
; NumVGPRsForWavesPerEU: 41
; Occupancy: 16
; WaveLimiterHint : 0
; COMPUTE_PGM_RSRC2:SCRATCH_EN: 0
; COMPUTE_PGM_RSRC2:USER_SGPR: 15
; COMPUTE_PGM_RSRC2:TRAP_HANDLER: 0
; COMPUTE_PGM_RSRC2:TGID_X_EN: 1
; COMPUTE_PGM_RSRC2:TGID_Y_EN: 0
; COMPUTE_PGM_RSRC2:TGID_Z_EN: 0
; COMPUTE_PGM_RSRC2:TIDIG_COMP_CNT: 0
	.section	.text._Z12ratt3_kernelIdEvPKT_S2_PS0_S2_S0_,"axG",@progbits,_Z12ratt3_kernelIdEvPKT_S2_PS0_S2_S0_,comdat
	.protected	_Z12ratt3_kernelIdEvPKT_S2_PS0_S2_S0_ ; -- Begin function _Z12ratt3_kernelIdEvPKT_S2_PS0_S2_S0_
	.globl	_Z12ratt3_kernelIdEvPKT_S2_PS0_S2_S0_
	.p2align	8
	.type	_Z12ratt3_kernelIdEvPKT_S2_PS0_S2_S0_,@function
_Z12ratt3_kernelIdEvPKT_S2_PS0_S2_S0_:  ; @_Z12ratt3_kernelIdEvPKT_S2_PS0_S2_S0_
; %bb.0:
	s_clause 0x3
	s_load_b256 s[4:11], s[0:1], 0x0
	s_load_b64 s[2:3], s[0:1], 0x20
	s_load_b32 s12, s[0:1], 0x28
	s_load_b32 s0, s[0:1], 0x34
	s_waitcnt lgkmcnt(0)
	s_and_b32 s13, s0, 0xffff
	s_brev_b32 s0, 12
	v_mad_u64_u32 v[1:2], null, s15, s13, v[0:1]
	v_mov_b32_e32 v2, 0
	s_mov_b32 s1, 0x4193d2c6
	s_delay_alu instid0(VALU_DEP_1) | instskip(NEXT) | instid1(VALU_DEP_1)
	v_lshlrev_b64 v[13:14], 3, v[1:2]
	v_add_co_u32 v3, vcc_lo, s4, v13
	s_delay_alu instid0(VALU_DEP_2) | instskip(SKIP_4) | instid1(SALU_CYCLE_1)
	v_add_co_ci_u32_e32 v4, vcc_lo, s5, v14, vcc_lo
	global_load_b64 v[3:4], v[3:4], off
	s_waitcnt vmcnt(0)
	v_mul_f64 v[3:4], v[3:4], s[2:3]
	s_mul_i32 s2, s12, s13
	s_mul_i32 s4, s2, 19
	;; [unrolled: 1-line block ×4, first 2 shown]
	s_mul_i32 s5, s2, -13
	s_delay_alu instid0(VALU_DEP_1) | instskip(SKIP_1) | instid1(VALU_DEP_1)
	v_mul_f64 v[3:4], v[3:4], s[0:1]
	s_lshl_b32 s0, s2, 1
	v_div_scale_f64 v[5:6], null, v[3:4], v[3:4], 1.0
	s_delay_alu instid0(VALU_DEP_1) | instskip(SKIP_2) | instid1(VALU_DEP_1)
	v_rcp_f64_e32 v[7:8], v[5:6]
	s_waitcnt_depctr 0xfff
	v_fma_f64 v[9:10], -v[5:6], v[7:8], 1.0
	v_fma_f64 v[7:8], v[7:8], v[9:10], v[7:8]
	s_delay_alu instid0(VALU_DEP_1) | instskip(NEXT) | instid1(VALU_DEP_1)
	v_fma_f64 v[9:10], -v[5:6], v[7:8], 1.0
	v_fma_f64 v[7:8], v[7:8], v[9:10], v[7:8]
	v_div_scale_f64 v[9:10], vcc_lo, 1.0, v[3:4], 1.0
	s_delay_alu instid0(VALU_DEP_1) | instskip(NEXT) | instid1(VALU_DEP_1)
	v_mul_f64 v[11:12], v[9:10], v[7:8]
	v_fma_f64 v[5:6], -v[5:6], v[11:12], v[9:10]
	s_delay_alu instid0(VALU_DEP_1) | instskip(SKIP_2) | instid1(VALU_DEP_2)
	v_div_fmas_f64 v[5:6], v[5:6], v[7:8], v[11:12]
	v_dual_mov_b32 v8, v2 :: v_dual_add_nc_u32 v7, s0, v1
	v_add_nc_u32_e32 v1, s2, v1
	v_mad_u64_u32 v[9:10], null, s2, 5, v[7:8]
	v_mov_b32_e32 v10, v2
	s_delay_alu instid0(VALU_DEP_1) | instskip(SKIP_2) | instid1(VALU_DEP_1)
	v_mad_u64_u32 v[17:18], null, s2, -3, v[9:10]
	v_mov_b32_e32 v18, v2
	v_div_fixup_f64 v[3:4], v[5:6], v[3:4], 1.0
	v_mul_f64 v[5:6], 0x412eec04, v[3:4]
	v_lshlrev_b64 v[3:4], 3, v[7:8]
	v_lshlrev_b64 v[7:8], 3, v[9:10]
	v_add_nc_u32_e32 v9, s0, v17
	s_mov_b32 s0, 0x4357691b
	s_mov_b32 s1, 0x479e17b8
	s_delay_alu instid0(VALU_DEP_3)
	v_add_co_u32 v3, vcc_lo, s10, v3
	v_add_co_ci_u32_e32 v4, vcc_lo, s11, v4, vcc_lo
	v_add_co_u32 v7, vcc_lo, s10, v7
	v_add_co_ci_u32_e32 v8, vcc_lo, s11, v8, vcc_lo
	s_clause 0x1
	global_load_b64 v[3:4], v[3:4], off
	global_load_b64 v[11:12], v[7:8], off
	v_lshlrev_b64 v[7:8], 3, v[17:18]
	v_lshlrev_b64 v[17:18], 3, v[9:10]
	v_add_nc_u32_e32 v9, s4, v9
	s_delay_alu instid0(VALU_DEP_3) | instskip(NEXT) | instid1(VALU_DEP_4)
	v_add_co_u32 v7, vcc_lo, s10, v7
	v_add_co_ci_u32_e32 v8, vcc_lo, s11, v8, vcc_lo
	s_delay_alu instid0(VALU_DEP_4)
	v_add_co_u32 v17, vcc_lo, s10, v17
	v_add_co_ci_u32_e32 v18, vcc_lo, s11, v18, vcc_lo
	s_clause 0x1
	global_load_b64 v[7:8], v[7:8], off
	global_load_b64 v[21:22], v[17:18], off
	s_waitcnt vmcnt(2)
	v_mul_f64 v[15:16], v[3:4], v[11:12]
	s_waitcnt vmcnt(0)
	v_mul_f64 v[17:18], v[7:8], v[21:22]
	s_delay_alu instid0(VALU_DEP_1) | instskip(NEXT) | instid1(VALU_DEP_1)
	v_div_scale_f64 v[19:20], null, v[17:18], v[17:18], 1.0
	v_rcp_f64_e32 v[23:24], v[19:20]
	s_waitcnt_depctr 0xfff
	v_fma_f64 v[25:26], -v[19:20], v[23:24], 1.0
	s_delay_alu instid0(VALU_DEP_1) | instskip(NEXT) | instid1(VALU_DEP_1)
	v_fma_f64 v[23:24], v[23:24], v[25:26], v[23:24]
	v_fma_f64 v[25:26], -v[19:20], v[23:24], 1.0
	s_delay_alu instid0(VALU_DEP_1) | instskip(SKIP_1) | instid1(VALU_DEP_1)
	v_fma_f64 v[23:24], v[23:24], v[25:26], v[23:24]
	v_div_scale_f64 v[25:26], vcc_lo, 1.0, v[17:18], 1.0
	v_mul_f64 v[27:28], v[25:26], v[23:24]
	s_delay_alu instid0(VALU_DEP_1) | instskip(NEXT) | instid1(VALU_DEP_1)
	v_fma_f64 v[19:20], -v[19:20], v[27:28], v[25:26]
	v_div_fmas_f64 v[19:20], v[19:20], v[23:24], v[27:28]
	s_delay_alu instid0(VALU_DEP_1) | instskip(NEXT) | instid1(VALU_DEP_1)
	v_div_fixup_f64 v[17:18], v[19:20], v[17:18], 1.0
	v_mul_f64 v[15:16], v[15:16], v[17:18]
	v_lshlrev_b64 v[17:18], 3, v[9:10]
	s_delay_alu instid0(VALU_DEP_1) | instskip(NEXT) | instid1(VALU_DEP_2)
	v_add_co_u32 v19, vcc_lo, s6, v17
	v_add_co_ci_u32_e32 v20, vcc_lo, s7, v18, vcc_lo
	v_add_co_u32 v17, vcc_lo, s8, v17
	v_add_co_ci_u32_e32 v18, vcc_lo, s9, v18, vcc_lo
	global_load_b64 v[19:20], v[19:20], off
	v_min_f64 v[15:16], v[15:16], s[0:1]
	s_waitcnt vmcnt(0)
	s_delay_alu instid0(VALU_DEP_1) | instskip(SKIP_4) | instid1(VALU_DEP_2)
	v_mul_f64 v[15:16], v[19:20], v[15:16]
	global_store_b64 v[17:18], v[15:16], off
	v_mad_u64_u32 v[17:18], null, 0xffffffec, s2, v[9:10]
	v_mov_b32_e32 v18, v2
	v_mul_f64 v[15:16], v[11:12], v[7:8]
	v_lshlrev_b64 v[9:10], 3, v[17:18]
	s_delay_alu instid0(VALU_DEP_1) | instskip(NEXT) | instid1(VALU_DEP_2)
	v_add_co_u32 v9, vcc_lo, s10, v9
	v_add_co_ci_u32_e32 v10, vcc_lo, s11, v10, vcc_lo
	global_load_b64 v[11:12], v[9:10], off
	s_waitcnt vmcnt(0)
	v_mul_f64 v[9:10], v[21:22], v[11:12]
	s_delay_alu instid0(VALU_DEP_1) | instskip(NEXT) | instid1(VALU_DEP_1)
	v_div_scale_f64 v[18:19], null, v[9:10], v[9:10], 1.0
	v_rcp_f64_e32 v[23:24], v[18:19]
	s_waitcnt_depctr 0xfff
	v_fma_f64 v[25:26], -v[18:19], v[23:24], 1.0
	s_delay_alu instid0(VALU_DEP_1) | instskip(NEXT) | instid1(VALU_DEP_1)
	v_fma_f64 v[23:24], v[23:24], v[25:26], v[23:24]
	v_fma_f64 v[25:26], -v[18:19], v[23:24], 1.0
	s_delay_alu instid0(VALU_DEP_1) | instskip(SKIP_1) | instid1(VALU_DEP_1)
	v_fma_f64 v[23:24], v[23:24], v[25:26], v[23:24]
	v_div_scale_f64 v[25:26], vcc_lo, 1.0, v[9:10], 1.0
	v_mul_f64 v[27:28], v[25:26], v[23:24]
	s_delay_alu instid0(VALU_DEP_1) | instskip(NEXT) | instid1(VALU_DEP_1)
	v_fma_f64 v[18:19], -v[18:19], v[27:28], v[25:26]
	v_div_fmas_f64 v[18:19], v[18:19], v[23:24], v[27:28]
	s_delay_alu instid0(VALU_DEP_1) | instskip(NEXT) | instid1(VALU_DEP_1)
	v_div_fixup_f64 v[9:10], v[18:19], v[9:10], 1.0
	v_mul_f64 v[9:10], v[15:16], v[9:10]
	v_mad_u64_u32 v[15:16], null, s2, 21, v[17:18]
	v_mov_b32_e32 v16, v2
	s_delay_alu instid0(VALU_DEP_1) | instskip(SKIP_1) | instid1(VALU_DEP_2)
	v_lshlrev_b64 v[16:17], 3, v[15:16]
	v_add_nc_u32_e32 v15, s2, v15
	v_add_co_u32 v18, vcc_lo, s6, v16
	s_delay_alu instid0(VALU_DEP_3)
	v_add_co_ci_u32_e32 v19, vcc_lo, s7, v17, vcc_lo
	v_add_co_u32 v16, vcc_lo, s8, v16
	v_add_co_ci_u32_e32 v17, vcc_lo, s9, v17, vcc_lo
	global_load_b64 v[18:19], v[18:19], off
	v_min_f64 v[9:10], v[9:10], s[0:1]
	s_waitcnt vmcnt(0)
	s_delay_alu instid0(VALU_DEP_1) | instskip(SKIP_2) | instid1(VALU_DEP_1)
	v_mul_f64 v[18:19], v[18:19], v[9:10]
	global_store_b64 v[16:17], v[18:19], off
	v_mov_b32_e32 v16, v2
	v_lshlrev_b64 v[17:18], 3, v[15:16]
	s_delay_alu instid0(VALU_DEP_1) | instskip(NEXT) | instid1(VALU_DEP_2)
	v_add_co_u32 v19, vcc_lo, s6, v17
	v_add_co_ci_u32_e32 v20, vcc_lo, s7, v18, vcc_lo
	v_add_co_u32 v17, vcc_lo, s8, v17
	v_add_co_ci_u32_e32 v18, vcc_lo, s9, v18, vcc_lo
	global_load_b64 v[19:20], v[19:20], off
	s_waitcnt vmcnt(0)
	v_mul_f64 v[9:10], v[19:20], v[9:10]
	global_store_b64 v[17:18], v[9:10], off
	v_mad_u64_u32 v[9:10], null, s2, -14, v[15:16]
	v_mov_b32_e32 v10, v2
	s_delay_alu instid0(VALU_DEP_1) | instskip(SKIP_1) | instid1(VALU_DEP_1)
	v_lshlrev_b64 v[15:16], 3, v[9:10]
	v_add_nc_u32_e32 v9, s2, v9
	v_lshlrev_b64 v[19:20], 3, v[9:10]
	s_delay_alu instid0(VALU_DEP_3) | instskip(NEXT) | instid1(VALU_DEP_4)
	v_add_co_u32 v15, vcc_lo, s10, v15
	v_add_co_ci_u32_e32 v16, vcc_lo, s11, v16, vcc_lo
	v_add_nc_u32_e32 v9, s3, v9
	s_delay_alu instid0(VALU_DEP_4)
	v_add_co_u32 v19, vcc_lo, s10, v19
	v_add_co_ci_u32_e32 v20, vcc_lo, s11, v20, vcc_lo
	global_load_b64 v[15:16], v[15:16], off
	v_lshlrev_b64 v[9:10], 3, v[9:10]
	global_load_b64 v[25:26], v[19:20], off
	s_waitcnt vmcnt(1)
	v_mul_f64 v[17:18], v[3:4], v[15:16]
	s_waitcnt vmcnt(0)
	v_div_scale_f64 v[19:20], null, v[25:26], v[25:26], 1.0
	s_delay_alu instid0(VALU_DEP_2) | instskip(NEXT) | instid1(VALU_DEP_2)
	v_mul_f64 v[17:18], v[5:6], v[17:18]
	v_rcp_f64_e32 v[23:24], v[19:20]
	s_waitcnt_depctr 0xfff
	v_fma_f64 v[27:28], -v[19:20], v[23:24], 1.0
	s_delay_alu instid0(VALU_DEP_1) | instskip(NEXT) | instid1(VALU_DEP_1)
	v_fma_f64 v[23:24], v[23:24], v[27:28], v[23:24]
	v_fma_f64 v[27:28], -v[19:20], v[23:24], 1.0
	s_delay_alu instid0(VALU_DEP_1) | instskip(SKIP_1) | instid1(VALU_DEP_1)
	v_fma_f64 v[23:24], v[23:24], v[27:28], v[23:24]
	v_div_scale_f64 v[27:28], vcc_lo, 1.0, v[25:26], 1.0
	v_mul_f64 v[29:30], v[27:28], v[23:24]
	s_delay_alu instid0(VALU_DEP_1) | instskip(NEXT) | instid1(VALU_DEP_1)
	v_fma_f64 v[19:20], -v[19:20], v[29:30], v[27:28]
	v_div_fmas_f64 v[19:20], v[19:20], v[23:24], v[29:30]
	s_delay_alu instid0(VALU_DEP_1) | instskip(NEXT) | instid1(VALU_DEP_1)
	v_div_fixup_f64 v[19:20], v[19:20], v[25:26], 1.0
	v_mul_f64 v[17:18], v[19:20], v[17:18]
	v_add_co_u32 v19, vcc_lo, s6, v9
	v_add_co_ci_u32_e32 v20, vcc_lo, s7, v10, vcc_lo
	v_add_co_u32 v9, vcc_lo, s8, v9
	v_add_co_ci_u32_e32 v10, vcc_lo, s9, v10, vcc_lo
	global_load_b64 v[19:20], v[19:20], off
	v_min_f64 v[17:18], v[17:18], s[0:1]
	s_waitcnt vmcnt(0)
	s_delay_alu instid0(VALU_DEP_1) | instskip(SKIP_4) | instid1(VALU_DEP_3)
	v_mul_f64 v[17:18], v[19:20], v[17:18]
	global_store_b64 v[9:10], v[17:18], off
	v_lshlrev_b64 v[9:10], 3, v[1:2]
	v_add_nc_u32_e32 v1, s12, v1
	v_mul_f64 v[17:18], v[7:8], v[15:16]
	v_add_co_u32 v9, vcc_lo, s10, v9
	s_delay_alu instid0(VALU_DEP_4) | instskip(SKIP_3) | instid1(VALU_DEP_1)
	v_add_co_ci_u32_e32 v10, vcc_lo, s11, v10, vcc_lo
	global_load_b64 v[9:10], v[9:10], off
	s_waitcnt vmcnt(0)
	v_mul_f64 v[19:20], v[25:26], v[9:10]
	v_div_scale_f64 v[23:24], null, v[19:20], v[19:20], 1.0
	s_delay_alu instid0(VALU_DEP_1) | instskip(SKIP_2) | instid1(VALU_DEP_1)
	v_rcp_f64_e32 v[27:28], v[23:24]
	s_waitcnt_depctr 0xfff
	v_fma_f64 v[29:30], -v[23:24], v[27:28], 1.0
	v_fma_f64 v[27:28], v[27:28], v[29:30], v[27:28]
	s_delay_alu instid0(VALU_DEP_1) | instskip(NEXT) | instid1(VALU_DEP_1)
	v_fma_f64 v[29:30], -v[23:24], v[27:28], 1.0
	v_fma_f64 v[27:28], v[27:28], v[29:30], v[27:28]
	v_div_scale_f64 v[29:30], vcc_lo, 1.0, v[19:20], 1.0
	s_delay_alu instid0(VALU_DEP_1) | instskip(NEXT) | instid1(VALU_DEP_1)
	v_mul_f64 v[31:32], v[29:30], v[27:28]
	v_fma_f64 v[23:24], -v[23:24], v[31:32], v[29:30]
	s_delay_alu instid0(VALU_DEP_1) | instskip(SKIP_2) | instid1(VALU_DEP_2)
	v_div_fmas_f64 v[23:24], v[23:24], v[27:28], v[31:32]
	v_lshlrev_b64 v[27:28], 3, v[1:2]
	v_add_nc_u32_e32 v1, s5, v1
	v_add_co_u32 v29, vcc_lo, s6, v27
	s_delay_alu instid0(VALU_DEP_3)
	v_add_co_ci_u32_e32 v30, vcc_lo, s7, v28, vcc_lo
	v_add_co_u32 v27, vcc_lo, s8, v27
	v_add_co_ci_u32_e32 v28, vcc_lo, s9, v28, vcc_lo
	global_load_b64 v[29:30], v[29:30], off
	v_add_co_u32 v13, vcc_lo, s10, v13
	v_add_co_ci_u32_e32 v14, vcc_lo, s11, v14, vcc_lo
	global_load_b64 v[13:14], v[13:14], off
	v_div_fixup_f64 v[19:20], v[23:24], v[19:20], 1.0
	s_delay_alu instid0(VALU_DEP_1) | instskip(NEXT) | instid1(VALU_DEP_1)
	v_mul_f64 v[23:24], v[17:18], v[19:20]
	v_min_f64 v[23:24], v[23:24], s[0:1]
	s_waitcnt vmcnt(1)
	s_delay_alu instid0(VALU_DEP_1) | instskip(SKIP_2) | instid1(VALU_DEP_2)
	v_mul_f64 v[23:24], v[29:30], v[23:24]
	v_lshlrev_b64 v[29:30], 3, v[1:2]
	v_add_nc_u32_e32 v1, s3, v1
	v_add_co_u32 v29, vcc_lo, s10, v29
	s_delay_alu instid0(VALU_DEP_3) | instskip(SKIP_4) | instid1(VALU_DEP_1)
	v_add_co_ci_u32_e32 v30, vcc_lo, s11, v30, vcc_lo
	global_load_b64 v[39:40], v[29:30], off
	global_store_b64 v[27:28], v[23:24], off
	s_waitcnt vmcnt(1)
	v_mul_f64 v[27:28], v[15:16], v[13:14]
	v_mul_f64 v[23:24], v[5:6], v[27:28]
	s_waitcnt vmcnt(0)
	v_div_scale_f64 v[29:30], null, v[39:40], v[39:40], 1.0
	s_delay_alu instid0(VALU_DEP_1) | instskip(SKIP_2) | instid1(VALU_DEP_1)
	v_rcp_f64_e32 v[31:32], v[29:30]
	s_waitcnt_depctr 0xfff
	v_fma_f64 v[33:34], -v[29:30], v[31:32], 1.0
	v_fma_f64 v[31:32], v[31:32], v[33:34], v[31:32]
	s_delay_alu instid0(VALU_DEP_1) | instskip(NEXT) | instid1(VALU_DEP_1)
	v_fma_f64 v[33:34], -v[29:30], v[31:32], 1.0
	v_fma_f64 v[31:32], v[31:32], v[33:34], v[31:32]
	v_div_scale_f64 v[33:34], vcc_lo, 1.0, v[39:40], 1.0
	s_delay_alu instid0(VALU_DEP_1) | instskip(NEXT) | instid1(VALU_DEP_1)
	v_mul_f64 v[35:36], v[33:34], v[31:32]
	v_fma_f64 v[29:30], -v[29:30], v[35:36], v[33:34]
	s_delay_alu instid0(VALU_DEP_1) | instskip(NEXT) | instid1(VALU_DEP_1)
	v_div_fmas_f64 v[29:30], v[29:30], v[31:32], v[35:36]
	v_div_fixup_f64 v[33:34], v[29:30], v[39:40], 1.0
	v_lshlrev_b64 v[29:30], 3, v[1:2]
	v_mul_f64 v[39:40], v[9:10], v[39:40]
	s_delay_alu instid0(VALU_DEP_2) | instskip(NEXT) | instid1(VALU_DEP_3)
	v_add_co_u32 v31, vcc_lo, s6, v29
	v_add_co_ci_u32_e32 v32, vcc_lo, s7, v30, vcc_lo
	v_add_co_u32 v29, vcc_lo, s8, v29
	v_add_co_ci_u32_e32 v30, vcc_lo, s9, v30, vcc_lo
	global_load_b64 v[31:32], v[31:32], off
	v_mul_f64 v[23:24], v[33:34], v[23:24]
	s_delay_alu instid0(VALU_DEP_1) | instskip(SKIP_1) | instid1(VALU_DEP_1)
	v_min_f64 v[23:24], v[23:24], s[0:1]
	s_waitcnt vmcnt(0)
	v_mul_f64 v[23:24], v[31:32], v[23:24]
	global_store_b64 v[29:30], v[23:24], off
	v_mad_u64_u32 v[29:30], null, 0xffffffe5, s2, v[1:2]
	v_mov_b32_e32 v30, v2
	s_delay_alu instid0(VALU_DEP_1) | instskip(SKIP_1) | instid1(VALU_DEP_2)
	v_lshlrev_b64 v[0:1], 3, v[29:30]
	v_mul_f64 v[30:31], v[3:4], v[25:26]
	v_add_co_u32 v0, vcc_lo, s10, v0
	s_delay_alu instid0(VALU_DEP_3) | instskip(SKIP_2) | instid1(VALU_DEP_1)
	v_add_co_ci_u32_e32 v1, vcc_lo, s11, v1, vcc_lo
	global_load_b64 v[23:24], v[0:1], off
	v_div_scale_f64 v[35:36], null, v[30:31], v[30:31], 1.0
	v_rcp_f64_e32 v[37:38], v[35:36]
	s_waitcnt_depctr 0xfff
	v_fma_f64 v[41:42], -v[35:36], v[37:38], 1.0
	s_delay_alu instid0(VALU_DEP_1) | instskip(NEXT) | instid1(VALU_DEP_1)
	v_fma_f64 v[37:38], v[37:38], v[41:42], v[37:38]
	v_fma_f64 v[41:42], -v[35:36], v[37:38], 1.0
	s_delay_alu instid0(VALU_DEP_1) | instskip(SKIP_1) | instid1(VALU_DEP_1)
	v_fma_f64 v[37:38], v[37:38], v[41:42], v[37:38]
	v_div_scale_f64 v[41:42], vcc_lo, 1.0, v[30:31], 1.0
	v_mul_f64 v[43:44], v[41:42], v[37:38]
	s_delay_alu instid0(VALU_DEP_1) | instskip(SKIP_2) | instid1(VALU_DEP_2)
	v_fma_f64 v[35:36], -v[35:36], v[43:44], v[41:42]
	s_waitcnt vmcnt(0)
	v_mul_f64 v[0:1], v[15:16], v[23:24]
	v_div_fmas_f64 v[35:36], v[35:36], v[37:38], v[43:44]
	s_delay_alu instid0(VALU_DEP_1) | instskip(NEXT) | instid1(VALU_DEP_1)
	v_div_fixup_f64 v[30:31], v[35:36], v[30:31], 1.0
	v_mul_f64 v[30:31], v[30:31], v[0:1]
	v_add_nc_u32_e32 v1, s12, v29
	s_delay_alu instid0(VALU_DEP_1) | instskip(SKIP_1) | instid1(VALU_DEP_2)
	v_lshlrev_b64 v[35:36], 3, v[1:2]
	v_add_nc_u32_e32 v1, s2, v1
	v_add_co_u32 v37, vcc_lo, s6, v35
	s_delay_alu instid0(VALU_DEP_3)
	v_add_co_ci_u32_e32 v38, vcc_lo, s7, v36, vcc_lo
	global_load_b64 v[37:38], v[37:38], off
	v_min_f64 v[29:30], v[30:31], s[0:1]
	v_add_co_u32 v31, vcc_lo, s8, v35
	v_add_co_ci_u32_e32 v32, vcc_lo, s9, v36, vcc_lo
	s_waitcnt vmcnt(0)
	s_delay_alu instid0(VALU_DEP_3) | instskip(SKIP_3) | instid1(VALU_DEP_1)
	v_mul_f64 v[29:30], v[37:38], v[29:30]
	global_store_b64 v[31:32], v[29:30], off
	v_mul_f64 v[29:30], v[21:22], v[15:16]
	v_mul_f64 v[21:22], v[7:8], v[25:26]
	v_div_scale_f64 v[31:32], null, v[21:22], v[21:22], 1.0
	s_delay_alu instid0(VALU_DEP_1) | instskip(SKIP_2) | instid1(VALU_DEP_1)
	v_rcp_f64_e32 v[35:36], v[31:32]
	s_waitcnt_depctr 0xfff
	v_fma_f64 v[37:38], -v[31:32], v[35:36], 1.0
	v_fma_f64 v[35:36], v[35:36], v[37:38], v[35:36]
	s_delay_alu instid0(VALU_DEP_1) | instskip(NEXT) | instid1(VALU_DEP_1)
	v_fma_f64 v[37:38], -v[31:32], v[35:36], 1.0
	v_fma_f64 v[35:36], v[35:36], v[37:38], v[35:36]
	v_div_scale_f64 v[37:38], vcc_lo, 1.0, v[21:22], 1.0
	s_delay_alu instid0(VALU_DEP_1) | instskip(NEXT) | instid1(VALU_DEP_1)
	v_mul_f64 v[41:42], v[37:38], v[35:36]
	v_fma_f64 v[31:32], -v[31:32], v[41:42], v[37:38]
	s_delay_alu instid0(VALU_DEP_1) | instskip(NEXT) | instid1(VALU_DEP_1)
	v_div_fmas_f64 v[31:32], v[31:32], v[35:36], v[41:42]
	v_div_fixup_f64 v[21:22], v[31:32], v[21:22], 1.0
	v_lshlrev_b64 v[31:32], 3, v[1:2]
	s_delay_alu instid0(VALU_DEP_1) | instskip(NEXT) | instid1(VALU_DEP_2)
	v_add_co_u32 v35, vcc_lo, s6, v31
	v_add_co_ci_u32_e32 v36, vcc_lo, s7, v32, vcc_lo
	v_add_co_u32 v31, vcc_lo, s8, v31
	v_add_co_ci_u32_e32 v32, vcc_lo, s9, v32, vcc_lo
	global_load_b64 v[35:36], v[35:36], off
	v_mul_f64 v[21:22], v[29:30], v[21:22]
	s_delay_alu instid0(VALU_DEP_1) | instskip(SKIP_1) | instid1(VALU_DEP_1)
	v_min_f64 v[21:22], v[21:22], s[0:1]
	s_waitcnt vmcnt(0)
	v_mul_f64 v[21:22], v[21:22], v[35:36]
	global_store_b64 v[31:32], v[21:22], off
	v_mul_f64 v[31:32], v[15:16], v[9:10]
	v_mad_u64_u32 v[21:22], null, 0xffffffe8, s2, v[1:2]
	v_mov_b32_e32 v22, v2
	s_delay_alu instid0(VALU_DEP_1) | instskip(NEXT) | instid1(VALU_DEP_1)
	v_lshlrev_b64 v[0:1], 3, v[21:22]
	v_add_co_u32 v0, vcc_lo, s10, v0
	s_delay_alu instid0(VALU_DEP_2) | instskip(SKIP_2) | instid1(VALU_DEP_1)
	v_add_co_ci_u32_e32 v1, vcc_lo, s11, v1, vcc_lo
	global_load_b64 v[43:44], v[0:1], off
	v_div_scale_f64 v[35:36], null, v[31:32], v[31:32], 1.0
	v_rcp_f64_e32 v[37:38], v[35:36]
	s_waitcnt_depctr 0xfff
	v_fma_f64 v[41:42], -v[35:36], v[37:38], 1.0
	s_delay_alu instid0(VALU_DEP_1) | instskip(NEXT) | instid1(VALU_DEP_1)
	v_fma_f64 v[37:38], v[37:38], v[41:42], v[37:38]
	v_fma_f64 v[41:42], -v[35:36], v[37:38], 1.0
	s_delay_alu instid0(VALU_DEP_1) | instskip(SKIP_1) | instid1(VALU_DEP_1)
	v_fma_f64 v[37:38], v[37:38], v[41:42], v[37:38]
	v_div_scale_f64 v[41:42], vcc_lo, 1.0, v[31:32], 1.0
	v_mul_f64 v[45:46], v[41:42], v[37:38]
	s_delay_alu instid0(VALU_DEP_1) | instskip(SKIP_3) | instid1(VALU_DEP_3)
	v_fma_f64 v[35:36], -v[35:36], v[45:46], v[41:42]
	s_waitcnt vmcnt(0)
	v_mul_f64 v[0:1], v[3:4], v[43:44]
	v_mul_f64 v[25:26], v[25:26], v[43:44]
	v_div_fmas_f64 v[35:36], v[35:36], v[37:38], v[45:46]
	s_delay_alu instid0(VALU_DEP_1) | instskip(SKIP_2) | instid1(VALU_DEP_1)
	v_div_fixup_f64 v[35:36], v[35:36], v[31:32], 1.0
	v_mad_u64_u32 v[31:32], null, s2, 25, v[21:22]
	v_mov_b32_e32 v32, v2
	v_lshlrev_b64 v[21:22], 3, v[31:32]
	v_mad_u64_u32 v[41:42], null, 0xffffffee, s2, v[31:32]
	v_mov_b32_e32 v42, v2
	s_delay_alu instid0(VALU_DEP_3) | instskip(NEXT) | instid1(VALU_DEP_4)
	v_add_co_u32 v37, vcc_lo, s6, v21
	v_add_co_ci_u32_e32 v38, vcc_lo, s7, v22, vcc_lo
	v_add_co_u32 v21, vcc_lo, s8, v21
	v_add_co_ci_u32_e32 v22, vcc_lo, s9, v22, vcc_lo
	global_load_b64 v[37:38], v[37:38], off
	v_mul_f64 v[0:1], v[35:36], v[0:1]
	s_delay_alu instid0(VALU_DEP_1) | instskip(SKIP_1) | instid1(VALU_DEP_1)
	v_min_f64 v[0:1], v[0:1], s[0:1]
	s_waitcnt vmcnt(0)
	v_mul_f64 v[0:1], v[37:38], v[0:1]
	global_store_b64 v[21:22], v[0:1], off
	v_lshlrev_b64 v[21:22], 3, v[41:42]
	v_mul_f64 v[0:1], v[7:8], v[43:44]
	s_delay_alu instid0(VALU_DEP_2) | instskip(NEXT) | instid1(VALU_DEP_3)
	v_add_co_u32 v21, vcc_lo, s10, v21
	v_add_co_ci_u32_e32 v22, vcc_lo, s11, v22, vcc_lo
	global_load_b64 v[37:38], v[21:22], off
	s_waitcnt vmcnt(0)
	v_mul_f64 v[45:46], v[9:10], v[37:38]
	v_mul_f64 v[7:8], v[7:8], v[37:38]
	s_delay_alu instid0(VALU_DEP_2) | instskip(NEXT) | instid1(VALU_DEP_1)
	v_div_scale_f64 v[21:22], null, v[45:46], v[45:46], 1.0
	v_rcp_f64_e32 v[31:32], v[21:22]
	s_waitcnt_depctr 0xfff
	v_fma_f64 v[47:48], -v[21:22], v[31:32], 1.0
	s_delay_alu instid0(VALU_DEP_1) | instskip(NEXT) | instid1(VALU_DEP_1)
	v_fma_f64 v[31:32], v[31:32], v[47:48], v[31:32]
	v_fma_f64 v[47:48], -v[21:22], v[31:32], 1.0
	s_delay_alu instid0(VALU_DEP_1) | instskip(SKIP_1) | instid1(VALU_DEP_1)
	v_fma_f64 v[31:32], v[31:32], v[47:48], v[31:32]
	v_div_scale_f64 v[47:48], vcc_lo, 1.0, v[45:46], 1.0
	v_mul_f64 v[49:50], v[47:48], v[31:32]
	s_delay_alu instid0(VALU_DEP_1) | instskip(NEXT) | instid1(VALU_DEP_1)
	v_fma_f64 v[21:22], -v[21:22], v[49:50], v[47:48]
	v_div_fmas_f64 v[21:22], v[21:22], v[31:32], v[49:50]
	s_delay_alu instid0(VALU_DEP_1) | instskip(NEXT) | instid1(VALU_DEP_1)
	v_div_fixup_f64 v[21:22], v[21:22], v[45:46], 1.0
	v_mul_f64 v[31:32], v[0:1], v[21:22]
	v_add_nc_u32_e32 v1, s4, v41
	s_delay_alu instid0(VALU_DEP_1) | instskip(SKIP_2) | instid1(VALU_DEP_2)
	v_mad_u64_u32 v[49:50], null, 0xffffffe7, s2, v[1:2]
	v_mov_b32_e32 v50, v2
	v_lshlrev_b64 v[41:42], 3, v[1:2]
	v_lshlrev_b64 v[0:1], 3, v[49:50]
	s_delay_alu instid0(VALU_DEP_2) | instskip(NEXT) | instid1(VALU_DEP_3)
	v_add_co_u32 v47, vcc_lo, s6, v41
	v_add_co_ci_u32_e32 v48, vcc_lo, s7, v42, vcc_lo
	v_add_co_u32 v41, vcc_lo, s8, v41
	v_add_co_ci_u32_e32 v42, vcc_lo, s9, v42, vcc_lo
	global_load_b64 v[47:48], v[47:48], off
	v_add_co_u32 v0, vcc_lo, s10, v0
	v_add_co_ci_u32_e32 v1, vcc_lo, s11, v1, vcc_lo
	v_min_f64 v[31:32], v[31:32], s[0:1]
	s_waitcnt vmcnt(0)
	s_delay_alu instid0(VALU_DEP_1)
	v_mul_f64 v[31:32], v[47:48], v[31:32]
	v_mul_f64 v[47:48], v[13:14], v[43:44]
	global_store_b64 v[41:42], v[31:32], off
	global_load_b64 v[31:32], v[0:1], off
	s_waitcnt vmcnt(0)
	v_mul_f64 v[41:42], v[9:10], v[31:32]
	s_delay_alu instid0(VALU_DEP_1) | instskip(NEXT) | instid1(VALU_DEP_1)
	v_div_scale_f64 v[0:1], null, v[41:42], v[41:42], 1.0
	v_rcp_f64_e32 v[50:51], v[0:1]
	s_waitcnt_depctr 0xfff
	v_fma_f64 v[52:53], -v[0:1], v[50:51], 1.0
	s_delay_alu instid0(VALU_DEP_1) | instskip(NEXT) | instid1(VALU_DEP_1)
	v_fma_f64 v[50:51], v[50:51], v[52:53], v[50:51]
	v_fma_f64 v[52:53], -v[0:1], v[50:51], 1.0
	s_delay_alu instid0(VALU_DEP_1) | instskip(SKIP_1) | instid1(VALU_DEP_1)
	v_fma_f64 v[50:51], v[50:51], v[52:53], v[50:51]
	v_div_scale_f64 v[52:53], vcc_lo, 1.0, v[41:42], 1.0
	v_mul_f64 v[54:55], v[52:53], v[50:51]
	s_delay_alu instid0(VALU_DEP_1) | instskip(NEXT) | instid1(VALU_DEP_1)
	v_fma_f64 v[0:1], -v[0:1], v[54:55], v[52:53]
	v_div_fmas_f64 v[0:1], v[0:1], v[50:51], v[54:55]
	s_delay_alu instid0(VALU_DEP_1) | instskip(NEXT) | instid1(VALU_DEP_1)
	v_div_fixup_f64 v[0:1], v[0:1], v[41:42], 1.0
	v_mul_f64 v[0:1], v[47:48], v[0:1]
	v_mad_u64_u32 v[47:48], null, s2, 26, v[49:50]
	v_mov_b32_e32 v48, v2
	s_delay_alu instid0(VALU_DEP_1) | instskip(NEXT) | instid1(VALU_DEP_1)
	v_lshlrev_b64 v[48:49], 3, v[47:48]
	v_add_co_u32 v50, vcc_lo, s6, v48
	s_delay_alu instid0(VALU_DEP_2)
	v_add_co_ci_u32_e32 v51, vcc_lo, s7, v49, vcc_lo
	v_add_co_u32 v48, vcc_lo, s8, v48
	v_add_co_ci_u32_e32 v49, vcc_lo, s9, v49, vcc_lo
	global_load_b64 v[50:51], v[50:51], off
	v_min_f64 v[0:1], v[0:1], s[0:1]
	s_waitcnt vmcnt(0)
	s_delay_alu instid0(VALU_DEP_1) | instskip(SKIP_4) | instid1(VALU_DEP_3)
	v_mul_f64 v[0:1], v[50:51], v[0:1]
	global_store_b64 v[48:49], v[0:1], off
	v_div_scale_f64 v[48:49], null, v[39:40], v[39:40], 1.0
	v_mul_f64 v[0:1], v[11:12], v[43:44]
	v_mul_f64 v[11:12], v[11:12], v[15:16]
	v_rcp_f64_e32 v[50:51], v[48:49]
	s_waitcnt_depctr 0xfff
	v_fma_f64 v[52:53], -v[48:49], v[50:51], 1.0
	s_delay_alu instid0(VALU_DEP_1) | instskip(NEXT) | instid1(VALU_DEP_1)
	v_fma_f64 v[50:51], v[50:51], v[52:53], v[50:51]
	v_fma_f64 v[52:53], -v[48:49], v[50:51], 1.0
	s_delay_alu instid0(VALU_DEP_1) | instskip(SKIP_1) | instid1(VALU_DEP_1)
	v_fma_f64 v[50:51], v[50:51], v[52:53], v[50:51]
	v_div_scale_f64 v[52:53], vcc_lo, 1.0, v[39:40], 1.0
	v_mul_f64 v[54:55], v[52:53], v[50:51]
	s_delay_alu instid0(VALU_DEP_1) | instskip(NEXT) | instid1(VALU_DEP_1)
	v_fma_f64 v[48:49], -v[48:49], v[54:55], v[52:53]
	v_div_fmas_f64 v[48:49], v[48:49], v[50:51], v[54:55]
	s_delay_alu instid0(VALU_DEP_1) | instskip(NEXT) | instid1(VALU_DEP_1)
	v_div_fixup_f64 v[39:40], v[48:49], v[39:40], 1.0
	v_mul_f64 v[39:40], v[39:40], v[0:1]
	v_add_nc_u32_e32 v1, s2, v47
	s_delay_alu instid0(VALU_DEP_1) | instskip(SKIP_1) | instid1(VALU_DEP_2)
	v_lshlrev_b64 v[47:48], 3, v[1:2]
	v_add_nc_u32_e32 v1, s2, v1
	v_add_co_u32 v49, vcc_lo, s6, v47
	s_delay_alu instid0(VALU_DEP_3)
	v_add_co_ci_u32_e32 v50, vcc_lo, s7, v48, vcc_lo
	v_add_co_u32 v47, vcc_lo, s8, v47
	v_add_co_ci_u32_e32 v48, vcc_lo, s9, v48, vcc_lo
	global_load_b64 v[49:50], v[49:50], off
	v_min_f64 v[39:40], v[39:40], s[0:1]
	s_waitcnt vmcnt(0)
	s_delay_alu instid0(VALU_DEP_1) | instskip(SKIP_4) | instid1(VALU_DEP_3)
	v_mul_f64 v[39:40], v[39:40], v[49:50]
	global_store_b64 v[47:48], v[39:40], off
	v_mul_f64 v[47:48], v[3:4], v[37:38]
	v_mul_f64 v[39:40], v[23:24], v[43:44]
	;; [unrolled: 1-line block ×3, first 2 shown]
	v_div_scale_f64 v[49:50], null, v[47:48], v[47:48], 1.0
	s_delay_alu instid0(VALU_DEP_2) | instskip(NEXT) | instid1(VALU_DEP_2)
	v_mul_f64 v[3:4], v[21:22], v[3:4]
	v_rcp_f64_e32 v[51:52], v[49:50]
	s_waitcnt_depctr 0xfff
	v_fma_f64 v[53:54], -v[49:50], v[51:52], 1.0
	s_delay_alu instid0(VALU_DEP_1) | instskip(NEXT) | instid1(VALU_DEP_1)
	v_fma_f64 v[51:52], v[51:52], v[53:54], v[51:52]
	v_fma_f64 v[53:54], -v[49:50], v[51:52], 1.0
	s_delay_alu instid0(VALU_DEP_1) | instskip(SKIP_1) | instid1(VALU_DEP_1)
	v_fma_f64 v[51:52], v[51:52], v[53:54], v[51:52]
	v_div_scale_f64 v[53:54], vcc_lo, 1.0, v[47:48], 1.0
	v_mul_f64 v[55:56], v[53:54], v[51:52]
	s_delay_alu instid0(VALU_DEP_1) | instskip(NEXT) | instid1(VALU_DEP_1)
	v_fma_f64 v[49:50], -v[49:50], v[55:56], v[53:54]
	v_div_fmas_f64 v[49:50], v[49:50], v[51:52], v[55:56]
	s_delay_alu instid0(VALU_DEP_1) | instskip(NEXT) | instid1(VALU_DEP_1)
	v_div_fixup_f64 v[49:50], v[49:50], v[47:48], 1.0
	v_mul_f64 v[39:40], v[39:40], v[49:50]
	v_lshlrev_b64 v[49:50], 3, v[1:2]
	v_add_nc_u32_e32 v1, s5, v1
	s_delay_alu instid0(VALU_DEP_2) | instskip(NEXT) | instid1(VALU_DEP_3)
	v_add_co_u32 v51, vcc_lo, s6, v49
	v_add_co_ci_u32_e32 v52, vcc_lo, s7, v50, vcc_lo
	v_add_co_u32 v49, vcc_lo, s8, v49
	v_add_co_ci_u32_e32 v50, vcc_lo, s9, v50, vcc_lo
	global_load_b64 v[51:52], v[51:52], off
	v_min_f64 v[39:40], v[39:40], s[0:1]
	s_waitcnt vmcnt(0)
	s_delay_alu instid0(VALU_DEP_1) | instskip(SKIP_4) | instid1(VALU_DEP_3)
	v_mul_f64 v[39:40], v[39:40], v[51:52]
	global_store_b64 v[49:50], v[39:40], off
	v_lshlrev_b64 v[49:50], 3, v[1:2]
	v_mul_f64 v[39:40], v[15:16], v[43:44]
	v_add_nc_u32_e32 v1, s3, v1
	v_add_co_u32 v49, vcc_lo, s10, v49
	s_delay_alu instid0(VALU_DEP_4) | instskip(SKIP_4) | instid1(VALU_DEP_1)
	v_add_co_ci_u32_e32 v50, vcc_lo, s11, v50, vcc_lo
	global_load_b64 v[49:50], v[49:50], off
	v_mul_f64 v[39:40], v[5:6], v[39:40]
	s_waitcnt vmcnt(0)
	v_div_scale_f64 v[51:52], null, v[49:50], v[49:50], 1.0
	v_rcp_f64_e32 v[53:54], v[51:52]
	s_waitcnt_depctr 0xfff
	v_fma_f64 v[55:56], -v[51:52], v[53:54], 1.0
	s_delay_alu instid0(VALU_DEP_1) | instskip(NEXT) | instid1(VALU_DEP_1)
	v_fma_f64 v[53:54], v[53:54], v[55:56], v[53:54]
	v_fma_f64 v[55:56], -v[51:52], v[53:54], 1.0
	s_delay_alu instid0(VALU_DEP_1) | instskip(SKIP_1) | instid1(VALU_DEP_1)
	v_fma_f64 v[53:54], v[53:54], v[55:56], v[53:54]
	v_div_scale_f64 v[55:56], vcc_lo, 1.0, v[49:50], 1.0
	v_mul_f64 v[57:58], v[55:56], v[53:54]
	s_delay_alu instid0(VALU_DEP_1) | instskip(NEXT) | instid1(VALU_DEP_1)
	v_fma_f64 v[51:52], -v[51:52], v[57:58], v[55:56]
	v_div_fmas_f64 v[51:52], v[51:52], v[53:54], v[57:58]
	s_delay_alu instid0(VALU_DEP_1) | instskip(NEXT) | instid1(VALU_DEP_1)
	v_div_fixup_f64 v[49:50], v[51:52], v[49:50], 1.0
	v_mul_f64 v[39:40], v[39:40], v[49:50]
	v_lshlrev_b64 v[49:50], 3, v[1:2]
	v_add_nc_u32_e32 v1, s2, v1
	s_delay_alu instid0(VALU_DEP_2) | instskip(NEXT) | instid1(VALU_DEP_3)
	v_add_co_u32 v51, vcc_lo, s6, v49
	v_add_co_ci_u32_e32 v52, vcc_lo, s7, v50, vcc_lo
	v_add_co_u32 v49, vcc_lo, s8, v49
	v_add_co_ci_u32_e32 v50, vcc_lo, s9, v50, vcc_lo
	global_load_b64 v[51:52], v[51:52], off
	v_min_f64 v[39:40], v[39:40], s[0:1]
	s_waitcnt vmcnt(0)
	s_delay_alu instid0(VALU_DEP_1) | instskip(SKIP_3) | instid1(VALU_DEP_2)
	v_mul_f64 v[39:40], v[51:52], v[39:40]
	global_store_b64 v[49:50], v[39:40], off
	v_mul_f64 v[39:40], v[15:16], v[37:38]
	v_div_scale_f64 v[15:16], null, v[11:12], v[11:12], 1.0
	v_div_scale_f64 v[43:44], null, v[39:40], v[39:40], 1.0
	s_delay_alu instid0(VALU_DEP_1) | instskip(SKIP_2) | instid1(VALU_DEP_1)
	v_rcp_f64_e32 v[49:50], v[43:44]
	s_waitcnt_depctr 0xfff
	v_fma_f64 v[51:52], -v[43:44], v[49:50], 1.0
	v_fma_f64 v[49:50], v[49:50], v[51:52], v[49:50]
	s_delay_alu instid0(VALU_DEP_1) | instskip(NEXT) | instid1(VALU_DEP_1)
	v_fma_f64 v[51:52], -v[43:44], v[49:50], 1.0
	v_fma_f64 v[49:50], v[49:50], v[51:52], v[49:50]
	v_div_scale_f64 v[51:52], vcc_lo, 1.0, v[39:40], 1.0
	s_delay_alu instid0(VALU_DEP_1) | instskip(NEXT) | instid1(VALU_DEP_1)
	v_mul_f64 v[53:54], v[51:52], v[49:50]
	v_fma_f64 v[43:44], -v[43:44], v[53:54], v[51:52]
	s_delay_alu instid0(VALU_DEP_1) | instskip(NEXT) | instid1(VALU_DEP_1)
	v_div_fmas_f64 v[43:44], v[43:44], v[49:50], v[53:54]
	v_div_fixup_f64 v[39:40], v[43:44], v[39:40], 1.0
	s_delay_alu instid0(VALU_DEP_1) | instskip(SKIP_2) | instid1(VALU_DEP_2)
	v_mul_f64 v[25:26], v[25:26], v[39:40]
	v_lshlrev_b64 v[39:40], 3, v[1:2]
	v_add_nc_u32_e32 v1, s2, v1
	v_add_co_u32 v43, vcc_lo, s6, v39
	s_delay_alu instid0(VALU_DEP_3)
	v_add_co_ci_u32_e32 v44, vcc_lo, s7, v40, vcc_lo
	v_add_co_u32 v39, vcc_lo, s8, v39
	v_add_co_ci_u32_e32 v40, vcc_lo, s9, v40, vcc_lo
	global_load_b64 v[43:44], v[43:44], off
	v_min_f64 v[25:26], v[25:26], s[0:1]
	s_waitcnt vmcnt(0)
	s_delay_alu instid0(VALU_DEP_1) | instskip(SKIP_2) | instid1(VALU_DEP_1)
	v_mul_f64 v[25:26], v[25:26], v[43:44]
	global_store_b64 v[39:40], v[25:26], off
	v_mul_f64 v[25:26], v[5:6], v[45:46]
	v_mul_f64 v[25:26], v[33:34], v[25:26]
	v_lshlrev_b64 v[33:34], 3, v[1:2]
	v_add_nc_u32_e32 v1, s2, v1
	s_delay_alu instid0(VALU_DEP_2) | instskip(NEXT) | instid1(VALU_DEP_3)
	v_add_co_u32 v39, vcc_lo, s6, v33
	v_add_co_ci_u32_e32 v40, vcc_lo, s7, v34, vcc_lo
	v_add_co_u32 v33, vcc_lo, s8, v33
	v_add_co_ci_u32_e32 v34, vcc_lo, s9, v34, vcc_lo
	global_load_b64 v[39:40], v[39:40], off
	v_min_f64 v[25:26], v[25:26], s[0:1]
	s_waitcnt vmcnt(0)
	s_delay_alu instid0(VALU_DEP_1) | instskip(SKIP_2) | instid1(VALU_DEP_1)
	v_mul_f64 v[25:26], v[25:26], v[39:40]
	global_store_b64 v[33:34], v[25:26], off
	v_div_scale_f64 v[25:26], null, v[27:28], v[27:28], 1.0
	v_rcp_f64_e32 v[33:34], v[25:26]
	s_waitcnt_depctr 0xfff
	v_fma_f64 v[39:40], -v[25:26], v[33:34], 1.0
	s_delay_alu instid0(VALU_DEP_1) | instskip(NEXT) | instid1(VALU_DEP_1)
	v_fma_f64 v[33:34], v[33:34], v[39:40], v[33:34]
	v_fma_f64 v[39:40], -v[25:26], v[33:34], 1.0
	s_delay_alu instid0(VALU_DEP_1) | instskip(SKIP_1) | instid1(VALU_DEP_1)
	v_fma_f64 v[33:34], v[33:34], v[39:40], v[33:34]
	v_div_scale_f64 v[39:40], vcc_lo, 1.0, v[27:28], 1.0
	v_mul_f64 v[43:44], v[39:40], v[33:34]
	s_delay_alu instid0(VALU_DEP_1) | instskip(NEXT) | instid1(VALU_DEP_1)
	v_fma_f64 v[25:26], -v[25:26], v[43:44], v[39:40]
	v_div_fmas_f64 v[25:26], v[25:26], v[33:34], v[43:44]
	s_delay_alu instid0(VALU_DEP_1) | instskip(SKIP_2) | instid1(VALU_DEP_2)
	v_div_fixup_f64 v[25:26], v[25:26], v[27:28], 1.0
	v_lshlrev_b64 v[27:28], 3, v[1:2]
	v_add_nc_u32_e32 v1, s2, v1
	v_add_co_u32 v33, vcc_lo, s6, v27
	s_delay_alu instid0(VALU_DEP_3) | instskip(SKIP_4) | instid1(VALU_DEP_1)
	v_add_co_ci_u32_e32 v34, vcc_lo, s7, v28, vcc_lo
	v_add_co_u32 v27, vcc_lo, s8, v27
	v_add_co_ci_u32_e32 v28, vcc_lo, s9, v28, vcc_lo
	global_load_b64 v[33:34], v[33:34], off
	v_mul_f64 v[25:26], v[25:26], v[45:46]
	v_min_f64 v[25:26], v[25:26], s[0:1]
	s_waitcnt vmcnt(0)
	s_delay_alu instid0(VALU_DEP_1) | instskip(SKIP_2) | instid1(VALU_DEP_1)
	v_mul_f64 v[25:26], v[25:26], v[33:34]
	global_store_b64 v[27:28], v[25:26], off
	v_div_scale_f64 v[25:26], null, v[17:18], v[17:18], 1.0
	v_rcp_f64_e32 v[27:28], v[25:26]
	s_waitcnt_depctr 0xfff
	v_fma_f64 v[33:34], -v[25:26], v[27:28], 1.0
	s_delay_alu instid0(VALU_DEP_1) | instskip(NEXT) | instid1(VALU_DEP_1)
	v_fma_f64 v[27:28], v[27:28], v[33:34], v[27:28]
	v_fma_f64 v[33:34], -v[25:26], v[27:28], 1.0
	s_delay_alu instid0(VALU_DEP_1) | instskip(SKIP_1) | instid1(VALU_DEP_1)
	v_fma_f64 v[27:28], v[27:28], v[33:34], v[27:28]
	v_div_scale_f64 v[33:34], vcc_lo, 1.0, v[17:18], 1.0
	v_mul_f64 v[39:40], v[33:34], v[27:28]
	s_delay_alu instid0(VALU_DEP_1) | instskip(NEXT) | instid1(VALU_DEP_1)
	v_fma_f64 v[25:26], -v[25:26], v[39:40], v[33:34]
	v_div_fmas_f64 v[25:26], v[25:26], v[27:28], v[39:40]
	s_delay_alu instid0(VALU_DEP_1) | instskip(SKIP_2) | instid1(VALU_DEP_2)
	v_div_fixup_f64 v[17:18], v[25:26], v[17:18], 1.0
	v_lshlrev_b64 v[25:26], 3, v[1:2]
	v_add_nc_u32_e32 v1, s2, v1
	v_add_co_u32 v27, vcc_lo, s6, v25
	s_delay_alu instid0(VALU_DEP_3) | instskip(SKIP_4) | instid1(VALU_DEP_1)
	v_add_co_ci_u32_e32 v28, vcc_lo, s7, v26, vcc_lo
	v_add_co_u32 v25, vcc_lo, s8, v25
	v_add_co_ci_u32_e32 v26, vcc_lo, s9, v26, vcc_lo
	global_load_b64 v[27:28], v[27:28], off
	v_mul_f64 v[17:18], v[17:18], v[47:48]
	v_min_f64 v[17:18], v[17:18], s[0:1]
	s_waitcnt vmcnt(0)
	s_delay_alu instid0(VALU_DEP_1) | instskip(SKIP_4) | instid1(VALU_DEP_2)
	v_mul_f64 v[17:18], v[17:18], v[27:28]
	global_store_b64 v[25:26], v[17:18], off
	v_mul_f64 v[17:18], v[19:20], v[47:48]
	v_lshlrev_b64 v[19:20], 3, v[1:2]
	v_add_nc_u32_e32 v1, s2, v1
	v_add_co_u32 v25, vcc_lo, s6, v19
	s_delay_alu instid0(VALU_DEP_3)
	v_add_co_ci_u32_e32 v26, vcc_lo, s7, v20, vcc_lo
	v_add_co_u32 v19, vcc_lo, s8, v19
	v_add_co_ci_u32_e32 v20, vcc_lo, s9, v20, vcc_lo
	global_load_b64 v[25:26], v[25:26], off
	v_min_f64 v[17:18], v[17:18], s[0:1]
	s_waitcnt vmcnt(0)
	s_delay_alu instid0(VALU_DEP_1) | instskip(SKIP_4) | instid1(VALU_DEP_1)
	v_mul_f64 v[17:18], v[17:18], v[25:26]
	global_store_b64 v[19:20], v[17:18], off
	v_rcp_f64_e32 v[17:18], v[15:16]
	s_waitcnt_depctr 0xfff
	v_fma_f64 v[19:20], -v[15:16], v[17:18], 1.0
	v_fma_f64 v[17:18], v[17:18], v[19:20], v[17:18]
	s_delay_alu instid0(VALU_DEP_1) | instskip(NEXT) | instid1(VALU_DEP_1)
	v_fma_f64 v[19:20], -v[15:16], v[17:18], 1.0
	v_fma_f64 v[17:18], v[17:18], v[19:20], v[17:18]
	v_div_scale_f64 v[19:20], vcc_lo, 1.0, v[11:12], 1.0
	s_delay_alu instid0(VALU_DEP_1) | instskip(NEXT) | instid1(VALU_DEP_1)
	v_mul_f64 v[25:26], v[19:20], v[17:18]
	v_fma_f64 v[15:16], -v[15:16], v[25:26], v[19:20]
	s_delay_alu instid0(VALU_DEP_1) | instskip(NEXT) | instid1(VALU_DEP_1)
	v_div_fmas_f64 v[15:16], v[15:16], v[17:18], v[25:26]
	v_div_fixup_f64 v[11:12], v[15:16], v[11:12], 1.0
	s_delay_alu instid0(VALU_DEP_1) | instskip(SKIP_2) | instid1(VALU_DEP_2)
	v_mul_f64 v[7:8], v[11:12], v[7:8]
	v_lshlrev_b64 v[11:12], 3, v[1:2]
	v_add_nc_u32_e32 v1, s2, v1
	v_add_co_u32 v15, vcc_lo, s6, v11
	s_delay_alu instid0(VALU_DEP_3)
	v_add_co_ci_u32_e32 v16, vcc_lo, s7, v12, vcc_lo
	v_add_co_u32 v11, vcc_lo, s8, v11
	v_add_co_ci_u32_e32 v12, vcc_lo, s9, v12, vcc_lo
	global_load_b64 v[15:16], v[15:16], off
	v_min_f64 v[7:8], v[7:8], s[0:1]
	s_waitcnt vmcnt(0)
	s_delay_alu instid0(VALU_DEP_1)
	v_mul_f64 v[7:8], v[7:8], v[15:16]
	global_store_b64 v[11:12], v[7:8], off
	v_lshlrev_b64 v[11:12], 3, v[1:2]
	v_mul_f64 v[7:8], v[5:6], v[37:38]
	v_add_nc_u32_e32 v1, s2, v1
	v_mul_f64 v[5:6], v[5:6], v[41:42]
	s_delay_alu instid0(VALU_DEP_4)
	v_add_co_u32 v15, vcc_lo, s6, v11
	v_add_co_ci_u32_e32 v16, vcc_lo, s7, v12, vcc_lo
	v_add_co_u32 v11, vcc_lo, s8, v11
	v_add_co_ci_u32_e32 v12, vcc_lo, s9, v12, vcc_lo
	global_load_b64 v[15:16], v[15:16], off
	v_mul_f64 v[7:8], v[35:36], v[7:8]
	s_delay_alu instid0(VALU_DEP_1) | instskip(SKIP_1) | instid1(VALU_DEP_1)
	v_min_f64 v[7:8], v[7:8], s[0:1]
	s_waitcnt vmcnt(0)
	v_mul_f64 v[7:8], v[7:8], v[15:16]
	global_store_b64 v[11:12], v[7:8], off
	v_div_scale_f64 v[11:12], null, v[29:30], v[29:30], 1.0
	v_mul_f64 v[7:8], v[23:24], v[37:38]
	s_delay_alu instid0(VALU_DEP_2) | instskip(SKIP_2) | instid1(VALU_DEP_1)
	v_rcp_f64_e32 v[15:16], v[11:12]
	s_waitcnt_depctr 0xfff
	v_fma_f64 v[17:18], -v[11:12], v[15:16], 1.0
	v_fma_f64 v[15:16], v[15:16], v[17:18], v[15:16]
	s_delay_alu instid0(VALU_DEP_1) | instskip(NEXT) | instid1(VALU_DEP_1)
	v_fma_f64 v[17:18], -v[11:12], v[15:16], 1.0
	v_fma_f64 v[15:16], v[15:16], v[17:18], v[15:16]
	v_div_scale_f64 v[17:18], vcc_lo, 1.0, v[29:30], 1.0
	s_delay_alu instid0(VALU_DEP_1) | instskip(NEXT) | instid1(VALU_DEP_1)
	v_mul_f64 v[19:20], v[17:18], v[15:16]
	v_fma_f64 v[11:12], -v[11:12], v[19:20], v[17:18]
	s_delay_alu instid0(VALU_DEP_1) | instskip(NEXT) | instid1(VALU_DEP_1)
	v_div_fmas_f64 v[11:12], v[11:12], v[15:16], v[19:20]
	v_div_fixup_f64 v[11:12], v[11:12], v[29:30], 1.0
	s_delay_alu instid0(VALU_DEP_1) | instskip(SKIP_1) | instid1(VALU_DEP_1)
	v_mul_f64 v[7:8], v[11:12], v[7:8]
	v_lshlrev_b64 v[11:12], 3, v[1:2]
	v_add_co_u32 v15, vcc_lo, s6, v11
	s_delay_alu instid0(VALU_DEP_2)
	v_add_co_ci_u32_e32 v16, vcc_lo, s7, v12, vcc_lo
	v_add_co_u32 v11, vcc_lo, s8, v11
	v_add_co_ci_u32_e32 v12, vcc_lo, s9, v12, vcc_lo
	global_load_b64 v[15:16], v[15:16], off
	v_min_f64 v[7:8], v[7:8], s[0:1]
	s_waitcnt vmcnt(0)
	s_delay_alu instid0(VALU_DEP_1) | instskip(SKIP_3) | instid1(VALU_DEP_1)
	v_mul_f64 v[7:8], v[7:8], v[15:16]
	global_store_b64 v[11:12], v[7:8], off
	v_mad_u64_u32 v[7:8], null, 0xffffffdd, s2, v[1:2]
	v_mov_b32_e32 v8, v2
	v_lshlrev_b64 v[0:1], 3, v[7:8]
	s_delay_alu instid0(VALU_DEP_1) | instskip(NEXT) | instid1(VALU_DEP_2)
	v_add_co_u32 v0, vcc_lo, s10, v0
	v_add_co_ci_u32_e32 v1, vcc_lo, s11, v1, vcc_lo
	global_load_b64 v[0:1], v[0:1], off
	s_waitcnt vmcnt(0)
	v_div_scale_f64 v[11:12], null, v[0:1], v[0:1], 1.0
	s_delay_alu instid0(VALU_DEP_1) | instskip(SKIP_2) | instid1(VALU_DEP_1)
	v_rcp_f64_e32 v[15:16], v[11:12]
	s_waitcnt_depctr 0xfff
	v_fma_f64 v[17:18], -v[11:12], v[15:16], 1.0
	v_fma_f64 v[15:16], v[15:16], v[17:18], v[15:16]
	s_delay_alu instid0(VALU_DEP_1) | instskip(NEXT) | instid1(VALU_DEP_1)
	v_fma_f64 v[17:18], -v[11:12], v[15:16], 1.0
	v_fma_f64 v[15:16], v[15:16], v[17:18], v[15:16]
	v_div_scale_f64 v[17:18], vcc_lo, 1.0, v[0:1], 1.0
	s_delay_alu instid0(VALU_DEP_1) | instskip(NEXT) | instid1(VALU_DEP_1)
	v_mul_f64 v[19:20], v[17:18], v[15:16]
	v_fma_f64 v[11:12], -v[11:12], v[19:20], v[17:18]
	s_delay_alu instid0(VALU_DEP_1) | instskip(NEXT) | instid1(VALU_DEP_1)
	v_div_fmas_f64 v[11:12], v[11:12], v[15:16], v[19:20]
	v_div_fixup_f64 v[11:12], v[11:12], v[0:1], 1.0
	v_mul_f64 v[0:1], v[9:10], v[0:1]
	s_delay_alu instid0(VALU_DEP_2) | instskip(SKIP_2) | instid1(VALU_DEP_1)
	v_mul_f64 v[5:6], v[5:6], v[11:12]
	v_mad_u64_u32 v[11:12], null, s2, 36, v[7:8]
	v_mov_b32_e32 v12, v2
	v_lshlrev_b64 v[7:8], 3, v[11:12]
	s_delay_alu instid0(VALU_DEP_1) | instskip(NEXT) | instid1(VALU_DEP_2)
	v_add_co_u32 v15, vcc_lo, s6, v7
	v_add_co_ci_u32_e32 v16, vcc_lo, s7, v8, vcc_lo
	v_add_co_u32 v7, vcc_lo, s8, v7
	v_add_co_ci_u32_e32 v8, vcc_lo, s9, v8, vcc_lo
	global_load_b64 v[15:16], v[15:16], off
	v_min_f64 v[5:6], v[5:6], s[0:1]
	s_waitcnt vmcnt(0)
	s_delay_alu instid0(VALU_DEP_1) | instskip(SKIP_3) | instid1(VALU_DEP_2)
	v_mul_f64 v[5:6], v[15:16], v[5:6]
	global_store_b64 v[7:8], v[5:6], off
	v_div_scale_f64 v[7:8], null, v[0:1], v[0:1], 1.0
	v_mul_f64 v[5:6], v[13:14], v[31:32]
	v_rcp_f64_e32 v[9:10], v[7:8]
	s_waitcnt_depctr 0xfff
	v_fma_f64 v[12:13], -v[7:8], v[9:10], 1.0
	s_delay_alu instid0(VALU_DEP_1) | instskip(NEXT) | instid1(VALU_DEP_1)
	v_fma_f64 v[9:10], v[9:10], v[12:13], v[9:10]
	v_fma_f64 v[12:13], -v[7:8], v[9:10], 1.0
	s_delay_alu instid0(VALU_DEP_1) | instskip(SKIP_1) | instid1(VALU_DEP_1)
	v_fma_f64 v[9:10], v[9:10], v[12:13], v[9:10]
	v_div_scale_f64 v[12:13], vcc_lo, 1.0, v[0:1], 1.0
	v_mul_f64 v[14:15], v[12:13], v[9:10]
	s_delay_alu instid0(VALU_DEP_1) | instskip(NEXT) | instid1(VALU_DEP_1)
	v_fma_f64 v[7:8], -v[7:8], v[14:15], v[12:13]
	v_div_fmas_f64 v[7:8], v[7:8], v[9:10], v[14:15]
	s_delay_alu instid0(VALU_DEP_1) | instskip(NEXT) | instid1(VALU_DEP_1)
	v_div_fixup_f64 v[0:1], v[7:8], v[0:1], 1.0
	v_mul_f64 v[5:6], v[5:6], v[0:1]
	v_add_nc_u32_e32 v1, s2, v11
	s_delay_alu instid0(VALU_DEP_1) | instskip(SKIP_1) | instid1(VALU_DEP_2)
	v_lshlrev_b64 v[7:8], 3, v[1:2]
	v_add_nc_u32_e32 v1, s2, v1
	v_add_co_u32 v9, vcc_lo, s6, v7
	s_delay_alu instid0(VALU_DEP_3) | instskip(SKIP_1) | instid1(VALU_DEP_4)
	v_add_co_ci_u32_e32 v10, vcc_lo, s7, v8, vcc_lo
	v_add_co_u32 v7, vcc_lo, s8, v7
	v_lshlrev_b64 v[0:1], 3, v[1:2]
	global_load_b64 v[9:10], v[9:10], off
	v_add_co_ci_u32_e32 v8, vcc_lo, s9, v8, vcc_lo
	v_min_f64 v[2:3], v[3:4], s[0:1]
	v_min_f64 v[5:6], v[5:6], s[0:1]
	s_waitcnt vmcnt(0)
	s_delay_alu instid0(VALU_DEP_1)
	v_mul_f64 v[5:6], v[9:10], v[5:6]
	global_store_b64 v[7:8], v[5:6], off
	v_add_co_u32 v5, vcc_lo, s6, v0
	v_add_co_ci_u32_e32 v6, vcc_lo, s7, v1, vcc_lo
	v_add_co_u32 v0, vcc_lo, s8, v0
	v_add_co_ci_u32_e32 v1, vcc_lo, s9, v1, vcc_lo
	global_load_b64 v[5:6], v[5:6], off
	s_waitcnt vmcnt(0)
	v_mul_f64 v[2:3], v[2:3], v[5:6]
	global_store_b64 v[0:1], v[2:3], off
	s_nop 0
	s_sendmsg sendmsg(MSG_DEALLOC_VGPRS)
	s_endpgm
	.section	.rodata,"a",@progbits
	.p2align	6, 0x0
	.amdhsa_kernel _Z12ratt3_kernelIdEvPKT_S2_PS0_S2_S0_
		.amdhsa_group_segment_fixed_size 0
		.amdhsa_private_segment_fixed_size 0
		.amdhsa_kernarg_size 296
		.amdhsa_user_sgpr_count 15
		.amdhsa_user_sgpr_dispatch_ptr 0
		.amdhsa_user_sgpr_queue_ptr 0
		.amdhsa_user_sgpr_kernarg_segment_ptr 1
		.amdhsa_user_sgpr_dispatch_id 0
		.amdhsa_user_sgpr_private_segment_size 0
		.amdhsa_wavefront_size32 1
		.amdhsa_uses_dynamic_stack 0
		.amdhsa_enable_private_segment 0
		.amdhsa_system_sgpr_workgroup_id_x 1
		.amdhsa_system_sgpr_workgroup_id_y 0
		.amdhsa_system_sgpr_workgroup_id_z 0
		.amdhsa_system_sgpr_workgroup_info 0
		.amdhsa_system_vgpr_workitem_id 0
		.amdhsa_next_free_vgpr 59
		.amdhsa_next_free_sgpr 16
		.amdhsa_reserve_vcc 1
		.amdhsa_float_round_mode_32 0
		.amdhsa_float_round_mode_16_64 0
		.amdhsa_float_denorm_mode_32 3
		.amdhsa_float_denorm_mode_16_64 3
		.amdhsa_dx10_clamp 1
		.amdhsa_ieee_mode 1
		.amdhsa_fp16_overflow 0
		.amdhsa_workgroup_processor_mode 1
		.amdhsa_memory_ordered 1
		.amdhsa_forward_progress 0
		.amdhsa_shared_vgpr_count 0
		.amdhsa_exception_fp_ieee_invalid_op 0
		.amdhsa_exception_fp_denorm_src 0
		.amdhsa_exception_fp_ieee_div_zero 0
		.amdhsa_exception_fp_ieee_overflow 0
		.amdhsa_exception_fp_ieee_underflow 0
		.amdhsa_exception_fp_ieee_inexact 0
		.amdhsa_exception_int_div_zero 0
	.end_amdhsa_kernel
	.section	.text._Z12ratt3_kernelIdEvPKT_S2_PS0_S2_S0_,"axG",@progbits,_Z12ratt3_kernelIdEvPKT_S2_PS0_S2_S0_,comdat
.Lfunc_end31:
	.size	_Z12ratt3_kernelIdEvPKT_S2_PS0_S2_S0_, .Lfunc_end31-_Z12ratt3_kernelIdEvPKT_S2_PS0_S2_S0_
                                        ; -- End function
	.section	.AMDGPU.csdata,"",@progbits
; Kernel info:
; codeLenInByte = 5676
; NumSgprs: 18
; NumVgprs: 59
; ScratchSize: 0
; MemoryBound: 0
; FloatMode: 240
; IeeeMode: 1
; LDSByteSize: 0 bytes/workgroup (compile time only)
; SGPRBlocks: 2
; VGPRBlocks: 7
; NumSGPRsForWavesPerEU: 18
; NumVGPRsForWavesPerEU: 59
; Occupancy: 16
; WaveLimiterHint : 0
; COMPUTE_PGM_RSRC2:SCRATCH_EN: 0
; COMPUTE_PGM_RSRC2:USER_SGPR: 15
; COMPUTE_PGM_RSRC2:TRAP_HANDLER: 0
; COMPUTE_PGM_RSRC2:TGID_X_EN: 1
; COMPUTE_PGM_RSRC2:TGID_Y_EN: 0
; COMPUTE_PGM_RSRC2:TGID_Z_EN: 0
; COMPUTE_PGM_RSRC2:TIDIG_COMP_CNT: 0
	.section	.text._Z12ratt4_kernelIdEvPKT_S2_PS0_S2_S0_,"axG",@progbits,_Z12ratt4_kernelIdEvPKT_S2_PS0_S2_S0_,comdat
	.protected	_Z12ratt4_kernelIdEvPKT_S2_PS0_S2_S0_ ; -- Begin function _Z12ratt4_kernelIdEvPKT_S2_PS0_S2_S0_
	.globl	_Z12ratt4_kernelIdEvPKT_S2_PS0_S2_S0_
	.p2align	8
	.type	_Z12ratt4_kernelIdEvPKT_S2_PS0_S2_S0_,@function
_Z12ratt4_kernelIdEvPKT_S2_PS0_S2_S0_:  ; @_Z12ratt4_kernelIdEvPKT_S2_PS0_S2_S0_
; %bb.0:
	s_clause 0x3
	s_load_b256 s[4:11], s[0:1], 0x0
	s_load_b64 s[2:3], s[0:1], 0x20
	s_load_b32 s12, s[0:1], 0x28
	s_load_b32 s0, s[0:1], 0x34
	s_waitcnt lgkmcnt(0)
	s_and_b32 s13, s0, 0xffff
	s_brev_b32 s0, 12
	v_mad_u64_u32 v[1:2], null, s15, s13, v[0:1]
	v_mov_b32_e32 v2, 0
	s_mov_b32 s1, 0x4193d2c6
	s_delay_alu instid0(VALU_DEP_1) | instskip(NEXT) | instid1(VALU_DEP_1)
	v_lshlrev_b64 v[31:32], 3, v[1:2]
	v_add_co_u32 v3, vcc_lo, s4, v31
	s_delay_alu instid0(VALU_DEP_2) | instskip(SKIP_4) | instid1(SALU_CYCLE_1)
	v_add_co_ci_u32_e32 v4, vcc_lo, s5, v32, vcc_lo
	global_load_b64 v[3:4], v[3:4], off
	s_waitcnt vmcnt(0)
	v_mul_f64 v[3:4], v[3:4], s[2:3]
	s_mul_i32 s2, s12, s13
	s_mul_i32 s4, s2, 3
	;; [unrolled: 1-line block ×3, first 2 shown]
	s_delay_alu instid0(VALU_DEP_1) | instskip(SKIP_2) | instid1(VALU_DEP_1)
	v_mul_f64 v[3:4], v[3:4], s[0:1]
	s_mov_b32 s0, 0x4357691b
	s_mov_b32 s1, 0x479e17b8
	v_div_scale_f64 v[5:6], null, v[3:4], v[3:4], 1.0
	s_delay_alu instid0(VALU_DEP_1) | instskip(SKIP_2) | instid1(VALU_DEP_1)
	v_rcp_f64_e32 v[7:8], v[5:6]
	s_waitcnt_depctr 0xfff
	v_fma_f64 v[9:10], -v[5:6], v[7:8], 1.0
	v_fma_f64 v[7:8], v[7:8], v[9:10], v[7:8]
	s_delay_alu instid0(VALU_DEP_1) | instskip(NEXT) | instid1(VALU_DEP_1)
	v_fma_f64 v[9:10], -v[5:6], v[7:8], 1.0
	v_fma_f64 v[7:8], v[7:8], v[9:10], v[7:8]
	v_div_scale_f64 v[9:10], vcc_lo, 1.0, v[3:4], 1.0
	s_delay_alu instid0(VALU_DEP_1) | instskip(NEXT) | instid1(VALU_DEP_1)
	v_mul_f64 v[11:12], v[9:10], v[7:8]
	v_fma_f64 v[5:6], -v[5:6], v[11:12], v[9:10]
	s_delay_alu instid0(VALU_DEP_1) | instskip(NEXT) | instid1(VALU_DEP_1)
	v_div_fmas_f64 v[5:6], v[5:6], v[7:8], v[11:12]
	v_div_fixup_f64 v[3:4], v[5:6], v[3:4], 1.0
	v_dual_mov_b32 v6, v2 :: v_dual_add_nc_u32 v5, s4, v1
	v_add_nc_u32_e32 v1, s2, v1
	s_delay_alu instid0(VALU_DEP_2) | instskip(SKIP_3) | instid1(VALU_DEP_3)
	v_mad_u64_u32 v[9:10], null, s2, 6, v[5:6]
	v_mov_b32_e32 v10, v2
	v_mul_f64 v[7:8], 0x412eec04, v[3:4]
	v_lshlrev_b64 v[3:4], 3, v[5:6]
	v_lshlrev_b64 v[5:6], 3, v[9:10]
	s_delay_alu instid0(VALU_DEP_2) | instskip(NEXT) | instid1(VALU_DEP_3)
	v_add_co_u32 v3, vcc_lo, s10, v3
	v_add_co_ci_u32_e32 v4, vcc_lo, s11, v4, vcc_lo
	s_delay_alu instid0(VALU_DEP_3) | instskip(NEXT) | instid1(VALU_DEP_4)
	v_add_co_u32 v5, vcc_lo, s10, v5
	v_add_co_ci_u32_e32 v6, vcc_lo, s11, v6, vcc_lo
	s_clause 0x1
	global_load_b64 v[3:4], v[3:4], off
	global_load_b64 v[33:34], v[5:6], off
	v_mad_u64_u32 v[5:6], null, s2, -5, v[9:10]
	v_mov_b32_e32 v6, v2
	s_delay_alu instid0(VALU_DEP_1) | instskip(SKIP_2) | instid1(VALU_DEP_2)
	v_mad_u64_u32 v[13:14], null, s2, 11, v[5:6]
	v_mov_b32_e32 v14, v2
	v_lshlrev_b64 v[9:10], 3, v[5:6]
	v_lshlrev_b64 v[5:6], 3, v[13:14]
	s_delay_alu instid0(VALU_DEP_2) | instskip(NEXT) | instid1(VALU_DEP_3)
	v_add_co_u32 v9, vcc_lo, s10, v9
	v_add_co_ci_u32_e32 v10, vcc_lo, s11, v10, vcc_lo
	s_delay_alu instid0(VALU_DEP_3) | instskip(NEXT) | instid1(VALU_DEP_4)
	v_add_co_u32 v5, vcc_lo, s10, v5
	v_add_co_ci_u32_e32 v6, vcc_lo, s11, v6, vcc_lo
	s_clause 0x1
	global_load_b64 v[21:22], v[9:10], off
	global_load_b64 v[5:6], v[5:6], off
	s_waitcnt vmcnt(2)
	v_mul_f64 v[11:12], v[3:4], v[33:34]
	s_waitcnt vmcnt(0)
	v_mul_f64 v[9:10], v[21:22], v[5:6]
	s_delay_alu instid0(VALU_DEP_1) | instskip(NEXT) | instid1(VALU_DEP_1)
	v_div_scale_f64 v[14:15], null, v[9:10], v[9:10], 1.0
	v_rcp_f64_e32 v[16:17], v[14:15]
	s_waitcnt_depctr 0xfff
	v_fma_f64 v[18:19], -v[14:15], v[16:17], 1.0
	s_delay_alu instid0(VALU_DEP_1) | instskip(NEXT) | instid1(VALU_DEP_1)
	v_fma_f64 v[16:17], v[16:17], v[18:19], v[16:17]
	v_fma_f64 v[18:19], -v[14:15], v[16:17], 1.0
	s_delay_alu instid0(VALU_DEP_1) | instskip(SKIP_1) | instid1(VALU_DEP_1)
	v_fma_f64 v[16:17], v[16:17], v[18:19], v[16:17]
	v_div_scale_f64 v[18:19], vcc_lo, 1.0, v[9:10], 1.0
	v_mul_f64 v[23:24], v[18:19], v[16:17]
	s_delay_alu instid0(VALU_DEP_1) | instskip(NEXT) | instid1(VALU_DEP_1)
	v_fma_f64 v[14:15], -v[14:15], v[23:24], v[18:19]
	v_div_fmas_f64 v[14:15], v[14:15], v[16:17], v[23:24]
	s_delay_alu instid0(VALU_DEP_1) | instskip(NEXT) | instid1(VALU_DEP_1)
	v_div_fixup_f64 v[9:10], v[14:15], v[9:10], 1.0
	v_mul_f64 v[14:15], v[11:12], v[9:10]
	s_delay_alu instid0(VALU_DEP_1) | instskip(SKIP_1) | instid1(VALU_DEP_3)
	v_mad_u64_u32 v[16:17], null, s2, 35, v[13:14]
	v_mov_b32_e32 v17, v2
	v_min_f64 v[13:14], v[14:15], s[0:1]
	s_delay_alu instid0(VALU_DEP_2) | instskip(NEXT) | instid1(VALU_DEP_1)
	v_lshlrev_b64 v[16:17], 3, v[16:17]
	v_add_co_u32 v18, vcc_lo, s6, v16
	s_delay_alu instid0(VALU_DEP_2)
	v_add_co_ci_u32_e32 v19, vcc_lo, s7, v17, vcc_lo
	v_add_co_u32 v15, vcc_lo, s8, v16
	v_add_co_ci_u32_e32 v16, vcc_lo, s9, v17, vcc_lo
	global_load_b64 v[18:19], v[18:19], off
	s_waitcnt vmcnt(0)
	v_mul_f64 v[13:14], v[18:19], v[13:14]
	global_store_b64 v[15:16], v[13:14], off
	v_lshlrev_b64 v[13:14], 3, v[1:2]
	v_mad_u64_u32 v[15:16], null, s2, 13, v[1:2]
	v_mov_b32_e32 v16, v2
	s_delay_alu instid0(VALU_DEP_3) | instskip(NEXT) | instid1(VALU_DEP_4)
	v_add_co_u32 v13, vcc_lo, s10, v13
	v_add_co_ci_u32_e32 v14, vcc_lo, s11, v14, vcc_lo
	s_delay_alu instid0(VALU_DEP_3)
	v_lshlrev_b64 v[0:1], 3, v[15:16]
	global_load_b64 v[25:26], v[13:14], off
	v_add_co_u32 v0, vcc_lo, s10, v0
	v_add_co_ci_u32_e32 v1, vcc_lo, s11, v1, vcc_lo
	global_load_b64 v[23:24], v[0:1], off
	s_waitcnt vmcnt(1)
	v_mul_f64 v[13:14], v[25:26], v[25:26]
	s_waitcnt vmcnt(0)
	s_delay_alu instid0(VALU_DEP_1) | instskip(NEXT) | instid1(VALU_DEP_1)
	v_mul_f64 v[0:1], v[13:14], v[23:24]
	v_mul_f64 v[0:1], v[7:8], v[0:1]
	s_delay_alu instid0(VALU_DEP_1) | instskip(NEXT) | instid1(VALU_DEP_1)
	v_div_scale_f64 v[13:14], null, v[0:1], v[0:1], 1.0
	v_rcp_f64_e32 v[16:17], v[13:14]
	s_waitcnt_depctr 0xfff
	v_fma_f64 v[18:19], -v[13:14], v[16:17], 1.0
	s_delay_alu instid0(VALU_DEP_1) | instskip(NEXT) | instid1(VALU_DEP_1)
	v_fma_f64 v[16:17], v[16:17], v[18:19], v[16:17]
	v_fma_f64 v[18:19], -v[13:14], v[16:17], 1.0
	s_delay_alu instid0(VALU_DEP_1) | instskip(SKIP_1) | instid1(VALU_DEP_1)
	v_fma_f64 v[16:17], v[16:17], v[18:19], v[16:17]
	v_div_scale_f64 v[18:19], vcc_lo, 1.0, v[0:1], 1.0
	v_mul_f64 v[27:28], v[18:19], v[16:17]
	s_delay_alu instid0(VALU_DEP_1) | instskip(NEXT) | instid1(VALU_DEP_1)
	v_fma_f64 v[13:14], -v[13:14], v[27:28], v[18:19]
	v_div_fmas_f64 v[13:14], v[13:14], v[16:17], v[27:28]
	v_mul_f64 v[17:18], v[33:34], v[21:22]
	s_delay_alu instid0(VALU_DEP_2) | instskip(NEXT) | instid1(VALU_DEP_1)
	v_div_fixup_f64 v[0:1], v[13:14], v[0:1], 1.0
	v_mul_f64 v[0:1], v[11:12], v[0:1]
	v_mad_u64_u32 v[11:12], null, s2, 37, v[15:16]
	v_mov_b32_e32 v12, v2
	s_delay_alu instid0(VALU_DEP_1) | instskip(NEXT) | instid1(VALU_DEP_1)
	v_lshlrev_b64 v[13:14], 3, v[11:12]
	v_add_co_u32 v15, vcc_lo, s6, v13
	s_delay_alu instid0(VALU_DEP_2)
	v_add_co_ci_u32_e32 v16, vcc_lo, s7, v14, vcc_lo
	v_add_co_u32 v13, vcc_lo, s8, v13
	v_add_co_ci_u32_e32 v14, vcc_lo, s9, v14, vcc_lo
	global_load_b64 v[15:16], v[15:16], off
	v_min_f64 v[0:1], v[0:1], s[0:1]
	s_waitcnt vmcnt(0)
	s_delay_alu instid0(VALU_DEP_1) | instskip(SKIP_3) | instid1(VALU_DEP_1)
	v_mul_f64 v[0:1], v[15:16], v[0:1]
	global_store_b64 v[13:14], v[0:1], off
	v_mad_u64_u32 v[0:1], null, 0xffffffdd, s2, v[11:12]
	v_mov_b32_e32 v1, v2
	v_lshlrev_b64 v[11:12], 3, v[0:1]
	s_delay_alu instid0(VALU_DEP_1) | instskip(NEXT) | instid1(VALU_DEP_2)
	v_add_co_u32 v11, vcc_lo, s10, v11
	v_add_co_ci_u32_e32 v12, vcc_lo, s11, v12, vcc_lo
	global_load_b64 v[11:12], v[11:12], off
	s_waitcnt vmcnt(0)
	v_mul_f64 v[13:14], v[25:26], v[11:12]
	s_delay_alu instid0(VALU_DEP_1) | instskip(NEXT) | instid1(VALU_DEP_1)
	v_div_scale_f64 v[15:16], null, v[13:14], v[13:14], 1.0
	v_rcp_f64_e32 v[19:20], v[15:16]
	s_waitcnt_depctr 0xfff
	v_fma_f64 v[27:28], -v[15:16], v[19:20], 1.0
	s_delay_alu instid0(VALU_DEP_1) | instskip(NEXT) | instid1(VALU_DEP_1)
	v_fma_f64 v[19:20], v[19:20], v[27:28], v[19:20]
	v_fma_f64 v[27:28], -v[15:16], v[19:20], 1.0
	s_delay_alu instid0(VALU_DEP_1) | instskip(SKIP_1) | instid1(VALU_DEP_1)
	v_fma_f64 v[19:20], v[19:20], v[27:28], v[19:20]
	v_div_scale_f64 v[27:28], vcc_lo, 1.0, v[13:14], 1.0
	v_mul_f64 v[29:30], v[27:28], v[19:20]
	s_delay_alu instid0(VALU_DEP_1) | instskip(NEXT) | instid1(VALU_DEP_1)
	v_fma_f64 v[15:16], -v[15:16], v[29:30], v[27:28]
	v_div_fmas_f64 v[15:16], v[15:16], v[19:20], v[29:30]
	v_mad_u64_u32 v[19:20], null, s2, 36, v[0:1]
	v_mov_b32_e32 v20, v2
	s_delay_alu instid0(VALU_DEP_1) | instskip(NEXT) | instid1(VALU_DEP_1)
	v_lshlrev_b64 v[0:1], 3, v[19:20]
	v_add_co_u32 v27, vcc_lo, s6, v0
	s_delay_alu instid0(VALU_DEP_2) | instskip(SKIP_4) | instid1(VALU_DEP_1)
	v_add_co_ci_u32_e32 v28, vcc_lo, s7, v1, vcc_lo
	v_add_co_u32 v0, vcc_lo, s8, v0
	v_add_co_ci_u32_e32 v1, vcc_lo, s9, v1, vcc_lo
	global_load_b64 v[27:28], v[27:28], off
	v_div_fixup_f64 v[29:30], v[15:16], v[13:14], 1.0
	v_mul_f64 v[15:16], v[17:18], v[29:30]
	s_delay_alu instid0(VALU_DEP_1) | instskip(SKIP_1) | instid1(VALU_DEP_1)
	v_min_f64 v[15:16], v[15:16], s[0:1]
	s_waitcnt vmcnt(0)
	v_mul_f64 v[15:16], v[27:28], v[15:16]
	global_store_b64 v[0:1], v[15:16], off
	v_add_nc_u32_e32 v1, s3, v19
	s_delay_alu instid0(VALU_DEP_1) | instskip(SKIP_2) | instid1(VALU_DEP_1)
	v_lshlrev_b64 v[15:16], 3, v[1:2]
	v_add_nc_u32_e32 v1, s4, v1
	s_mul_i32 s4, s2, 48
	v_lshlrev_b64 v[19:20], 3, v[1:2]
	s_delay_alu instid0(VALU_DEP_3) | instskip(NEXT) | instid1(VALU_DEP_4)
	v_add_co_u32 v15, vcc_lo, s10, v15
	v_add_co_ci_u32_e32 v16, vcc_lo, s11, v16, vcc_lo
	s_delay_alu instid0(VALU_DEP_3) | instskip(NEXT) | instid1(VALU_DEP_4)
	v_add_co_u32 v19, vcc_lo, s10, v19
	v_add_co_ci_u32_e32 v20, vcc_lo, s11, v20, vcc_lo
	s_clause 0x1
	global_load_b64 v[15:16], v[15:16], off
	global_load_b64 v[35:36], v[19:20], off
	s_waitcnt vmcnt(0)
	v_mul_f64 v[19:20], v[15:16], v[35:36]
	s_delay_alu instid0(VALU_DEP_1) | instskip(NEXT) | instid1(VALU_DEP_1)
	v_div_scale_f64 v[27:28], null, v[19:20], v[19:20], 1.0
	v_rcp_f64_e32 v[37:38], v[27:28]
	s_waitcnt_depctr 0xfff
	v_fma_f64 v[39:40], -v[27:28], v[37:38], 1.0
	s_delay_alu instid0(VALU_DEP_1) | instskip(NEXT) | instid1(VALU_DEP_1)
	v_fma_f64 v[37:38], v[37:38], v[39:40], v[37:38]
	v_fma_f64 v[39:40], -v[27:28], v[37:38], 1.0
	s_delay_alu instid0(VALU_DEP_1) | instskip(SKIP_1) | instid1(VALU_DEP_1)
	v_fma_f64 v[37:38], v[37:38], v[39:40], v[37:38]
	v_div_scale_f64 v[39:40], vcc_lo, 1.0, v[19:20], 1.0
	v_mul_f64 v[41:42], v[39:40], v[37:38]
	s_delay_alu instid0(VALU_DEP_1) | instskip(NEXT) | instid1(VALU_DEP_1)
	v_fma_f64 v[27:28], -v[27:28], v[41:42], v[39:40]
	v_div_fmas_f64 v[27:28], v[27:28], v[37:38], v[41:42]
	s_delay_alu instid0(VALU_DEP_1) | instskip(NEXT) | instid1(VALU_DEP_1)
	v_div_fixup_f64 v[19:20], v[27:28], v[19:20], 1.0
	v_mul_f64 v[17:18], v[17:18], v[19:20]
	v_mad_u64_u32 v[19:20], null, s2, 45, v[1:2]
	v_mov_b32_e32 v20, v2
	s_delay_alu instid0(VALU_DEP_1) | instskip(NEXT) | instid1(VALU_DEP_1)
	v_lshlrev_b64 v[0:1], 3, v[19:20]
	v_add_co_u32 v27, vcc_lo, s6, v0
	s_delay_alu instid0(VALU_DEP_2)
	v_add_co_ci_u32_e32 v28, vcc_lo, s7, v1, vcc_lo
	v_add_co_u32 v0, vcc_lo, s8, v0
	v_add_co_ci_u32_e32 v1, vcc_lo, s9, v1, vcc_lo
	global_load_b64 v[27:28], v[27:28], off
	v_min_f64 v[17:18], v[17:18], s[0:1]
	s_waitcnt vmcnt(0)
	s_delay_alu instid0(VALU_DEP_1) | instskip(SKIP_3) | instid1(VALU_DEP_2)
	v_mul_f64 v[17:18], v[27:28], v[17:18]
	global_store_b64 v[0:1], v[17:18], off
	v_add_nc_u32_e32 v1, s3, v19
	v_mul_f64 v[19:20], v[21:22], v[11:12]
	v_lshlrev_b64 v[17:18], 3, v[1:2]
	v_add_nc_u32_e32 v1, s4, v1
	s_delay_alu instid0(VALU_DEP_2) | instskip(NEXT) | instid1(VALU_DEP_3)
	v_add_co_u32 v17, vcc_lo, s10, v17
	v_add_co_ci_u32_e32 v18, vcc_lo, s11, v18, vcc_lo
	global_load_b64 v[17:18], v[17:18], off
	v_div_scale_f64 v[37:38], null, v[19:20], v[19:20], 1.0
	s_delay_alu instid0(VALU_DEP_1) | instskip(SKIP_2) | instid1(VALU_DEP_1)
	v_rcp_f64_e32 v[39:40], v[37:38]
	s_waitcnt_depctr 0xfff
	v_fma_f64 v[41:42], -v[37:38], v[39:40], 1.0
	v_fma_f64 v[39:40], v[39:40], v[41:42], v[39:40]
	s_delay_alu instid0(VALU_DEP_1) | instskip(NEXT) | instid1(VALU_DEP_1)
	v_fma_f64 v[41:42], -v[37:38], v[39:40], 1.0
	v_fma_f64 v[39:40], v[39:40], v[41:42], v[39:40]
	v_div_scale_f64 v[41:42], vcc_lo, 1.0, v[19:20], 1.0
	s_delay_alu instid0(VALU_DEP_1) | instskip(NEXT) | instid1(VALU_DEP_1)
	v_mul_f64 v[43:44], v[41:42], v[39:40]
	v_fma_f64 v[37:38], -v[37:38], v[43:44], v[41:42]
	s_waitcnt vmcnt(0)
	v_mul_f64 v[27:28], v[33:34], v[17:18]
	s_delay_alu instid0(VALU_DEP_2) | instskip(NEXT) | instid1(VALU_DEP_1)
	v_div_fmas_f64 v[37:38], v[37:38], v[39:40], v[43:44]
	v_div_fixup_f64 v[37:38], v[37:38], v[19:20], 1.0
	s_delay_alu instid0(VALU_DEP_1) | instskip(SKIP_1) | instid1(VALU_DEP_1)
	v_mul_f64 v[27:28], v[37:38], v[27:28]
	v_lshlrev_b64 v[37:38], 3, v[1:2]
	v_add_co_u32 v39, vcc_lo, s6, v37
	s_delay_alu instid0(VALU_DEP_2)
	v_add_co_ci_u32_e32 v40, vcc_lo, s7, v38, vcc_lo
	v_add_co_u32 v37, vcc_lo, s8, v37
	v_add_co_ci_u32_e32 v38, vcc_lo, s9, v38, vcc_lo
	global_load_b64 v[39:40], v[39:40], off
	v_min_f64 v[27:28], v[27:28], s[0:1]
	s_waitcnt vmcnt(0)
	s_delay_alu instid0(VALU_DEP_1) | instskip(SKIP_3) | instid1(VALU_DEP_1)
	v_mul_f64 v[27:28], v[39:40], v[27:28]
	global_store_b64 v[37:38], v[27:28], off
	v_mad_u64_u32 v[37:38], null, 0xffffffd7, s2, v[1:2]
	v_mov_b32_e32 v38, v2
	v_mad_u64_u32 v[39:40], null, s2, 12, v[37:38]
	v_mov_b32_e32 v40, v2
	v_lshlrev_b64 v[0:1], 3, v[37:38]
	s_delay_alu instid0(VALU_DEP_2) | instskip(NEXT) | instid1(VALU_DEP_2)
	v_lshlrev_b64 v[37:38], 3, v[39:40]
	v_add_co_u32 v0, vcc_lo, s10, v0
	s_delay_alu instid0(VALU_DEP_3) | instskip(NEXT) | instid1(VALU_DEP_3)
	v_add_co_ci_u32_e32 v1, vcc_lo, s11, v1, vcc_lo
	v_add_co_u32 v37, vcc_lo, s10, v37
	s_delay_alu instid0(VALU_DEP_4)
	v_add_co_ci_u32_e32 v38, vcc_lo, s11, v38, vcc_lo
	s_clause 0x1
	global_load_b64 v[27:28], v[0:1], off
	global_load_b64 v[37:38], v[37:38], off
	s_waitcnt vmcnt(1)
	v_mul_f64 v[0:1], v[33:34], v[27:28]
	s_waitcnt vmcnt(0)
	v_div_scale_f64 v[41:42], null, v[37:38], v[37:38], 1.0
	s_delay_alu instid0(VALU_DEP_2) | instskip(NEXT) | instid1(VALU_DEP_2)
	v_mul_f64 v[0:1], v[7:8], v[0:1]
	v_rcp_f64_e32 v[43:44], v[41:42]
	s_waitcnt_depctr 0xfff
	v_fma_f64 v[45:46], -v[41:42], v[43:44], 1.0
	s_delay_alu instid0(VALU_DEP_1) | instskip(NEXT) | instid1(VALU_DEP_1)
	v_fma_f64 v[43:44], v[43:44], v[45:46], v[43:44]
	v_fma_f64 v[45:46], -v[41:42], v[43:44], 1.0
	s_delay_alu instid0(VALU_DEP_1) | instskip(SKIP_1) | instid1(VALU_DEP_1)
	v_fma_f64 v[43:44], v[43:44], v[45:46], v[43:44]
	v_div_scale_f64 v[45:46], vcc_lo, 1.0, v[37:38], 1.0
	v_mul_f64 v[47:48], v[45:46], v[43:44]
	s_delay_alu instid0(VALU_DEP_1) | instskip(NEXT) | instid1(VALU_DEP_1)
	v_fma_f64 v[41:42], -v[41:42], v[47:48], v[45:46]
	v_div_fmas_f64 v[41:42], v[41:42], v[43:44], v[47:48]
	s_delay_alu instid0(VALU_DEP_1) | instskip(NEXT) | instid1(VALU_DEP_1)
	v_div_fixup_f64 v[37:38], v[41:42], v[37:38], 1.0
	v_mul_f64 v[0:1], v[37:38], v[0:1]
	v_mad_u64_u32 v[37:38], null, s2, 30, v[39:40]
	v_mov_b32_e32 v38, v2
	s_delay_alu instid0(VALU_DEP_1) | instskip(NEXT) | instid1(VALU_DEP_1)
	v_lshlrev_b64 v[39:40], 3, v[37:38]
	v_add_co_u32 v41, vcc_lo, s6, v39
	s_delay_alu instid0(VALU_DEP_2)
	v_add_co_ci_u32_e32 v42, vcc_lo, s7, v40, vcc_lo
	v_add_co_u32 v39, vcc_lo, s8, v39
	v_add_co_ci_u32_e32 v40, vcc_lo, s9, v40, vcc_lo
	global_load_b64 v[41:42], v[41:42], off
	v_min_f64 v[0:1], v[0:1], s[0:1]
	s_waitcnt vmcnt(0)
	s_delay_alu instid0(VALU_DEP_1) | instskip(SKIP_4) | instid1(VALU_DEP_2)
	v_mul_f64 v[0:1], v[41:42], v[0:1]
	global_store_b64 v[39:40], v[0:1], off
	v_mad_u64_u32 v[39:40], null, 0xffffffdb, s2, v[37:38]
	v_mov_b32_e32 v40, v2
	v_mul_f64 v[0:1], v[33:34], v[35:36]
	v_lshlrev_b64 v[37:38], 3, v[39:40]
	s_delay_alu instid0(VALU_DEP_1) | instskip(NEXT) | instid1(VALU_DEP_2)
	v_add_co_u32 v37, vcc_lo, s10, v37
	v_add_co_ci_u32_e32 v38, vcc_lo, s11, v38, vcc_lo
	global_load_b64 v[37:38], v[37:38], off
	s_waitcnt vmcnt(0)
	v_mul_f64 v[40:41], v[25:26], v[37:38]
	s_delay_alu instid0(VALU_DEP_1) | instskip(NEXT) | instid1(VALU_DEP_1)
	v_div_scale_f64 v[42:43], null, v[40:41], v[40:41], 1.0
	v_rcp_f64_e32 v[44:45], v[42:43]
	s_waitcnt_depctr 0xfff
	v_fma_f64 v[46:47], -v[42:43], v[44:45], 1.0
	s_delay_alu instid0(VALU_DEP_1) | instskip(NEXT) | instid1(VALU_DEP_1)
	v_fma_f64 v[44:45], v[44:45], v[46:47], v[44:45]
	v_fma_f64 v[46:47], -v[42:43], v[44:45], 1.0
	s_delay_alu instid0(VALU_DEP_1) | instskip(SKIP_1) | instid1(VALU_DEP_1)
	v_fma_f64 v[44:45], v[44:45], v[46:47], v[44:45]
	v_div_scale_f64 v[46:47], vcc_lo, 1.0, v[40:41], 1.0
	v_mul_f64 v[48:49], v[46:47], v[44:45]
	s_delay_alu instid0(VALU_DEP_1) | instskip(NEXT) | instid1(VALU_DEP_1)
	v_fma_f64 v[42:43], -v[42:43], v[48:49], v[46:47]
	v_div_fmas_f64 v[42:43], v[42:43], v[44:45], v[48:49]
	s_delay_alu instid0(VALU_DEP_1) | instskip(NEXT) | instid1(VALU_DEP_1)
	v_div_fixup_f64 v[40:41], v[42:43], v[40:41], 1.0
	v_mul_f64 v[0:1], v[0:1], v[40:41]
	v_mad_u64_u32 v[40:41], null, s2, 38, v[39:40]
	v_mov_b32_e32 v41, v2
	s_delay_alu instid0(VALU_DEP_1) | instskip(NEXT) | instid1(VALU_DEP_1)
	v_lshlrev_b64 v[41:42], 3, v[40:41]
	v_add_co_u32 v43, vcc_lo, s6, v41
	s_delay_alu instid0(VALU_DEP_2)
	v_add_co_ci_u32_e32 v44, vcc_lo, s7, v42, vcc_lo
	v_add_co_u32 v41, vcc_lo, s8, v41
	v_add_co_ci_u32_e32 v42, vcc_lo, s9, v42, vcc_lo
	v_add_co_u32 v31, vcc_lo, s10, v31
	v_add_co_ci_u32_e32 v32, vcc_lo, s11, v32, vcc_lo
	global_load_b64 v[43:44], v[43:44], off
	global_load_b64 v[31:32], v[31:32], off
	v_min_f64 v[0:1], v[0:1], s[0:1]
	s_waitcnt vmcnt(1)
	s_delay_alu instid0(VALU_DEP_1)
	v_mul_f64 v[0:1], v[43:44], v[0:1]
	s_waitcnt vmcnt(0)
	v_mul_f64 v[37:38], v[37:38], v[31:32]
	v_mul_f64 v[35:36], v[35:36], v[31:32]
	global_store_b64 v[41:42], v[0:1], off
	v_mul_f64 v[0:1], v[33:34], v[33:34]
	v_div_scale_f64 v[41:42], null, v[37:38], v[37:38], 1.0
	s_delay_alu instid0(VALU_DEP_1) | instskip(SKIP_2) | instid1(VALU_DEP_1)
	v_rcp_f64_e32 v[43:44], v[41:42]
	s_waitcnt_depctr 0xfff
	v_fma_f64 v[45:46], -v[41:42], v[43:44], 1.0
	v_fma_f64 v[43:44], v[43:44], v[45:46], v[43:44]
	s_delay_alu instid0(VALU_DEP_1) | instskip(NEXT) | instid1(VALU_DEP_1)
	v_fma_f64 v[45:46], -v[41:42], v[43:44], 1.0
	v_fma_f64 v[43:44], v[43:44], v[45:46], v[43:44]
	v_div_scale_f64 v[45:46], vcc_lo, 1.0, v[37:38], 1.0
	s_delay_alu instid0(VALU_DEP_1) | instskip(NEXT) | instid1(VALU_DEP_1)
	v_mul_f64 v[47:48], v[45:46], v[43:44]
	v_fma_f64 v[41:42], -v[41:42], v[47:48], v[45:46]
	s_delay_alu instid0(VALU_DEP_1) | instskip(NEXT) | instid1(VALU_DEP_1)
	v_div_fmas_f64 v[41:42], v[41:42], v[43:44], v[47:48]
	v_div_fixup_f64 v[37:38], v[41:42], v[37:38], 1.0
	s_delay_alu instid0(VALU_DEP_1) | instskip(SKIP_1) | instid1(VALU_DEP_1)
	v_mul_f64 v[37:38], v[0:1], v[37:38]
	v_add_nc_u32_e32 v1, s2, v40
	v_lshlrev_b64 v[39:40], 3, v[1:2]
	v_add_nc_u32_e32 v1, s3, v1
	s_delay_alu instid0(VALU_DEP_2) | instskip(NEXT) | instid1(VALU_DEP_3)
	v_add_co_u32 v41, vcc_lo, s6, v39
	v_add_co_ci_u32_e32 v42, vcc_lo, s7, v40, vcc_lo
	v_add_co_u32 v39, vcc_lo, s8, v39
	v_add_co_ci_u32_e32 v40, vcc_lo, s9, v40, vcc_lo
	global_load_b64 v[41:42], v[41:42], off
	v_min_f64 v[37:38], v[37:38], s[0:1]
	s_waitcnt vmcnt(0)
	s_delay_alu instid0(VALU_DEP_1) | instskip(SKIP_4) | instid1(VALU_DEP_2)
	v_mul_f64 v[37:38], v[41:42], v[37:38]
	global_store_b64 v[39:40], v[37:38], off
	v_div_scale_f64 v[39:40], null, v[33:34], v[33:34], 1.0
	v_lshlrev_b64 v[37:38], 3, v[1:2]
	v_add_nc_u32_e32 v1, s4, v1
	v_add_co_u32 v37, vcc_lo, s10, v37
	s_delay_alu instid0(VALU_DEP_3) | instskip(SKIP_4) | instid1(VALU_DEP_1)
	v_add_co_ci_u32_e32 v38, vcc_lo, s11, v38, vcc_lo
	global_load_b64 v[37:38], v[37:38], off
	v_rcp_f64_e32 v[41:42], v[39:40]
	s_waitcnt_depctr 0xfff
	v_fma_f64 v[43:44], -v[39:40], v[41:42], 1.0
	v_fma_f64 v[41:42], v[41:42], v[43:44], v[41:42]
	s_delay_alu instid0(VALU_DEP_1) | instskip(NEXT) | instid1(VALU_DEP_1)
	v_fma_f64 v[43:44], -v[39:40], v[41:42], 1.0
	v_fma_f64 v[41:42], v[41:42], v[43:44], v[41:42]
	v_div_scale_f64 v[43:44], vcc_lo, 1.0, v[33:34], 1.0
	s_delay_alu instid0(VALU_DEP_1) | instskip(NEXT) | instid1(VALU_DEP_1)
	v_mul_f64 v[45:46], v[43:44], v[41:42]
	v_fma_f64 v[39:40], -v[39:40], v[45:46], v[43:44]
	s_delay_alu instid0(VALU_DEP_1) | instskip(SKIP_2) | instid1(VALU_DEP_3)
	v_div_fmas_f64 v[39:40], v[39:40], v[41:42], v[45:46]
	v_lshlrev_b64 v[41:42], 3, v[1:2]
	v_add_nc_u32_e32 v1, s2, v1
	v_div_fixup_f64 v[33:34], v[39:40], v[33:34], 1.0
	s_delay_alu instid0(VALU_DEP_3) | instskip(NEXT) | instid1(VALU_DEP_4)
	v_add_co_u32 v39, vcc_lo, s6, v41
	v_add_co_ci_u32_e32 v40, vcc_lo, s7, v42, vcc_lo
	v_add_co_u32 v41, vcc_lo, s8, v41
	v_add_co_ci_u32_e32 v42, vcc_lo, s9, v42, vcc_lo
	global_load_b64 v[43:44], v[39:40], off
	s_waitcnt vmcnt(1)
	v_mul_f64 v[33:34], v[33:34], v[37:38]
	s_delay_alu instid0(VALU_DEP_1) | instskip(SKIP_1) | instid1(VALU_DEP_1)
	v_min_f64 v[39:40], v[33:34], s[0:1]
	s_waitcnt vmcnt(0)
	v_mul_f64 v[33:34], v[43:44], v[39:40]
	global_store_b64 v[41:42], v[33:34], off
	v_div_scale_f64 v[41:42], null, v[35:36], v[35:36], 1.0
	v_mul_f64 v[33:34], v[25:26], v[37:38]
	s_delay_alu instid0(VALU_DEP_2) | instskip(SKIP_2) | instid1(VALU_DEP_1)
	v_rcp_f64_e32 v[43:44], v[41:42]
	s_waitcnt_depctr 0xfff
	v_fma_f64 v[45:46], -v[41:42], v[43:44], 1.0
	v_fma_f64 v[43:44], v[43:44], v[45:46], v[43:44]
	s_delay_alu instid0(VALU_DEP_1) | instskip(NEXT) | instid1(VALU_DEP_1)
	v_fma_f64 v[45:46], -v[41:42], v[43:44], 1.0
	v_fma_f64 v[43:44], v[43:44], v[45:46], v[43:44]
	v_div_scale_f64 v[45:46], vcc_lo, 1.0, v[35:36], 1.0
	s_delay_alu instid0(VALU_DEP_1) | instskip(NEXT) | instid1(VALU_DEP_1)
	v_mul_f64 v[47:48], v[45:46], v[43:44]
	v_fma_f64 v[41:42], -v[41:42], v[47:48], v[45:46]
	s_delay_alu instid0(VALU_DEP_1) | instskip(NEXT) | instid1(VALU_DEP_1)
	v_div_fmas_f64 v[41:42], v[41:42], v[43:44], v[47:48]
	v_div_fixup_f64 v[35:36], v[41:42], v[35:36], 1.0
	s_delay_alu instid0(VALU_DEP_1) | instskip(SKIP_1) | instid1(VALU_DEP_1)
	v_mul_f64 v[33:34], v[35:36], v[33:34]
	v_lshlrev_b64 v[35:36], 3, v[1:2]
	v_add_co_u32 v41, vcc_lo, s6, v35
	s_delay_alu instid0(VALU_DEP_2)
	v_add_co_ci_u32_e32 v42, vcc_lo, s7, v36, vcc_lo
	v_add_co_u32 v35, vcc_lo, s8, v35
	v_add_co_ci_u32_e32 v36, vcc_lo, s9, v36, vcc_lo
	global_load_b64 v[41:42], v[41:42], off
	v_min_f64 v[33:34], v[33:34], s[0:1]
	s_waitcnt vmcnt(0)
	s_delay_alu instid0(VALU_DEP_1)
	v_mul_f64 v[33:34], v[41:42], v[33:34]
	v_mul_f64 v[41:42], v[27:28], v[31:32]
	global_store_b64 v[35:36], v[33:34], off
	v_div_scale_f64 v[43:44], null, v[41:42], v[41:42], 1.0
	v_mad_u64_u32 v[35:36], null, 0xffffffc7, s2, v[1:2]
	v_mov_b32_e32 v36, v2
	s_delay_alu instid0(VALU_DEP_1) | instskip(NEXT) | instid1(VALU_DEP_1)
	v_lshlrev_b64 v[0:1], 3, v[35:36]
	v_add_co_u32 v0, vcc_lo, s10, v0
	s_delay_alu instid0(VALU_DEP_2) | instskip(SKIP_4) | instid1(VALU_DEP_1)
	v_add_co_ci_u32_e32 v1, vcc_lo, s11, v1, vcc_lo
	global_load_b64 v[33:34], v[0:1], off
	v_rcp_f64_e32 v[45:46], v[43:44]
	s_waitcnt_depctr 0xfff
	v_fma_f64 v[47:48], -v[43:44], v[45:46], 1.0
	v_fma_f64 v[45:46], v[45:46], v[47:48], v[45:46]
	s_delay_alu instid0(VALU_DEP_1) | instskip(NEXT) | instid1(VALU_DEP_1)
	v_fma_f64 v[47:48], -v[43:44], v[45:46], 1.0
	v_fma_f64 v[45:46], v[45:46], v[47:48], v[45:46]
	v_div_scale_f64 v[47:48], vcc_lo, 1.0, v[41:42], 1.0
	s_delay_alu instid0(VALU_DEP_1) | instskip(NEXT) | instid1(VALU_DEP_1)
	v_mul_f64 v[49:50], v[47:48], v[45:46]
	v_fma_f64 v[43:44], -v[43:44], v[49:50], v[47:48]
	s_delay_alu instid0(VALU_DEP_1) | instskip(SKIP_2) | instid1(VALU_DEP_2)
	v_div_fmas_f64 v[43:44], v[43:44], v[45:46], v[49:50]
	s_waitcnt vmcnt(0)
	v_mul_f64 v[0:1], v[37:38], v[33:34]
	v_div_fixup_f64 v[41:42], v[43:44], v[41:42], 1.0
	v_mad_u64_u32 v[43:44], null, s2, 58, v[35:36]
	v_mov_b32_e32 v44, v2
	s_delay_alu instid0(VALU_DEP_1) | instskip(NEXT) | instid1(VALU_DEP_1)
	v_lshlrev_b64 v[35:36], 3, v[43:44]
	v_add_co_u32 v44, vcc_lo, s6, v35
	s_delay_alu instid0(VALU_DEP_2) | instskip(SKIP_4) | instid1(VALU_DEP_1)
	v_add_co_ci_u32_e32 v45, vcc_lo, s7, v36, vcc_lo
	v_add_co_u32 v35, vcc_lo, s8, v35
	v_add_co_ci_u32_e32 v36, vcc_lo, s9, v36, vcc_lo
	global_load_b64 v[44:45], v[44:45], off
	v_mul_f64 v[41:42], v[41:42], v[0:1]
	v_min_f64 v[41:42], v[41:42], s[0:1]
	s_waitcnt vmcnt(0)
	s_delay_alu instid0(VALU_DEP_1) | instskip(SKIP_2) | instid1(VALU_DEP_1)
	v_mul_f64 v[41:42], v[44:45], v[41:42]
	global_store_b64 v[35:36], v[41:42], off
	v_mul_f64 v[35:36], v[5:6], v[25:26]
	v_div_scale_f64 v[41:42], null, v[35:36], v[35:36], 1.0
	s_delay_alu instid0(VALU_DEP_1) | instskip(SKIP_2) | instid1(VALU_DEP_1)
	v_rcp_f64_e32 v[44:45], v[41:42]
	s_waitcnt_depctr 0xfff
	v_fma_f64 v[46:47], -v[41:42], v[44:45], 1.0
	v_fma_f64 v[44:45], v[44:45], v[46:47], v[44:45]
	s_delay_alu instid0(VALU_DEP_1) | instskip(NEXT) | instid1(VALU_DEP_1)
	v_fma_f64 v[46:47], -v[41:42], v[44:45], 1.0
	v_fma_f64 v[44:45], v[44:45], v[46:47], v[44:45]
	v_div_scale_f64 v[46:47], vcc_lo, 1.0, v[35:36], 1.0
	s_delay_alu instid0(VALU_DEP_1) | instskip(NEXT) | instid1(VALU_DEP_1)
	v_mul_f64 v[48:49], v[46:47], v[44:45]
	v_fma_f64 v[41:42], -v[41:42], v[48:49], v[46:47]
	s_delay_alu instid0(VALU_DEP_1) | instskip(NEXT) | instid1(VALU_DEP_1)
	v_div_fmas_f64 v[41:42], v[41:42], v[44:45], v[48:49]
	v_div_fixup_f64 v[35:36], v[41:42], v[35:36], 1.0
	s_delay_alu instid0(VALU_DEP_1) | instskip(SKIP_1) | instid1(VALU_DEP_1)
	v_mul_f64 v[35:36], v[35:36], v[0:1]
	v_add_nc_u32_e32 v1, s2, v43
	v_lshlrev_b64 v[41:42], 3, v[1:2]
	v_add_nc_u32_e32 v1, s2, v1
	s_delay_alu instid0(VALU_DEP_2) | instskip(NEXT) | instid1(VALU_DEP_3)
	v_add_co_u32 v43, vcc_lo, s6, v41
	v_add_co_ci_u32_e32 v44, vcc_lo, s7, v42, vcc_lo
	v_add_co_u32 v41, vcc_lo, s8, v41
	v_add_co_ci_u32_e32 v42, vcc_lo, s9, v42, vcc_lo
	global_load_b64 v[43:44], v[43:44], off
	v_min_f64 v[35:36], v[35:36], s[0:1]
	s_waitcnt vmcnt(0)
	s_delay_alu instid0(VALU_DEP_1) | instskip(SKIP_2) | instid1(VALU_DEP_1)
	v_mul_f64 v[35:36], v[43:44], v[35:36]
	global_store_b64 v[41:42], v[35:36], off
	v_mul_f64 v[35:36], v[21:22], v[37:38]
	v_mul_f64 v[29:30], v[29:30], v[35:36]
	v_lshlrev_b64 v[35:36], 3, v[1:2]
	s_delay_alu instid0(VALU_DEP_1) | instskip(NEXT) | instid1(VALU_DEP_2)
	v_add_co_u32 v41, vcc_lo, s6, v35
	v_add_co_ci_u32_e32 v42, vcc_lo, s7, v36, vcc_lo
	v_add_co_u32 v35, vcc_lo, s8, v35
	v_add_co_ci_u32_e32 v36, vcc_lo, s9, v36, vcc_lo
	global_load_b64 v[41:42], v[41:42], off
	v_min_f64 v[29:30], v[29:30], s[0:1]
	s_waitcnt vmcnt(0)
	s_delay_alu instid0(VALU_DEP_1) | instskip(SKIP_4) | instid1(VALU_DEP_2)
	v_mul_f64 v[29:30], v[29:30], v[41:42]
	global_store_b64 v[35:36], v[29:30], off
	v_mad_u64_u32 v[35:36], null, 0xffffffcd, s2, v[1:2]
	v_mov_b32_e32 v36, v2
	v_mul_f64 v[29:30], v[31:32], v[37:38]
	v_lshlrev_b64 v[0:1], 3, v[35:36]
	s_delay_alu instid0(VALU_DEP_1) | instskip(NEXT) | instid1(VALU_DEP_2)
	v_add_co_u32 v0, vcc_lo, s10, v0
	v_add_co_ci_u32_e32 v1, vcc_lo, s11, v1, vcc_lo
	global_load_b64 v[0:1], v[0:1], off
	s_waitcnt vmcnt(0)
	v_mul_f64 v[0:1], v[25:26], v[0:1]
	s_delay_alu instid0(VALU_DEP_1) | instskip(NEXT) | instid1(VALU_DEP_1)
	v_div_scale_f64 v[41:42], null, v[0:1], v[0:1], 1.0
	v_rcp_f64_e32 v[43:44], v[41:42]
	s_waitcnt_depctr 0xfff
	v_fma_f64 v[45:46], -v[41:42], v[43:44], 1.0
	s_delay_alu instid0(VALU_DEP_1) | instskip(NEXT) | instid1(VALU_DEP_1)
	v_fma_f64 v[43:44], v[43:44], v[45:46], v[43:44]
	v_fma_f64 v[45:46], -v[41:42], v[43:44], 1.0
	s_delay_alu instid0(VALU_DEP_1) | instskip(SKIP_1) | instid1(VALU_DEP_1)
	v_fma_f64 v[43:44], v[43:44], v[45:46], v[43:44]
	v_div_scale_f64 v[45:46], vcc_lo, 1.0, v[0:1], 1.0
	v_mul_f64 v[47:48], v[45:46], v[43:44]
	s_delay_alu instid0(VALU_DEP_1) | instskip(NEXT) | instid1(VALU_DEP_1)
	v_fma_f64 v[41:42], -v[41:42], v[47:48], v[45:46]
	v_div_fmas_f64 v[41:42], v[41:42], v[43:44], v[47:48]
	s_delay_alu instid0(VALU_DEP_1) | instskip(NEXT) | instid1(VALU_DEP_1)
	v_div_fixup_f64 v[0:1], v[41:42], v[0:1], 1.0
	v_mul_f64 v[0:1], v[29:30], v[0:1]
	v_mad_u64_u32 v[29:30], null, s2, 52, v[35:36]
	v_mov_b32_e32 v30, v2
	s_delay_alu instid0(VALU_DEP_1) | instskip(NEXT) | instid1(VALU_DEP_1)
	v_lshlrev_b64 v[35:36], 3, v[29:30]
	v_add_co_u32 v41, vcc_lo, s6, v35
	s_delay_alu instid0(VALU_DEP_2)
	v_add_co_ci_u32_e32 v42, vcc_lo, s7, v36, vcc_lo
	v_add_co_u32 v35, vcc_lo, s8, v35
	v_add_co_ci_u32_e32 v36, vcc_lo, s9, v36, vcc_lo
	global_load_b64 v[41:42], v[41:42], off
	v_min_f64 v[0:1], v[0:1], s[0:1]
	s_waitcnt vmcnt(0)
	s_delay_alu instid0(VALU_DEP_1) | instskip(SKIP_4) | instid1(VALU_DEP_3)
	v_mul_f64 v[0:1], v[41:42], v[0:1]
	global_store_b64 v[35:36], v[0:1], off
	v_mul_f64 v[0:1], v[21:22], v[25:26]
	v_mul_f64 v[35:36], v[3:4], v[37:38]
	v_mul_f64 v[3:4], v[3:4], v[11:12]
	v_mul_f64 v[0:1], v[0:1], v[27:28]
	s_delay_alu instid0(VALU_DEP_1) | instskip(SKIP_1) | instid1(VALU_DEP_2)
	v_mul_f64 v[0:1], v[7:8], v[0:1]
	v_mul_f64 v[7:8], v[7:8], v[13:14]
	v_div_scale_f64 v[21:22], null, v[0:1], v[0:1], 1.0
	s_delay_alu instid0(VALU_DEP_1) | instskip(SKIP_2) | instid1(VALU_DEP_1)
	v_rcp_f64_e32 v[25:26], v[21:22]
	s_waitcnt_depctr 0xfff
	v_fma_f64 v[41:42], -v[21:22], v[25:26], 1.0
	v_fma_f64 v[25:26], v[25:26], v[41:42], v[25:26]
	s_delay_alu instid0(VALU_DEP_1) | instskip(NEXT) | instid1(VALU_DEP_1)
	v_fma_f64 v[41:42], -v[21:22], v[25:26], 1.0
	v_fma_f64 v[25:26], v[25:26], v[41:42], v[25:26]
	v_div_scale_f64 v[41:42], vcc_lo, 1.0, v[0:1], 1.0
	s_delay_alu instid0(VALU_DEP_1) | instskip(NEXT) | instid1(VALU_DEP_1)
	v_mul_f64 v[43:44], v[41:42], v[25:26]
	v_fma_f64 v[21:22], -v[21:22], v[43:44], v[41:42]
	s_delay_alu instid0(VALU_DEP_1) | instskip(NEXT) | instid1(VALU_DEP_1)
	v_div_fmas_f64 v[21:22], v[21:22], v[25:26], v[43:44]
	v_div_fixup_f64 v[0:1], v[21:22], v[0:1], 1.0
	s_delay_alu instid0(VALU_DEP_1) | instskip(SKIP_1) | instid1(VALU_DEP_1)
	v_mul_f64 v[21:22], v[0:1], v[35:36]
	v_add_nc_u32_e32 v1, s2, v29
	v_lshlrev_b64 v[25:26], 3, v[1:2]
	v_add_nc_u32_e32 v1, s2, v1
	s_delay_alu instid0(VALU_DEP_2) | instskip(NEXT) | instid1(VALU_DEP_3)
	v_add_co_u32 v29, vcc_lo, s6, v25
	v_add_co_ci_u32_e32 v30, vcc_lo, s7, v26, vcc_lo
	v_add_co_u32 v25, vcc_lo, s8, v25
	v_add_co_ci_u32_e32 v26, vcc_lo, s9, v26, vcc_lo
	global_load_b64 v[29:30], v[29:30], off
	v_min_f64 v[21:22], v[21:22], s[0:1]
	s_waitcnt vmcnt(0)
	s_delay_alu instid0(VALU_DEP_1) | instskip(SKIP_2) | instid1(VALU_DEP_1)
	v_mul_f64 v[21:22], v[21:22], v[29:30]
	global_store_b64 v[25:26], v[21:22], off
	v_mul_f64 v[21:22], v[15:16], v[27:28]
	v_div_scale_f64 v[25:26], null, v[21:22], v[21:22], 1.0
	s_delay_alu instid0(VALU_DEP_1) | instskip(SKIP_2) | instid1(VALU_DEP_1)
	v_rcp_f64_e32 v[29:30], v[25:26]
	s_waitcnt_depctr 0xfff
	v_fma_f64 v[41:42], -v[25:26], v[29:30], 1.0
	v_fma_f64 v[29:30], v[29:30], v[41:42], v[29:30]
	s_delay_alu instid0(VALU_DEP_1) | instskip(NEXT) | instid1(VALU_DEP_1)
	v_fma_f64 v[41:42], -v[25:26], v[29:30], 1.0
	v_fma_f64 v[29:30], v[29:30], v[41:42], v[29:30]
	v_div_scale_f64 v[41:42], vcc_lo, 1.0, v[21:22], 1.0
	s_delay_alu instid0(VALU_DEP_1) | instskip(NEXT) | instid1(VALU_DEP_1)
	v_mul_f64 v[43:44], v[41:42], v[29:30]
	v_fma_f64 v[25:26], -v[25:26], v[43:44], v[41:42]
	s_delay_alu instid0(VALU_DEP_1) | instskip(NEXT) | instid1(VALU_DEP_1)
	v_div_fmas_f64 v[25:26], v[25:26], v[29:30], v[43:44]
	v_div_fixup_f64 v[21:22], v[25:26], v[21:22], 1.0
	v_lshlrev_b64 v[25:26], 3, v[1:2]
	v_add_nc_u32_e32 v1, s2, v1
	s_delay_alu instid0(VALU_DEP_2) | instskip(NEXT) | instid1(VALU_DEP_3)
	v_add_co_u32 v29, vcc_lo, s6, v25
	v_add_co_ci_u32_e32 v30, vcc_lo, s7, v26, vcc_lo
	v_add_co_u32 v25, vcc_lo, s8, v25
	v_add_co_ci_u32_e32 v26, vcc_lo, s9, v26, vcc_lo
	global_load_b64 v[29:30], v[29:30], off
	v_mul_f64 v[21:22], v[21:22], v[35:36]
	s_delay_alu instid0(VALU_DEP_1) | instskip(SKIP_1) | instid1(VALU_DEP_1)
	v_min_f64 v[21:22], v[21:22], s[0:1]
	s_waitcnt vmcnt(0)
	v_mul_f64 v[21:22], v[21:22], v[29:30]
	global_store_b64 v[25:26], v[21:22], off
	v_lshlrev_b64 v[21:22], 3, v[1:2]
	v_add_nc_u32_e32 v1, s2, v1
	s_delay_alu instid0(VALU_DEP_2) | instskip(NEXT) | instid1(VALU_DEP_3)
	v_add_co_u32 v25, vcc_lo, s6, v21
	v_add_co_ci_u32_e32 v26, vcc_lo, s7, v22, vcc_lo
	v_add_co_u32 v21, vcc_lo, s8, v21
	v_add_co_ci_u32_e32 v22, vcc_lo, s9, v22, vcc_lo
	global_load_b64 v[25:26], v[25:26], off
	s_waitcnt vmcnt(0)
	v_mul_f64 v[25:26], v[39:40], v[25:26]
	global_store_b64 v[21:22], v[25:26], off
	v_lshlrev_b64 v[21:22], 3, v[1:2]
	v_add_nc_u32_e32 v1, s2, v1
	s_delay_alu instid0(VALU_DEP_2) | instskip(NEXT) | instid1(VALU_DEP_3)
	v_add_co_u32 v25, vcc_lo, s6, v21
	v_add_co_ci_u32_e32 v26, vcc_lo, s7, v22, vcc_lo
	v_add_co_u32 v21, vcc_lo, s8, v21
	v_add_co_ci_u32_e32 v22, vcc_lo, s9, v22, vcc_lo
	global_load_b64 v[25:26], v[25:26], off
	s_waitcnt vmcnt(0)
	v_mul_f64 v[25:26], v[39:40], v[25:26]
	global_store_b64 v[21:22], v[25:26], off
	v_lshlrev_b64 v[21:22], 3, v[1:2]
	v_add_nc_u32_e32 v1, s2, v1
	s_delay_alu instid0(VALU_DEP_2) | instskip(NEXT) | instid1(VALU_DEP_3)
	v_add_co_u32 v25, vcc_lo, s6, v21
	v_add_co_ci_u32_e32 v26, vcc_lo, s7, v22, vcc_lo
	v_add_co_u32 v21, vcc_lo, s8, v21
	v_add_co_ci_u32_e32 v22, vcc_lo, s9, v22, vcc_lo
	global_load_b64 v[25:26], v[25:26], off
	s_waitcnt vmcnt(0)
	v_mul_f64 v[25:26], v[39:40], v[25:26]
	global_store_b64 v[21:22], v[25:26], off
	v_mul_f64 v[21:22], v[23:24], v[37:38]
	v_mul_f64 v[23:24], v[11:12], v[27:28]
	s_delay_alu instid0(VALU_DEP_1) | instskip(NEXT) | instid1(VALU_DEP_1)
	v_div_scale_f64 v[25:26], null, v[23:24], v[23:24], 1.0
	v_rcp_f64_e32 v[27:28], v[25:26]
	s_waitcnt_depctr 0xfff
	v_fma_f64 v[29:30], -v[25:26], v[27:28], 1.0
	s_delay_alu instid0(VALU_DEP_1) | instskip(NEXT) | instid1(VALU_DEP_1)
	v_fma_f64 v[27:28], v[27:28], v[29:30], v[27:28]
	v_fma_f64 v[29:30], -v[25:26], v[27:28], 1.0
	s_delay_alu instid0(VALU_DEP_1) | instskip(SKIP_1) | instid1(VALU_DEP_1)
	v_fma_f64 v[27:28], v[27:28], v[29:30], v[27:28]
	v_div_scale_f64 v[29:30], vcc_lo, 1.0, v[23:24], 1.0
	v_mul_f64 v[35:36], v[29:30], v[27:28]
	s_delay_alu instid0(VALU_DEP_1) | instskip(NEXT) | instid1(VALU_DEP_1)
	v_fma_f64 v[25:26], -v[25:26], v[35:36], v[29:30]
	v_div_fmas_f64 v[25:26], v[25:26], v[27:28], v[35:36]
	s_delay_alu instid0(VALU_DEP_1) | instskip(NEXT) | instid1(VALU_DEP_1)
	v_div_fixup_f64 v[23:24], v[25:26], v[23:24], 1.0
	v_mul_f64 v[21:22], v[23:24], v[21:22]
	v_lshlrev_b64 v[23:24], 3, v[1:2]
	s_delay_alu instid0(VALU_DEP_1) | instskip(NEXT) | instid1(VALU_DEP_2)
	v_add_co_u32 v25, vcc_lo, s6, v23
	v_add_co_ci_u32_e32 v26, vcc_lo, s7, v24, vcc_lo
	v_add_co_u32 v23, vcc_lo, s8, v23
	v_add_co_ci_u32_e32 v24, vcc_lo, s9, v24, vcc_lo
	global_load_b64 v[25:26], v[25:26], off
	v_min_f64 v[21:22], v[21:22], s[0:1]
	s_waitcnt vmcnt(0)
	s_delay_alu instid0(VALU_DEP_1) | instskip(SKIP_3) | instid1(VALU_DEP_1)
	v_mul_f64 v[21:22], v[21:22], v[25:26]
	global_store_b64 v[23:24], v[21:22], off
	v_mad_u64_u32 v[21:22], null, 0xffffffcc, s2, v[1:2]
	v_mov_b32_e32 v22, v2
	v_lshlrev_b64 v[0:1], 3, v[21:22]
	s_delay_alu instid0(VALU_DEP_1) | instskip(NEXT) | instid1(VALU_DEP_2)
	v_add_co_u32 v0, vcc_lo, s10, v0
	v_add_co_ci_u32_e32 v1, vcc_lo, s11, v1, vcc_lo
	global_load_b64 v[0:1], v[0:1], off
	s_waitcnt vmcnt(0)
	v_div_scale_f64 v[22:23], null, v[0:1], v[0:1], 1.0
	s_delay_alu instid0(VALU_DEP_1) | instskip(SKIP_2) | instid1(VALU_DEP_1)
	v_rcp_f64_e32 v[24:25], v[22:23]
	s_waitcnt_depctr 0xfff
	v_fma_f64 v[26:27], -v[22:23], v[24:25], 1.0
	v_fma_f64 v[24:25], v[24:25], v[26:27], v[24:25]
	s_delay_alu instid0(VALU_DEP_1) | instskip(NEXT) | instid1(VALU_DEP_1)
	v_fma_f64 v[26:27], -v[22:23], v[24:25], 1.0
	v_fma_f64 v[24:25], v[24:25], v[26:27], v[24:25]
	v_div_scale_f64 v[26:27], vcc_lo, 1.0, v[0:1], 1.0
	s_delay_alu instid0(VALU_DEP_1) | instskip(NEXT) | instid1(VALU_DEP_1)
	v_mul_f64 v[28:29], v[26:27], v[24:25]
	v_fma_f64 v[22:23], -v[22:23], v[28:29], v[26:27]
	s_delay_alu instid0(VALU_DEP_1) | instskip(NEXT) | instid1(VALU_DEP_1)
	v_div_fmas_f64 v[22:23], v[22:23], v[24:25], v[28:29]
	v_div_fixup_f64 v[0:1], v[22:23], v[0:1], 1.0
	s_delay_alu instid0(VALU_DEP_1) | instskip(SKIP_2) | instid1(VALU_DEP_1)
	v_mul_f64 v[0:1], v[7:8], v[0:1]
	v_mad_u64_u32 v[7:8], null, s2, 53, v[21:22]
	v_mov_b32_e32 v8, v2
	v_lshlrev_b64 v[21:22], 3, v[7:8]
	s_delay_alu instid0(VALU_DEP_1) | instskip(NEXT) | instid1(VALU_DEP_2)
	v_add_co_u32 v23, vcc_lo, s6, v21
	v_add_co_ci_u32_e32 v24, vcc_lo, s7, v22, vcc_lo
	v_add_co_u32 v21, vcc_lo, s8, v21
	v_add_co_ci_u32_e32 v22, vcc_lo, s9, v22, vcc_lo
	global_load_b64 v[23:24], v[23:24], off
	v_min_f64 v[0:1], v[0:1], s[0:1]
	s_waitcnt vmcnt(0)
	s_delay_alu instid0(VALU_DEP_1) | instskip(SKIP_2) | instid1(VALU_DEP_1)
	v_mul_f64 v[0:1], v[23:24], v[0:1]
	global_store_b64 v[21:22], v[0:1], off
	v_mul_f64 v[0:1], v[5:6], v[31:32]
	v_div_scale_f64 v[21:22], null, v[0:1], v[0:1], 1.0
	s_delay_alu instid0(VALU_DEP_1) | instskip(SKIP_2) | instid1(VALU_DEP_1)
	v_rcp_f64_e32 v[23:24], v[21:22]
	s_waitcnt_depctr 0xfff
	v_fma_f64 v[25:26], -v[21:22], v[23:24], 1.0
	v_fma_f64 v[23:24], v[23:24], v[25:26], v[23:24]
	s_delay_alu instid0(VALU_DEP_1) | instskip(NEXT) | instid1(VALU_DEP_1)
	v_fma_f64 v[25:26], -v[21:22], v[23:24], 1.0
	v_fma_f64 v[23:24], v[23:24], v[25:26], v[23:24]
	v_div_scale_f64 v[25:26], vcc_lo, 1.0, v[0:1], 1.0
	s_delay_alu instid0(VALU_DEP_1) | instskip(NEXT) | instid1(VALU_DEP_1)
	v_mul_f64 v[27:28], v[25:26], v[23:24]
	v_fma_f64 v[21:22], -v[21:22], v[27:28], v[25:26]
	s_delay_alu instid0(VALU_DEP_1) | instskip(NEXT) | instid1(VALU_DEP_1)
	v_div_fmas_f64 v[21:22], v[21:22], v[23:24], v[27:28]
	v_div_fixup_f64 v[0:1], v[21:22], v[0:1], 1.0
	s_delay_alu instid0(VALU_DEP_1) | instskip(SKIP_1) | instid1(VALU_DEP_1)
	v_mul_f64 v[13:14], v[13:14], v[0:1]
	v_add_nc_u32_e32 v1, s2, v7
	v_lshlrev_b64 v[7:8], 3, v[1:2]
	v_add_nc_u32_e32 v1, s2, v1
	s_delay_alu instid0(VALU_DEP_2) | instskip(NEXT) | instid1(VALU_DEP_3)
	v_add_co_u32 v21, vcc_lo, s6, v7
	v_add_co_ci_u32_e32 v22, vcc_lo, s7, v8, vcc_lo
	v_add_co_u32 v7, vcc_lo, s8, v7
	v_add_co_ci_u32_e32 v8, vcc_lo, s9, v8, vcc_lo
	global_load_b64 v[21:22], v[21:22], off
	v_min_f64 v[13:14], v[13:14], s[0:1]
	s_waitcnt vmcnt(0)
	s_delay_alu instid0(VALU_DEP_1) | instskip(SKIP_2) | instid1(VALU_DEP_1)
	v_mul_f64 v[13:14], v[13:14], v[21:22]
	global_store_b64 v[7:8], v[13:14], off
	v_mul_f64 v[7:8], v[11:12], v[33:34]
	v_mul_f64 v[7:8], v[9:10], v[7:8]
	v_lshlrev_b64 v[9:10], 3, v[1:2]
	v_add_nc_u32_e32 v1, s2, v1
	s_delay_alu instid0(VALU_DEP_2) | instskip(NEXT) | instid1(VALU_DEP_3)
	v_add_co_u32 v13, vcc_lo, s6, v9
	v_add_co_ci_u32_e32 v14, vcc_lo, s7, v10, vcc_lo
	v_add_co_u32 v9, vcc_lo, s8, v9
	v_add_co_ci_u32_e32 v10, vcc_lo, s9, v10, vcc_lo
	global_load_b64 v[13:14], v[13:14], off
	v_min_f64 v[7:8], v[7:8], s[0:1]
	s_waitcnt vmcnt(0)
	s_delay_alu instid0(VALU_DEP_1) | instskip(SKIP_3) | instid1(VALU_DEP_2)
	v_mul_f64 v[7:8], v[7:8], v[13:14]
	global_store_b64 v[9:10], v[7:8], off
	v_mul_f64 v[7:8], v[5:6], v[15:16]
	v_mul_f64 v[5:6], v[5:6], v[17:18]
	v_div_scale_f64 v[9:10], null, v[7:8], v[7:8], 1.0
	s_delay_alu instid0(VALU_DEP_1) | instskip(SKIP_2) | instid1(VALU_DEP_1)
	v_rcp_f64_e32 v[13:14], v[9:10]
	s_waitcnt_depctr 0xfff
	v_fma_f64 v[15:16], -v[9:10], v[13:14], 1.0
	v_fma_f64 v[13:14], v[13:14], v[15:16], v[13:14]
	s_delay_alu instid0(VALU_DEP_1) | instskip(NEXT) | instid1(VALU_DEP_1)
	v_fma_f64 v[15:16], -v[9:10], v[13:14], 1.0
	v_fma_f64 v[13:14], v[13:14], v[15:16], v[13:14]
	v_div_scale_f64 v[15:16], vcc_lo, 1.0, v[7:8], 1.0
	s_delay_alu instid0(VALU_DEP_1) | instskip(NEXT) | instid1(VALU_DEP_1)
	v_mul_f64 v[21:22], v[15:16], v[13:14]
	v_fma_f64 v[9:10], -v[9:10], v[21:22], v[15:16]
	s_delay_alu instid0(VALU_DEP_1) | instskip(NEXT) | instid1(VALU_DEP_1)
	v_div_fmas_f64 v[9:10], v[9:10], v[13:14], v[21:22]
	v_div_fixup_f64 v[7:8], v[9:10], v[7:8], 1.0
	v_lshlrev_b64 v[9:10], 3, v[1:2]
	v_add_nc_u32_e32 v1, s2, v1
	s_delay_alu instid0(VALU_DEP_2) | instskip(NEXT) | instid1(VALU_DEP_3)
	v_add_co_u32 v13, vcc_lo, s6, v9
	v_add_co_ci_u32_e32 v14, vcc_lo, s7, v10, vcc_lo
	v_add_co_u32 v9, vcc_lo, s8, v9
	v_add_co_ci_u32_e32 v10, vcc_lo, s9, v10, vcc_lo
	global_load_b64 v[13:14], v[13:14], off
	v_lshlrev_b64 v[0:1], 3, v[1:2]
	v_mul_f64 v[7:8], v[19:20], v[7:8]
	s_delay_alu instid0(VALU_DEP_1) | instskip(SKIP_1) | instid1(VALU_DEP_1)
	v_min_f64 v[7:8], v[7:8], s[0:1]
	s_waitcnt vmcnt(0)
	v_mul_f64 v[7:8], v[7:8], v[13:14]
	global_store_b64 v[9:10], v[7:8], off
	v_div_scale_f64 v[7:8], null, v[5:6], v[5:6], 1.0
	s_delay_alu instid0(VALU_DEP_1) | instskip(SKIP_2) | instid1(VALU_DEP_1)
	v_rcp_f64_e32 v[9:10], v[7:8]
	s_waitcnt_depctr 0xfff
	v_fma_f64 v[11:12], -v[7:8], v[9:10], 1.0
	v_fma_f64 v[9:10], v[9:10], v[11:12], v[9:10]
	s_delay_alu instid0(VALU_DEP_1) | instskip(NEXT) | instid1(VALU_DEP_1)
	v_fma_f64 v[11:12], -v[7:8], v[9:10], 1.0
	v_fma_f64 v[9:10], v[9:10], v[11:12], v[9:10]
	v_div_scale_f64 v[11:12], vcc_lo, 1.0, v[5:6], 1.0
	s_delay_alu instid0(VALU_DEP_1) | instskip(NEXT) | instid1(VALU_DEP_1)
	v_mul_f64 v[13:14], v[11:12], v[9:10]
	v_fma_f64 v[7:8], -v[7:8], v[13:14], v[11:12]
	s_delay_alu instid0(VALU_DEP_1) | instskip(NEXT) | instid1(VALU_DEP_1)
	v_div_fmas_f64 v[7:8], v[7:8], v[9:10], v[13:14]
	v_div_fixup_f64 v[5:6], v[7:8], v[5:6], 1.0
	s_delay_alu instid0(VALU_DEP_1)
	v_mul_f64 v[3:4], v[3:4], v[5:6]
	v_add_co_u32 v5, vcc_lo, s6, v0
	v_add_co_ci_u32_e32 v6, vcc_lo, s7, v1, vcc_lo
	v_add_co_u32 v0, vcc_lo, s8, v0
	v_add_co_ci_u32_e32 v1, vcc_lo, s9, v1, vcc_lo
	global_load_b64 v[5:6], v[5:6], off
	v_min_f64 v[2:3], v[3:4], s[0:1]
	s_waitcnt vmcnt(0)
	s_delay_alu instid0(VALU_DEP_1)
	v_mul_f64 v[2:3], v[2:3], v[5:6]
	global_store_b64 v[0:1], v[2:3], off
	s_nop 0
	s_sendmsg sendmsg(MSG_DEALLOC_VGPRS)
	s_endpgm
	.section	.rodata,"a",@progbits
	.p2align	6, 0x0
	.amdhsa_kernel _Z12ratt4_kernelIdEvPKT_S2_PS0_S2_S0_
		.amdhsa_group_segment_fixed_size 0
		.amdhsa_private_segment_fixed_size 0
		.amdhsa_kernarg_size 296
		.amdhsa_user_sgpr_count 15
		.amdhsa_user_sgpr_dispatch_ptr 0
		.amdhsa_user_sgpr_queue_ptr 0
		.amdhsa_user_sgpr_kernarg_segment_ptr 1
		.amdhsa_user_sgpr_dispatch_id 0
		.amdhsa_user_sgpr_private_segment_size 0
		.amdhsa_wavefront_size32 1
		.amdhsa_uses_dynamic_stack 0
		.amdhsa_enable_private_segment 0
		.amdhsa_system_sgpr_workgroup_id_x 1
		.amdhsa_system_sgpr_workgroup_id_y 0
		.amdhsa_system_sgpr_workgroup_id_z 0
		.amdhsa_system_sgpr_workgroup_info 0
		.amdhsa_system_vgpr_workitem_id 0
		.amdhsa_next_free_vgpr 51
		.amdhsa_next_free_sgpr 16
		.amdhsa_reserve_vcc 1
		.amdhsa_float_round_mode_32 0
		.amdhsa_float_round_mode_16_64 0
		.amdhsa_float_denorm_mode_32 3
		.amdhsa_float_denorm_mode_16_64 3
		.amdhsa_dx10_clamp 1
		.amdhsa_ieee_mode 1
		.amdhsa_fp16_overflow 0
		.amdhsa_workgroup_processor_mode 1
		.amdhsa_memory_ordered 1
		.amdhsa_forward_progress 0
		.amdhsa_shared_vgpr_count 0
		.amdhsa_exception_fp_ieee_invalid_op 0
		.amdhsa_exception_fp_denorm_src 0
		.amdhsa_exception_fp_ieee_div_zero 0
		.amdhsa_exception_fp_ieee_overflow 0
		.amdhsa_exception_fp_ieee_underflow 0
		.amdhsa_exception_fp_ieee_inexact 0
		.amdhsa_exception_int_div_zero 0
	.end_amdhsa_kernel
	.section	.text._Z12ratt4_kernelIdEvPKT_S2_PS0_S2_S0_,"axG",@progbits,_Z12ratt4_kernelIdEvPKT_S2_PS0_S2_S0_,comdat
.Lfunc_end32:
	.size	_Z12ratt4_kernelIdEvPKT_S2_PS0_S2_S0_, .Lfunc_end32-_Z12ratt4_kernelIdEvPKT_S2_PS0_S2_S0_
                                        ; -- End function
	.section	.AMDGPU.csdata,"",@progbits
; Kernel info:
; codeLenInByte = 5816
; NumSgprs: 18
; NumVgprs: 51
; ScratchSize: 0
; MemoryBound: 0
; FloatMode: 240
; IeeeMode: 1
; LDSByteSize: 0 bytes/workgroup (compile time only)
; SGPRBlocks: 2
; VGPRBlocks: 6
; NumSGPRsForWavesPerEU: 18
; NumVGPRsForWavesPerEU: 51
; Occupancy: 16
; WaveLimiterHint : 0
; COMPUTE_PGM_RSRC2:SCRATCH_EN: 0
; COMPUTE_PGM_RSRC2:USER_SGPR: 15
; COMPUTE_PGM_RSRC2:TRAP_HANDLER: 0
; COMPUTE_PGM_RSRC2:TGID_X_EN: 1
; COMPUTE_PGM_RSRC2:TGID_Y_EN: 0
; COMPUTE_PGM_RSRC2:TGID_Z_EN: 0
; COMPUTE_PGM_RSRC2:TIDIG_COMP_CNT: 0
	.section	.text._Z12ratt5_kernelIdEvPKT_S2_PS0_S2_S0_,"axG",@progbits,_Z12ratt5_kernelIdEvPKT_S2_PS0_S2_S0_,comdat
	.protected	_Z12ratt5_kernelIdEvPKT_S2_PS0_S2_S0_ ; -- Begin function _Z12ratt5_kernelIdEvPKT_S2_PS0_S2_S0_
	.globl	_Z12ratt5_kernelIdEvPKT_S2_PS0_S2_S0_
	.p2align	8
	.type	_Z12ratt5_kernelIdEvPKT_S2_PS0_S2_S0_,@function
_Z12ratt5_kernelIdEvPKT_S2_PS0_S2_S0_:  ; @_Z12ratt5_kernelIdEvPKT_S2_PS0_S2_S0_
; %bb.0:
	s_clause 0x3
	s_load_b256 s[4:11], s[0:1], 0x0
	s_load_b64 s[2:3], s[0:1], 0x20
	s_load_b32 s12, s[0:1], 0x28
	s_load_b32 s0, s[0:1], 0x34
	s_waitcnt lgkmcnt(0)
	s_and_b32 s13, s0, 0xffff
	s_brev_b32 s0, 12
	v_mad_u64_u32 v[1:2], null, s15, s13, v[0:1]
	v_mov_b32_e32 v2, 0
	s_mov_b32 s1, 0x4193d2c6
	s_delay_alu instid0(VALU_DEP_1) | instskip(NEXT) | instid1(VALU_DEP_1)
	v_lshlrev_b64 v[5:6], 3, v[1:2]
	v_add_co_u32 v3, vcc_lo, s4, v5
	s_delay_alu instid0(VALU_DEP_2) | instskip(SKIP_4) | instid1(SALU_CYCLE_1)
	v_add_co_ci_u32_e32 v4, vcc_lo, s5, v6, vcc_lo
	global_load_b64 v[3:4], v[3:4], off
	s_waitcnt vmcnt(0)
	v_mul_f64 v[3:4], v[3:4], s[2:3]
	s_mul_i32 s2, s12, s13
	s_mul_i32 s5, s2, 0xffffffbf
	;; [unrolled: 1-line block ×5, first 2 shown]
	s_delay_alu instid0(VALU_DEP_1) | instskip(SKIP_2) | instid1(VALU_DEP_1)
	v_mul_f64 v[3:4], v[3:4], s[0:1]
	s_mov_b32 s0, 0x4357691b
	s_mov_b32 s1, 0x479e17b8
	v_div_scale_f64 v[7:8], null, v[3:4], v[3:4], 1.0
	s_delay_alu instid0(VALU_DEP_1) | instskip(SKIP_2) | instid1(VALU_DEP_1)
	v_rcp_f64_e32 v[9:10], v[7:8]
	s_waitcnt_depctr 0xfff
	v_fma_f64 v[11:12], -v[7:8], v[9:10], 1.0
	v_fma_f64 v[9:10], v[9:10], v[11:12], v[9:10]
	s_delay_alu instid0(VALU_DEP_1) | instskip(NEXT) | instid1(VALU_DEP_1)
	v_fma_f64 v[11:12], -v[7:8], v[9:10], 1.0
	v_fma_f64 v[9:10], v[9:10], v[11:12], v[9:10]
	v_div_scale_f64 v[11:12], vcc_lo, 1.0, v[3:4], 1.0
	s_delay_alu instid0(VALU_DEP_1) | instskip(NEXT) | instid1(VALU_DEP_1)
	v_mul_f64 v[13:14], v[11:12], v[9:10]
	v_fma_f64 v[7:8], -v[7:8], v[13:14], v[11:12]
	s_delay_alu instid0(VALU_DEP_1) | instskip(NEXT) | instid1(VALU_DEP_1)
	v_div_fmas_f64 v[7:8], v[7:8], v[9:10], v[13:14]
	v_div_fixup_f64 v[3:4], v[7:8], v[3:4], 1.0
	s_delay_alu instid0(VALU_DEP_1) | instskip(SKIP_2) | instid1(VALU_DEP_1)
	v_mul_f64 v[7:8], 0x412eec04, v[3:4]
	v_mad_u64_u32 v[3:4], null, s2, 6, v[1:2]
	v_dual_mov_b32 v4, v2 :: v_dual_add_nc_u32 v1, s2, v1
	v_lshlrev_b64 v[9:10], 3, v[3:4]
	s_delay_alu instid0(VALU_DEP_1) | instskip(NEXT) | instid1(VALU_DEP_2)
	v_add_co_u32 v9, vcc_lo, s10, v9
	v_add_co_ci_u32_e32 v10, vcc_lo, s11, v10, vcc_lo
	global_load_b64 v[23:24], v[9:10], off
	v_mad_u64_u32 v[9:10], null, s2, 10, v[3:4]
	v_mov_b32_e32 v10, v2
	s_delay_alu instid0(VALU_DEP_1) | instskip(SKIP_2) | instid1(VALU_DEP_2)
	v_mad_u64_u32 v[13:14], null, s2, -9, v[9:10]
	v_mov_b32_e32 v14, v2
	v_lshlrev_b64 v[3:4], 3, v[9:10]
	v_lshlrev_b64 v[9:10], 3, v[13:14]
	s_delay_alu instid0(VALU_DEP_2) | instskip(NEXT) | instid1(VALU_DEP_3)
	v_add_co_u32 v3, vcc_lo, s10, v3
	v_add_co_ci_u32_e32 v4, vcc_lo, s11, v4, vcc_lo
	s_delay_alu instid0(VALU_DEP_3) | instskip(NEXT) | instid1(VALU_DEP_4)
	v_add_co_u32 v9, vcc_lo, s10, v9
	v_add_co_ci_u32_e32 v10, vcc_lo, s11, v10, vcc_lo
	s_clause 0x1
	global_load_b64 v[3:4], v[3:4], off
	global_load_b64 v[31:32], v[9:10], off
	v_lshl_add_u32 v9, s2, 3, v13
	v_mov_b32_e32 v10, v2
	s_delay_alu instid0(VALU_DEP_1) | instskip(NEXT) | instid1(VALU_DEP_1)
	v_lshlrev_b64 v[13:14], 3, v[9:10]
	v_add_co_u32 v13, vcc_lo, s10, v13
	s_delay_alu instid0(VALU_DEP_2)
	v_add_co_ci_u32_e32 v14, vcc_lo, s11, v14, vcc_lo
	global_load_b64 v[17:18], v[13:14], off
	s_waitcnt vmcnt(2)
	v_mul_f64 v[11:12], v[23:24], v[3:4]
	s_waitcnt vmcnt(0)
	v_mul_f64 v[13:14], v[31:32], v[17:18]
	s_delay_alu instid0(VALU_DEP_1) | instskip(NEXT) | instid1(VALU_DEP_1)
	v_div_scale_f64 v[15:16], null, v[13:14], v[13:14], 1.0
	v_rcp_f64_e32 v[19:20], v[15:16]
	s_waitcnt_depctr 0xfff
	v_fma_f64 v[21:22], -v[15:16], v[19:20], 1.0
	s_delay_alu instid0(VALU_DEP_1) | instskip(NEXT) | instid1(VALU_DEP_1)
	v_fma_f64 v[19:20], v[19:20], v[21:22], v[19:20]
	v_fma_f64 v[21:22], -v[15:16], v[19:20], 1.0
	s_delay_alu instid0(VALU_DEP_1) | instskip(SKIP_1) | instid1(VALU_DEP_1)
	v_fma_f64 v[19:20], v[19:20], v[21:22], v[19:20]
	v_div_scale_f64 v[21:22], vcc_lo, 1.0, v[13:14], 1.0
	v_mul_f64 v[25:26], v[21:22], v[19:20]
	s_delay_alu instid0(VALU_DEP_1) | instskip(NEXT) | instid1(VALU_DEP_1)
	v_fma_f64 v[15:16], -v[15:16], v[25:26], v[21:22]
	v_div_fmas_f64 v[15:16], v[15:16], v[19:20], v[25:26]
	s_delay_alu instid0(VALU_DEP_1) | instskip(NEXT) | instid1(VALU_DEP_1)
	v_div_fixup_f64 v[13:14], v[15:16], v[13:14], 1.0
	v_mul_f64 v[10:11], v[11:12], v[13:14]
	s_delay_alu instid0(VALU_DEP_1) | instskip(SKIP_1) | instid1(VALU_DEP_3)
	v_mad_u64_u32 v[12:13], null, s2, 60, v[9:10]
	v_mov_b32_e32 v13, v2
	v_min_f64 v[9:10], v[10:11], s[0:1]
	s_delay_alu instid0(VALU_DEP_2) | instskip(NEXT) | instid1(VALU_DEP_1)
	v_lshlrev_b64 v[13:14], 3, v[12:13]
	v_add_co_u32 v15, vcc_lo, s6, v13
	s_delay_alu instid0(VALU_DEP_2)
	v_add_co_ci_u32_e32 v16, vcc_lo, s7, v14, vcc_lo
	v_add_co_u32 v13, vcc_lo, s8, v13
	v_add_co_ci_u32_e32 v14, vcc_lo, s9, v14, vcc_lo
	global_load_b64 v[15:16], v[15:16], off
	s_waitcnt vmcnt(0)
	v_mul_f64 v[9:10], v[15:16], v[9:10]
	global_store_b64 v[13:14], v[9:10], off
	v_mad_u64_u32 v[9:10], null, 0xffffffbd, s2, v[12:13]
	v_mov_b32_e32 v10, v2
	v_mad_u64_u32 v[13:14], null, s2, 24, v[1:2]
	v_mov_b32_e32 v14, v2
	s_delay_alu instid0(VALU_DEP_3) | instskip(NEXT) | instid1(VALU_DEP_1)
	v_lshlrev_b64 v[9:10], 3, v[9:10]
	v_add_co_u32 v9, vcc_lo, s10, v9
	s_delay_alu instid0(VALU_DEP_2) | instskip(SKIP_3) | instid1(VALU_DEP_2)
	v_add_co_ci_u32_e32 v10, vcc_lo, s11, v10, vcc_lo
	global_load_b64 v[29:30], v[9:10], off
	v_lshlrev_b64 v[9:10], 3, v[1:2]
	v_lshlrev_b64 v[0:1], 3, v[13:14]
	v_add_co_u32 v9, vcc_lo, s10, v9
	s_delay_alu instid0(VALU_DEP_3) | instskip(NEXT) | instid1(VALU_DEP_3)
	v_add_co_ci_u32_e32 v10, vcc_lo, s11, v10, vcc_lo
	v_add_co_u32 v0, vcc_lo, s10, v0
	s_delay_alu instid0(VALU_DEP_4)
	v_add_co_ci_u32_e32 v1, vcc_lo, s11, v1, vcc_lo
	s_clause 0x1
	global_load_b64 v[9:10], v[9:10], off
	global_load_b64 v[0:1], v[0:1], off
	s_waitcnt vmcnt(2)
	v_mul_f64 v[11:12], v[3:4], v[29:30]
	s_waitcnt vmcnt(0)
	v_mul_f64 v[0:1], v[9:10], v[0:1]
	s_delay_alu instid0(VALU_DEP_1) | instskip(NEXT) | instid1(VALU_DEP_1)
	v_div_scale_f64 v[14:15], null, v[0:1], v[0:1], 1.0
	v_rcp_f64_e32 v[19:20], v[14:15]
	s_waitcnt_depctr 0xfff
	v_fma_f64 v[21:22], -v[14:15], v[19:20], 1.0
	s_delay_alu instid0(VALU_DEP_1) | instskip(NEXT) | instid1(VALU_DEP_1)
	v_fma_f64 v[19:20], v[19:20], v[21:22], v[19:20]
	v_fma_f64 v[21:22], -v[14:15], v[19:20], 1.0
	s_delay_alu instid0(VALU_DEP_1) | instskip(SKIP_1) | instid1(VALU_DEP_1)
	v_fma_f64 v[19:20], v[19:20], v[21:22], v[19:20]
	v_div_scale_f64 v[21:22], vcc_lo, 1.0, v[0:1], 1.0
	v_mul_f64 v[25:26], v[21:22], v[19:20]
	s_delay_alu instid0(VALU_DEP_1) | instskip(NEXT) | instid1(VALU_DEP_1)
	v_fma_f64 v[14:15], -v[14:15], v[25:26], v[21:22]
	v_div_fmas_f64 v[14:15], v[14:15], v[19:20], v[25:26]
	s_delay_alu instid0(VALU_DEP_1) | instskip(NEXT) | instid1(VALU_DEP_1)
	v_div_fixup_f64 v[0:1], v[14:15], v[0:1], 1.0
	v_mul_f64 v[0:1], v[11:12], v[0:1]
	v_mad_u64_u32 v[11:12], null, s2, 51, v[13:14]
	v_mov_b32_e32 v12, v2
	s_delay_alu instid0(VALU_DEP_1) | instskip(NEXT) | instid1(VALU_DEP_1)
	v_lshlrev_b64 v[12:13], 3, v[11:12]
	v_add_co_u32 v14, vcc_lo, s6, v12
	s_delay_alu instid0(VALU_DEP_2)
	v_add_co_ci_u32_e32 v15, vcc_lo, s7, v13, vcc_lo
	v_add_co_u32 v12, vcc_lo, s8, v12
	v_add_co_ci_u32_e32 v13, vcc_lo, s9, v13, vcc_lo
	global_load_b64 v[14:15], v[14:15], off
	v_min_f64 v[0:1], v[0:1], s[0:1]
	s_waitcnt vmcnt(0)
	s_delay_alu instid0(VALU_DEP_1) | instskip(SKIP_2) | instid1(VALU_DEP_1)
	v_mul_f64 v[0:1], v[14:15], v[0:1]
	global_store_b64 v[12:13], v[0:1], off
	v_add_nc_u32_e32 v1, s5, v11
	v_lshlrev_b64 v[11:12], 3, v[1:2]
	v_add_nc_u32_e32 v1, s2, v1
	s_delay_alu instid0(VALU_DEP_1) | instskip(NEXT) | instid1(VALU_DEP_3)
	v_lshlrev_b64 v[15:16], 3, v[1:2]
	v_add_co_u32 v11, vcc_lo, s10, v11
	s_delay_alu instid0(VALU_DEP_4) | instskip(NEXT) | instid1(VALU_DEP_3)
	v_add_co_ci_u32_e32 v12, vcc_lo, s11, v12, vcc_lo
	v_add_co_u32 v15, vcc_lo, s10, v15
	s_delay_alu instid0(VALU_DEP_4)
	v_add_co_ci_u32_e32 v16, vcc_lo, s11, v16, vcc_lo
	s_clause 0x1
	global_load_b64 v[13:14], v[11:12], off
	global_load_b64 v[25:26], v[15:16], off
	s_waitcnt vmcnt(1)
	v_mul_f64 v[11:12], v[9:10], v[13:14]
	v_mul_f64 v[31:32], v[31:32], v[13:14]
	s_waitcnt vmcnt(0)
	v_div_scale_f64 v[15:16], null, v[25:26], v[25:26], 1.0
	s_delay_alu instid0(VALU_DEP_3) | instskip(NEXT) | instid1(VALU_DEP_2)
	v_mul_f64 v[11:12], v[7:8], v[11:12]
	v_rcp_f64_e32 v[19:20], v[15:16]
	s_waitcnt_depctr 0xfff
	v_fma_f64 v[21:22], -v[15:16], v[19:20], 1.0
	s_delay_alu instid0(VALU_DEP_1) | instskip(NEXT) | instid1(VALU_DEP_1)
	v_fma_f64 v[19:20], v[19:20], v[21:22], v[19:20]
	v_fma_f64 v[21:22], -v[15:16], v[19:20], 1.0
	s_delay_alu instid0(VALU_DEP_1) | instskip(SKIP_1) | instid1(VALU_DEP_1)
	v_fma_f64 v[19:20], v[19:20], v[21:22], v[19:20]
	v_div_scale_f64 v[21:22], vcc_lo, 1.0, v[25:26], 1.0
	v_mul_f64 v[27:28], v[21:22], v[19:20]
	s_delay_alu instid0(VALU_DEP_1) | instskip(NEXT) | instid1(VALU_DEP_1)
	v_fma_f64 v[15:16], -v[15:16], v[27:28], v[21:22]
	v_div_fmas_f64 v[15:16], v[15:16], v[19:20], v[27:28]
	s_delay_alu instid0(VALU_DEP_1) | instskip(NEXT) | instid1(VALU_DEP_1)
	v_div_fixup_f64 v[15:16], v[15:16], v[25:26], 1.0
	v_mul_f64 v[11:12], v[15:16], v[11:12]
	v_mad_u64_u32 v[15:16], null, 0x41, s2, v[1:2]
	v_mov_b32_e32 v16, v2
	s_delay_alu instid0(VALU_DEP_1) | instskip(NEXT) | instid1(VALU_DEP_1)
	v_lshlrev_b64 v[0:1], 3, v[15:16]
	v_add_co_u32 v19, vcc_lo, s6, v0
	s_delay_alu instid0(VALU_DEP_2)
	v_add_co_ci_u32_e32 v20, vcc_lo, s7, v1, vcc_lo
	v_add_co_u32 v0, vcc_lo, s8, v0
	v_add_co_ci_u32_e32 v1, vcc_lo, s9, v1, vcc_lo
	global_load_b64 v[19:20], v[19:20], off
	v_min_f64 v[11:12], v[11:12], s[0:1]
	s_waitcnt vmcnt(0)
	s_delay_alu instid0(VALU_DEP_1) | instskip(SKIP_4) | instid1(VALU_DEP_1)
	v_mul_f64 v[11:12], v[19:20], v[11:12]
	global_store_b64 v[0:1], v[11:12], off
	v_mad_u64_u32 v[0:1], null, 0xffffffb5, s2, v[15:16]
	v_mul_f64 v[15:16], v[3:4], v[9:10]
	v_mov_b32_e32 v1, v2
	v_lshlrev_b64 v[11:12], 3, v[0:1]
	s_delay_alu instid0(VALU_DEP_1) | instskip(NEXT) | instid1(VALU_DEP_2)
	v_add_co_u32 v11, vcc_lo, s10, v11
	v_add_co_ci_u32_e32 v12, vcc_lo, s11, v12, vcc_lo
	global_load_b64 v[27:28], v[11:12], off
	v_div_scale_f64 v[19:20], null, v[15:16], v[15:16], 1.0
	s_delay_alu instid0(VALU_DEP_1) | instskip(SKIP_2) | instid1(VALU_DEP_1)
	v_rcp_f64_e32 v[21:22], v[19:20]
	s_waitcnt_depctr 0xfff
	v_fma_f64 v[33:34], -v[19:20], v[21:22], 1.0
	v_fma_f64 v[21:22], v[21:22], v[33:34], v[21:22]
	s_delay_alu instid0(VALU_DEP_1) | instskip(NEXT) | instid1(VALU_DEP_1)
	v_fma_f64 v[33:34], -v[19:20], v[21:22], 1.0
	v_fma_f64 v[21:22], v[21:22], v[33:34], v[21:22]
	v_div_scale_f64 v[33:34], vcc_lo, 1.0, v[15:16], 1.0
	s_delay_alu instid0(VALU_DEP_1) | instskip(NEXT) | instid1(VALU_DEP_1)
	v_mul_f64 v[35:36], v[33:34], v[21:22]
	v_fma_f64 v[19:20], -v[19:20], v[35:36], v[33:34]
	s_waitcnt vmcnt(0)
	v_mul_f64 v[11:12], v[13:14], v[27:28]
	s_delay_alu instid0(VALU_DEP_2) | instskip(NEXT) | instid1(VALU_DEP_1)
	v_div_fmas_f64 v[19:20], v[19:20], v[21:22], v[35:36]
	v_div_fixup_f64 v[15:16], v[19:20], v[15:16], 1.0
	s_delay_alu instid0(VALU_DEP_1) | instskip(SKIP_2) | instid1(VALU_DEP_1)
	v_mul_f64 v[11:12], v[15:16], v[11:12]
	v_mad_u64_u32 v[15:16], null, 0x4c, s2, v[0:1]
	v_mov_b32_e32 v16, v2
	v_lshlrev_b64 v[0:1], 3, v[15:16]
	s_delay_alu instid0(VALU_DEP_1) | instskip(NEXT) | instid1(VALU_DEP_2)
	v_add_co_u32 v19, vcc_lo, s6, v0
	v_add_co_ci_u32_e32 v20, vcc_lo, s7, v1, vcc_lo
	v_add_co_u32 v0, vcc_lo, s8, v0
	v_add_co_ci_u32_e32 v1, vcc_lo, s9, v1, vcc_lo
	global_load_b64 v[19:20], v[19:20], off
	v_min_f64 v[11:12], v[11:12], s[0:1]
	s_waitcnt vmcnt(0)
	s_delay_alu instid0(VALU_DEP_1) | instskip(SKIP_3) | instid1(VALU_DEP_1)
	v_mul_f64 v[11:12], v[19:20], v[11:12]
	global_store_b64 v[0:1], v[11:12], off
	v_mad_u64_u32 v[0:1], null, 0xffffffb6, s2, v[15:16]
	v_mov_b32_e32 v1, v2
	v_lshlrev_b64 v[11:12], 3, v[0:1]
	v_add_nc_u32_e32 v1, s2, v0
	s_delay_alu instid0(VALU_DEP_2) | instskip(NEXT) | instid1(VALU_DEP_3)
	v_add_co_u32 v11, vcc_lo, s10, v11
	v_add_co_ci_u32_e32 v12, vcc_lo, s11, v12, vcc_lo
	global_load_b64 v[21:22], v[11:12], off
	v_lshlrev_b64 v[11:12], 3, v[1:2]
	v_lshl_add_u32 v1, s2, 2, v1
	s_delay_alu instid0(VALU_DEP_1) | instskip(NEXT) | instid1(VALU_DEP_3)
	v_lshlrev_b64 v[19:20], 3, v[1:2]
	v_add_co_u32 v11, vcc_lo, s10, v11
	s_delay_alu instid0(VALU_DEP_4) | instskip(SKIP_1) | instid1(VALU_DEP_4)
	v_add_co_ci_u32_e32 v12, vcc_lo, s11, v12, vcc_lo
	v_add_nc_u32_e32 v1, s3, v1
	v_add_co_u32 v19, vcc_lo, s10, v19
	v_add_co_ci_u32_e32 v20, vcc_lo, s11, v20, vcc_lo
	s_clause 0x1
	global_load_b64 v[11:12], v[11:12], off
	global_load_b64 v[37:38], v[19:20], off
	s_waitcnt vmcnt(2)
	v_mul_f64 v[15:16], v[13:14], v[21:22]
	s_waitcnt vmcnt(0)
	v_mul_f64 v[19:20], v[11:12], v[37:38]
	s_delay_alu instid0(VALU_DEP_1) | instskip(NEXT) | instid1(VALU_DEP_1)
	v_div_scale_f64 v[33:34], null, v[19:20], v[19:20], 1.0
	v_rcp_f64_e32 v[35:36], v[33:34]
	s_waitcnt_depctr 0xfff
	v_fma_f64 v[39:40], -v[33:34], v[35:36], 1.0
	s_delay_alu instid0(VALU_DEP_1) | instskip(NEXT) | instid1(VALU_DEP_1)
	v_fma_f64 v[35:36], v[35:36], v[39:40], v[35:36]
	v_fma_f64 v[39:40], -v[33:34], v[35:36], 1.0
	s_delay_alu instid0(VALU_DEP_1) | instskip(SKIP_1) | instid1(VALU_DEP_1)
	v_fma_f64 v[35:36], v[35:36], v[39:40], v[35:36]
	v_div_scale_f64 v[39:40], vcc_lo, 1.0, v[19:20], 1.0
	v_mul_f64 v[41:42], v[39:40], v[35:36]
	s_delay_alu instid0(VALU_DEP_1) | instskip(NEXT) | instid1(VALU_DEP_1)
	v_fma_f64 v[33:34], -v[33:34], v[41:42], v[39:40]
	v_div_fmas_f64 v[33:34], v[33:34], v[35:36], v[41:42]
	s_delay_alu instid0(VALU_DEP_1) | instskip(SKIP_2) | instid1(VALU_DEP_2)
	v_div_fixup_f64 v[19:20], v[33:34], v[19:20], 1.0
	v_lshlrev_b64 v[33:34], 3, v[1:2]
	v_add_nc_u32_e32 v1, s4, v1
	v_add_co_u32 v35, vcc_lo, s6, v33
	s_delay_alu instid0(VALU_DEP_3) | instskip(SKIP_4) | instid1(VALU_DEP_1)
	v_add_co_ci_u32_e32 v36, vcc_lo, s7, v34, vcc_lo
	v_add_co_u32 v33, vcc_lo, s8, v33
	v_add_co_ci_u32_e32 v34, vcc_lo, s9, v34, vcc_lo
	global_load_b64 v[35:36], v[35:36], off
	v_mul_f64 v[19:20], v[15:16], v[19:20]
	v_min_f64 v[19:20], v[19:20], s[0:1]
	s_waitcnt vmcnt(0)
	s_delay_alu instid0(VALU_DEP_1) | instskip(SKIP_3) | instid1(VALU_DEP_2)
	v_mul_f64 v[19:20], v[35:36], v[19:20]
	global_store_b64 v[33:34], v[19:20], off
	v_lshlrev_b64 v[19:20], 3, v[1:2]
	v_add_nc_u32_e32 v1, s3, v1
	v_add_co_u32 v19, vcc_lo, s10, v19
	s_delay_alu instid0(VALU_DEP_3) | instskip(SKIP_3) | instid1(VALU_DEP_1)
	v_add_co_ci_u32_e32 v20, vcc_lo, s11, v20, vcc_lo
	global_load_b64 v[39:40], v[19:20], off
	s_waitcnt vmcnt(0)
	v_mul_f64 v[19:20], v[11:12], v[39:40]
	v_div_scale_f64 v[33:34], null, v[19:20], v[19:20], 1.0
	s_delay_alu instid0(VALU_DEP_1) | instskip(SKIP_2) | instid1(VALU_DEP_1)
	v_rcp_f64_e32 v[35:36], v[33:34]
	s_waitcnt_depctr 0xfff
	v_fma_f64 v[41:42], -v[33:34], v[35:36], 1.0
	v_fma_f64 v[35:36], v[35:36], v[41:42], v[35:36]
	s_delay_alu instid0(VALU_DEP_1) | instskip(NEXT) | instid1(VALU_DEP_1)
	v_fma_f64 v[41:42], -v[33:34], v[35:36], 1.0
	v_fma_f64 v[35:36], v[35:36], v[41:42], v[35:36]
	v_div_scale_f64 v[41:42], vcc_lo, 1.0, v[19:20], 1.0
	s_delay_alu instid0(VALU_DEP_1) | instskip(NEXT) | instid1(VALU_DEP_1)
	v_mul_f64 v[43:44], v[41:42], v[35:36]
	v_fma_f64 v[33:34], -v[33:34], v[43:44], v[41:42]
	s_delay_alu instid0(VALU_DEP_1) | instskip(SKIP_1) | instid1(VALU_DEP_1)
	v_div_fmas_f64 v[33:34], v[33:34], v[35:36], v[43:44]
	v_lshlrev_b64 v[35:36], 3, v[1:2]
	v_add_co_u32 v41, vcc_lo, s6, v35
	s_delay_alu instid0(VALU_DEP_2) | instskip(SKIP_4) | instid1(VALU_DEP_1)
	v_add_co_ci_u32_e32 v42, vcc_lo, s7, v36, vcc_lo
	v_add_co_u32 v35, vcc_lo, s8, v35
	v_add_co_ci_u32_e32 v36, vcc_lo, s9, v36, vcc_lo
	global_load_b64 v[41:42], v[41:42], off
	v_div_fixup_f64 v[19:20], v[33:34], v[19:20], 1.0
	v_mul_f64 v[33:34], v[15:16], v[19:20]
	s_delay_alu instid0(VALU_DEP_1) | instskip(SKIP_1) | instid1(VALU_DEP_1)
	v_min_f64 v[33:34], v[33:34], s[0:1]
	s_waitcnt vmcnt(0)
	v_mul_f64 v[33:34], v[41:42], v[33:34]
	global_store_b64 v[35:36], v[33:34], off
	v_mad_u64_u32 v[33:34], null, 0xffffffb3, s2, v[1:2]
	v_mov_b32_e32 v34, v2
	s_delay_alu instid0(VALU_DEP_1) | instskip(NEXT) | instid1(VALU_DEP_1)
	v_lshlrev_b64 v[0:1], 3, v[33:34]
	v_add_co_u32 v0, vcc_lo, s10, v0
	s_delay_alu instid0(VALU_DEP_2) | instskip(SKIP_3) | instid1(VALU_DEP_1)
	v_add_co_ci_u32_e32 v1, vcc_lo, s11, v1, vcc_lo
	global_load_b64 v[41:42], v[0:1], off
	v_mad_u64_u32 v[0:1], null, s2, 14, v[33:34]
	v_mov_b32_e32 v1, v2
	v_lshlrev_b64 v[33:34], 3, v[0:1]
	v_lshl_add_u32 v1, s2, 6, v0
	s_delay_alu instid0(VALU_DEP_2) | instskip(NEXT) | instid1(VALU_DEP_3)
	v_add_co_u32 v33, vcc_lo, s10, v33
	v_add_co_ci_u32_e32 v34, vcc_lo, s11, v34, vcc_lo
	global_load_b64 v[33:34], v[33:34], off
	s_waitcnt vmcnt(1)
	v_mul_f64 v[43:44], v[13:14], v[41:42]
	v_mul_f64 v[41:42], v[25:26], v[41:42]
	s_waitcnt vmcnt(0)
	v_mul_f64 v[27:28], v[27:28], v[33:34]
	s_delay_alu instid0(VALU_DEP_1) | instskip(NEXT) | instid1(VALU_DEP_1)
	v_div_scale_f64 v[35:36], null, v[27:28], v[27:28], 1.0
	v_rcp_f64_e32 v[45:46], v[35:36]
	s_waitcnt_depctr 0xfff
	v_fma_f64 v[47:48], -v[35:36], v[45:46], 1.0
	s_delay_alu instid0(VALU_DEP_1) | instskip(NEXT) | instid1(VALU_DEP_1)
	v_fma_f64 v[45:46], v[45:46], v[47:48], v[45:46]
	v_fma_f64 v[47:48], -v[35:36], v[45:46], 1.0
	s_delay_alu instid0(VALU_DEP_1) | instskip(SKIP_1) | instid1(VALU_DEP_1)
	v_fma_f64 v[45:46], v[45:46], v[47:48], v[45:46]
	v_div_scale_f64 v[47:48], vcc_lo, 1.0, v[27:28], 1.0
	v_mul_f64 v[49:50], v[47:48], v[45:46]
	s_delay_alu instid0(VALU_DEP_1) | instskip(NEXT) | instid1(VALU_DEP_1)
	v_fma_f64 v[35:36], -v[35:36], v[49:50], v[47:48]
	v_div_fmas_f64 v[35:36], v[35:36], v[45:46], v[49:50]
	v_lshlrev_b64 v[45:46], 3, v[1:2]
	v_add_nc_u32_e32 v1, s2, v1
	s_delay_alu instid0(VALU_DEP_2) | instskip(NEXT) | instid1(VALU_DEP_3)
	v_add_co_u32 v47, vcc_lo, s6, v45
	v_add_co_ci_u32_e32 v48, vcc_lo, s7, v46, vcc_lo
	v_add_co_u32 v45, vcc_lo, s8, v45
	v_add_co_ci_u32_e32 v46, vcc_lo, s9, v46, vcc_lo
	global_load_b64 v[47:48], v[47:48], off
	v_div_fixup_f64 v[35:36], v[35:36], v[27:28], 1.0
	s_delay_alu instid0(VALU_DEP_1) | instskip(NEXT) | instid1(VALU_DEP_1)
	v_mul_f64 v[35:36], v[43:44], v[35:36]
	v_min_f64 v[35:36], v[35:36], s[0:1]
	s_waitcnt vmcnt(0)
	s_delay_alu instid0(VALU_DEP_1) | instskip(SKIP_3) | instid1(VALU_DEP_2)
	v_mul_f64 v[35:36], v[47:48], v[35:36]
	global_store_b64 v[45:46], v[35:36], off
	v_mul_f64 v[35:36], v[3:4], v[21:22]
	v_mul_f64 v[21:22], v[21:22], v[33:34]
	v_div_scale_f64 v[45:46], null, v[35:36], v[35:36], 1.0
	s_delay_alu instid0(VALU_DEP_1) | instskip(SKIP_2) | instid1(VALU_DEP_1)
	v_rcp_f64_e32 v[47:48], v[45:46]
	s_waitcnt_depctr 0xfff
	v_fma_f64 v[49:50], -v[45:46], v[47:48], 1.0
	v_fma_f64 v[47:48], v[47:48], v[49:50], v[47:48]
	s_delay_alu instid0(VALU_DEP_1) | instskip(NEXT) | instid1(VALU_DEP_1)
	v_fma_f64 v[49:50], -v[45:46], v[47:48], 1.0
	v_fma_f64 v[47:48], v[47:48], v[49:50], v[47:48]
	v_div_scale_f64 v[49:50], vcc_lo, 1.0, v[35:36], 1.0
	s_delay_alu instid0(VALU_DEP_1) | instskip(NEXT) | instid1(VALU_DEP_1)
	v_mul_f64 v[51:52], v[49:50], v[47:48]
	v_fma_f64 v[45:46], -v[45:46], v[51:52], v[49:50]
	s_delay_alu instid0(VALU_DEP_1) | instskip(NEXT) | instid1(VALU_DEP_1)
	v_div_fmas_f64 v[45:46], v[45:46], v[47:48], v[51:52]
	v_div_fixup_f64 v[35:36], v[45:46], v[35:36], 1.0
	v_lshlrev_b64 v[45:46], 3, v[1:2]
	v_add_nc_u32_e32 v1, s2, v1
	s_delay_alu instid0(VALU_DEP_2) | instskip(NEXT) | instid1(VALU_DEP_3)
	v_add_co_u32 v47, vcc_lo, s6, v45
	v_add_co_ci_u32_e32 v48, vcc_lo, s7, v46, vcc_lo
	v_add_co_u32 v45, vcc_lo, s8, v45
	v_add_co_ci_u32_e32 v46, vcc_lo, s9, v46, vcc_lo
	global_load_b64 v[47:48], v[47:48], off
	v_mul_f64 v[43:44], v[35:36], v[43:44]
	s_delay_alu instid0(VALU_DEP_1) | instskip(SKIP_1) | instid1(VALU_DEP_1)
	v_min_f64 v[43:44], v[43:44], s[0:1]
	s_waitcnt vmcnt(0)
	v_mul_f64 v[43:44], v[43:44], v[47:48]
	global_store_b64 v[45:46], v[43:44], off
	v_div_scale_f64 v[45:46], null, v[41:42], v[41:42], 1.0
	v_mul_f64 v[43:44], v[23:24], v[13:14]
	v_mul_f64 v[23:24], v[23:24], v[25:26]
	s_delay_alu instid0(VALU_DEP_3) | instskip(SKIP_2) | instid1(VALU_DEP_1)
	v_rcp_f64_e32 v[47:48], v[45:46]
	s_waitcnt_depctr 0xfff
	v_fma_f64 v[49:50], -v[45:46], v[47:48], 1.0
	v_fma_f64 v[47:48], v[47:48], v[49:50], v[47:48]
	s_delay_alu instid0(VALU_DEP_1) | instskip(NEXT) | instid1(VALU_DEP_1)
	v_fma_f64 v[49:50], -v[45:46], v[47:48], 1.0
	v_fma_f64 v[47:48], v[47:48], v[49:50], v[47:48]
	v_div_scale_f64 v[49:50], vcc_lo, 1.0, v[41:42], 1.0
	s_delay_alu instid0(VALU_DEP_1) | instskip(NEXT) | instid1(VALU_DEP_1)
	v_mul_f64 v[51:52], v[49:50], v[47:48]
	v_fma_f64 v[45:46], -v[45:46], v[51:52], v[49:50]
	s_delay_alu instid0(VALU_DEP_1) | instskip(NEXT) | instid1(VALU_DEP_1)
	v_div_fmas_f64 v[45:46], v[45:46], v[47:48], v[51:52]
	v_div_fixup_f64 v[41:42], v[45:46], v[41:42], 1.0
	v_lshlrev_b64 v[45:46], 3, v[1:2]
	v_add_nc_u32_e32 v1, s2, v1
	s_delay_alu instid0(VALU_DEP_2) | instskip(NEXT) | instid1(VALU_DEP_3)
	v_add_co_u32 v47, vcc_lo, s6, v45
	v_add_co_ci_u32_e32 v48, vcc_lo, s7, v46, vcc_lo
	v_add_co_u32 v45, vcc_lo, s8, v45
	v_add_co_ci_u32_e32 v46, vcc_lo, s9, v46, vcc_lo
	global_load_b64 v[47:48], v[47:48], off
	v_mul_f64 v[41:42], v[43:44], v[41:42]
	s_delay_alu instid0(VALU_DEP_1) | instskip(SKIP_1) | instid1(VALU_DEP_1)
	v_min_f64 v[41:42], v[41:42], s[0:1]
	s_waitcnt vmcnt(0)
	v_mul_f64 v[41:42], v[41:42], v[47:48]
	global_store_b64 v[45:46], v[41:42], off
	v_div_scale_f64 v[41:42], null, v[21:22], v[21:22], 1.0
	s_delay_alu instid0(VALU_DEP_1) | instskip(SKIP_2) | instid1(VALU_DEP_1)
	v_rcp_f64_e32 v[45:46], v[41:42]
	s_waitcnt_depctr 0xfff
	v_fma_f64 v[47:48], -v[41:42], v[45:46], 1.0
	v_fma_f64 v[45:46], v[45:46], v[47:48], v[45:46]
	s_delay_alu instid0(VALU_DEP_1) | instskip(NEXT) | instid1(VALU_DEP_1)
	v_fma_f64 v[47:48], -v[41:42], v[45:46], 1.0
	v_fma_f64 v[45:46], v[45:46], v[47:48], v[45:46]
	v_div_scale_f64 v[47:48], vcc_lo, 1.0, v[21:22], 1.0
	s_delay_alu instid0(VALU_DEP_1) | instskip(NEXT) | instid1(VALU_DEP_1)
	v_mul_f64 v[49:50], v[47:48], v[45:46]
	v_fma_f64 v[41:42], -v[41:42], v[49:50], v[47:48]
	s_delay_alu instid0(VALU_DEP_1) | instskip(NEXT) | instid1(VALU_DEP_1)
	v_div_fmas_f64 v[41:42], v[41:42], v[45:46], v[49:50]
	v_div_fixup_f64 v[41:42], v[41:42], v[21:22], 1.0
	s_delay_alu instid0(VALU_DEP_1) | instskip(SKIP_2) | instid1(VALU_DEP_2)
	v_mul_f64 v[41:42], v[43:44], v[41:42]
	v_lshlrev_b64 v[43:44], 3, v[1:2]
	v_add_nc_u32_e32 v1, s2, v1
	v_add_co_u32 v45, vcc_lo, s6, v43
	s_delay_alu instid0(VALU_DEP_3)
	v_add_co_ci_u32_e32 v46, vcc_lo, s7, v44, vcc_lo
	v_add_co_u32 v43, vcc_lo, s8, v43
	v_add_co_ci_u32_e32 v44, vcc_lo, s9, v44, vcc_lo
	global_load_b64 v[45:46], v[45:46], off
	v_min_f64 v[41:42], v[41:42], s[0:1]
	s_waitcnt vmcnt(0)
	s_delay_alu instid0(VALU_DEP_1) | instskip(SKIP_2) | instid1(VALU_DEP_1)
	v_mul_f64 v[41:42], v[41:42], v[45:46]
	global_store_b64 v[43:44], v[41:42], off
	v_div_scale_f64 v[41:42], null, v[23:24], v[23:24], 1.0
	v_rcp_f64_e32 v[43:44], v[41:42]
	s_waitcnt_depctr 0xfff
	v_fma_f64 v[45:46], -v[41:42], v[43:44], 1.0
	s_delay_alu instid0(VALU_DEP_1) | instskip(NEXT) | instid1(VALU_DEP_1)
	v_fma_f64 v[43:44], v[43:44], v[45:46], v[43:44]
	v_fma_f64 v[45:46], -v[41:42], v[43:44], 1.0
	s_delay_alu instid0(VALU_DEP_1) | instskip(SKIP_1) | instid1(VALU_DEP_1)
	v_fma_f64 v[43:44], v[43:44], v[45:46], v[43:44]
	v_div_scale_f64 v[45:46], vcc_lo, 1.0, v[23:24], 1.0
	v_mul_f64 v[47:48], v[45:46], v[43:44]
	s_delay_alu instid0(VALU_DEP_1) | instskip(NEXT) | instid1(VALU_DEP_1)
	v_fma_f64 v[41:42], -v[41:42], v[47:48], v[45:46]
	v_div_fmas_f64 v[41:42], v[41:42], v[43:44], v[47:48]
	s_delay_alu instid0(VALU_DEP_1) | instskip(NEXT) | instid1(VALU_DEP_1)
	v_div_fixup_f64 v[23:24], v[41:42], v[23:24], 1.0
	v_mul_f64 v[23:24], v[31:32], v[23:24]
	v_lshlrev_b64 v[31:32], 3, v[1:2]
	v_add_nc_u32_e32 v1, s5, v1
	s_mul_i32 s5, s2, 0xffffffbc
	s_delay_alu instid0(VALU_DEP_2) | instskip(NEXT) | instid1(VALU_DEP_3)
	v_add_co_u32 v41, vcc_lo, s6, v31
	v_add_co_ci_u32_e32 v42, vcc_lo, s7, v32, vcc_lo
	v_add_co_u32 v31, vcc_lo, s8, v31
	v_add_co_ci_u32_e32 v32, vcc_lo, s9, v32, vcc_lo
	global_load_b64 v[41:42], v[41:42], off
	v_min_f64 v[23:24], v[23:24], s[0:1]
	s_waitcnt vmcnt(0)
	s_delay_alu instid0(VALU_DEP_1) | instskip(SKIP_3) | instid1(VALU_DEP_1)
	v_mul_f64 v[23:24], v[23:24], v[41:42]
	global_store_b64 v[31:32], v[23:24], off
	v_mul_f64 v[23:24], v[29:30], v[13:14]
	v_lshlrev_b64 v[29:30], 3, v[1:2]
	v_add_co_u32 v29, vcc_lo, s10, v29
	s_delay_alu instid0(VALU_DEP_2) | instskip(SKIP_3) | instid1(VALU_DEP_1)
	v_add_co_ci_u32_e32 v30, vcc_lo, s11, v30, vcc_lo
	global_load_b64 v[29:30], v[29:30], off
	s_waitcnt vmcnt(0)
	v_mul_f64 v[29:30], v[9:10], v[29:30]
	v_div_scale_f64 v[31:32], null, v[29:30], v[29:30], 1.0
	s_delay_alu instid0(VALU_DEP_1) | instskip(SKIP_2) | instid1(VALU_DEP_1)
	v_rcp_f64_e32 v[41:42], v[31:32]
	s_waitcnt_depctr 0xfff
	v_fma_f64 v[43:44], -v[31:32], v[41:42], 1.0
	v_fma_f64 v[41:42], v[41:42], v[43:44], v[41:42]
	s_delay_alu instid0(VALU_DEP_1) | instskip(NEXT) | instid1(VALU_DEP_1)
	v_fma_f64 v[43:44], -v[31:32], v[41:42], 1.0
	v_fma_f64 v[41:42], v[41:42], v[43:44], v[41:42]
	v_div_scale_f64 v[43:44], vcc_lo, 1.0, v[29:30], 1.0
	s_delay_alu instid0(VALU_DEP_1) | instskip(NEXT) | instid1(VALU_DEP_1)
	v_mul_f64 v[45:46], v[43:44], v[41:42]
	v_fma_f64 v[31:32], -v[31:32], v[45:46], v[43:44]
	s_delay_alu instid0(VALU_DEP_1) | instskip(NEXT) | instid1(VALU_DEP_1)
	v_div_fmas_f64 v[31:32], v[31:32], v[41:42], v[45:46]
	v_div_fixup_f64 v[29:30], v[31:32], v[29:30], 1.0
	s_delay_alu instid0(VALU_DEP_1) | instskip(SKIP_2) | instid1(VALU_DEP_1)
	v_mul_f64 v[23:24], v[23:24], v[29:30]
	v_mad_u64_u32 v[29:30], null, 0x42, s2, v[1:2]
	v_mov_b32_e32 v30, v2
	v_lshlrev_b64 v[0:1], 3, v[29:30]
	s_delay_alu instid0(VALU_DEP_1) | instskip(NEXT) | instid1(VALU_DEP_2)
	v_add_co_u32 v31, vcc_lo, s6, v0
	v_add_co_ci_u32_e32 v32, vcc_lo, s7, v1, vcc_lo
	v_add_co_u32 v0, vcc_lo, s8, v0
	v_add_co_ci_u32_e32 v1, vcc_lo, s9, v1, vcc_lo
	global_load_b64 v[31:32], v[31:32], off
	v_min_f64 v[23:24], v[23:24], s[0:1]
	s_waitcnt vmcnt(0)
	s_delay_alu instid0(VALU_DEP_1)
	v_mul_f64 v[23:24], v[31:32], v[23:24]
	global_store_b64 v[0:1], v[23:24], off
	v_mad_u64_u32 v[23:24], null, 0xffffffb7, s2, v[29:30]
	v_mov_b32_e32 v24, v2
	v_mul_f64 v[0:1], v[17:18], v[13:14]
	v_mul_f64 v[17:18], v[17:18], v[25:26]
	s_delay_alu instid0(VALU_DEP_3) | instskip(NEXT) | instid1(VALU_DEP_1)
	v_lshlrev_b64 v[29:30], 3, v[23:24]
	v_add_co_u32 v29, vcc_lo, s10, v29
	s_delay_alu instid0(VALU_DEP_2) | instskip(SKIP_3) | instid1(VALU_DEP_1)
	v_add_co_ci_u32_e32 v30, vcc_lo, s11, v30, vcc_lo
	global_load_b64 v[29:30], v[29:30], off
	s_waitcnt vmcnt(0)
	v_mul_f64 v[31:32], v[25:26], v[29:30]
	v_div_scale_f64 v[41:42], null, v[31:32], v[31:32], 1.0
	s_delay_alu instid0(VALU_DEP_1) | instskip(SKIP_2) | instid1(VALU_DEP_1)
	v_rcp_f64_e32 v[43:44], v[41:42]
	s_waitcnt_depctr 0xfff
	v_fma_f64 v[45:46], -v[41:42], v[43:44], 1.0
	v_fma_f64 v[43:44], v[43:44], v[45:46], v[43:44]
	s_delay_alu instid0(VALU_DEP_1) | instskip(NEXT) | instid1(VALU_DEP_1)
	v_fma_f64 v[45:46], -v[41:42], v[43:44], 1.0
	v_fma_f64 v[43:44], v[43:44], v[45:46], v[43:44]
	v_div_scale_f64 v[45:46], vcc_lo, 1.0, v[31:32], 1.0
	s_delay_alu instid0(VALU_DEP_1) | instskip(NEXT) | instid1(VALU_DEP_1)
	v_mul_f64 v[47:48], v[45:46], v[43:44]
	v_fma_f64 v[41:42], -v[41:42], v[47:48], v[45:46]
	s_delay_alu instid0(VALU_DEP_1) | instskip(NEXT) | instid1(VALU_DEP_1)
	v_div_fmas_f64 v[41:42], v[41:42], v[43:44], v[47:48]
	v_div_fixup_f64 v[31:32], v[41:42], v[31:32], 1.0
	v_mad_u64_u32 v[41:42], null, 0x4a, s2, v[23:24]
	v_mov_b32_e32 v42, v2
	s_delay_alu instid0(VALU_DEP_1) | instskip(NEXT) | instid1(VALU_DEP_1)
	v_lshlrev_b64 v[23:24], 3, v[41:42]
	v_add_co_u32 v43, vcc_lo, s6, v23
	s_delay_alu instid0(VALU_DEP_2)
	v_add_co_ci_u32_e32 v44, vcc_lo, s7, v24, vcc_lo
	v_add_co_u32 v23, vcc_lo, s8, v23
	v_add_co_ci_u32_e32 v24, vcc_lo, s9, v24, vcc_lo
	global_load_b64 v[43:44], v[43:44], off
	v_mul_f64 v[31:32], v[0:1], v[31:32]
	v_mul_f64 v[0:1], v[7:8], v[0:1]
	s_delay_alu instid0(VALU_DEP_2) | instskip(SKIP_1) | instid1(VALU_DEP_1)
	v_min_f64 v[31:32], v[31:32], s[0:1]
	s_waitcnt vmcnt(0)
	v_mul_f64 v[31:32], v[43:44], v[31:32]
	global_store_b64 v[23:24], v[31:32], off
	v_mad_u64_u32 v[23:24], null, 0xffffffc4, s2, v[41:42]
	v_mov_b32_e32 v24, v2
	s_delay_alu instid0(VALU_DEP_1) | instskip(NEXT) | instid1(VALU_DEP_1)
	v_lshlrev_b64 v[31:32], 3, v[23:24]
	v_add_co_u32 v31, vcc_lo, s10, v31
	s_delay_alu instid0(VALU_DEP_2) | instskip(SKIP_3) | instid1(VALU_DEP_1)
	v_add_co_ci_u32_e32 v32, vcc_lo, s11, v32, vcc_lo
	global_load_b64 v[31:32], v[31:32], off
	s_waitcnt vmcnt(0)
	v_div_scale_f64 v[41:42], null, v[31:32], v[31:32], 1.0
	v_rcp_f64_e32 v[43:44], v[41:42]
	s_waitcnt_depctr 0xfff
	v_fma_f64 v[45:46], -v[41:42], v[43:44], 1.0
	s_delay_alu instid0(VALU_DEP_1) | instskip(NEXT) | instid1(VALU_DEP_1)
	v_fma_f64 v[43:44], v[43:44], v[45:46], v[43:44]
	v_fma_f64 v[45:46], -v[41:42], v[43:44], 1.0
	s_delay_alu instid0(VALU_DEP_1) | instskip(SKIP_1) | instid1(VALU_DEP_1)
	v_fma_f64 v[43:44], v[43:44], v[45:46], v[43:44]
	v_div_scale_f64 v[45:46], vcc_lo, 1.0, v[31:32], 1.0
	v_mul_f64 v[47:48], v[45:46], v[43:44]
	s_delay_alu instid0(VALU_DEP_1) | instskip(NEXT) | instid1(VALU_DEP_1)
	v_fma_f64 v[41:42], -v[41:42], v[47:48], v[45:46]
	v_div_fmas_f64 v[41:42], v[41:42], v[43:44], v[47:48]
	s_delay_alu instid0(VALU_DEP_1) | instskip(NEXT) | instid1(VALU_DEP_1)
	v_div_fixup_f64 v[31:32], v[41:42], v[31:32], 1.0
	v_mul_f64 v[0:1], v[0:1], v[31:32]
	v_mad_u64_u32 v[31:32], null, s2, 61, v[23:24]
	v_mov_b32_e32 v32, v2
	s_delay_alu instid0(VALU_DEP_1) | instskip(NEXT) | instid1(VALU_DEP_1)
	v_lshlrev_b64 v[23:24], 3, v[31:32]
	v_add_co_u32 v41, vcc_lo, s6, v23
	s_delay_alu instid0(VALU_DEP_2)
	v_add_co_ci_u32_e32 v42, vcc_lo, s7, v24, vcc_lo
	v_add_co_u32 v23, vcc_lo, s8, v23
	v_add_co_ci_u32_e32 v24, vcc_lo, s9, v24, vcc_lo
	global_load_b64 v[41:42], v[41:42], off
	v_min_f64 v[0:1], v[0:1], s[0:1]
	s_waitcnt vmcnt(0)
	s_delay_alu instid0(VALU_DEP_1) | instskip(SKIP_3) | instid1(VALU_DEP_2)
	v_mul_f64 v[0:1], v[41:42], v[0:1]
	global_store_b64 v[23:24], v[0:1], off
	v_div_scale_f64 v[23:24], null, v[17:18], v[17:18], 1.0
	v_mul_f64 v[0:1], v[3:4], v[13:14]
	v_rcp_f64_e32 v[25:26], v[23:24]
	s_waitcnt_depctr 0xfff
	v_fma_f64 v[41:42], -v[23:24], v[25:26], 1.0
	s_delay_alu instid0(VALU_DEP_1) | instskip(NEXT) | instid1(VALU_DEP_1)
	v_fma_f64 v[25:26], v[25:26], v[41:42], v[25:26]
	v_fma_f64 v[41:42], -v[23:24], v[25:26], 1.0
	s_delay_alu instid0(VALU_DEP_1) | instskip(SKIP_1) | instid1(VALU_DEP_1)
	v_fma_f64 v[25:26], v[25:26], v[41:42], v[25:26]
	v_div_scale_f64 v[41:42], vcc_lo, 1.0, v[17:18], 1.0
	v_mul_f64 v[43:44], v[41:42], v[25:26]
	s_delay_alu instid0(VALU_DEP_1) | instskip(NEXT) | instid1(VALU_DEP_1)
	v_fma_f64 v[23:24], -v[23:24], v[43:44], v[41:42]
	v_div_fmas_f64 v[23:24], v[23:24], v[25:26], v[43:44]
	s_delay_alu instid0(VALU_DEP_1) | instskip(NEXT) | instid1(VALU_DEP_1)
	v_div_fixup_f64 v[17:18], v[23:24], v[17:18], 1.0
	v_mul_f64 v[17:18], v[0:1], v[17:18]
	v_add_nc_u32_e32 v1, s2, v31
	s_delay_alu instid0(VALU_DEP_1) | instskip(SKIP_1) | instid1(VALU_DEP_2)
	v_lshlrev_b64 v[23:24], 3, v[1:2]
	v_add_nc_u32_e32 v1, s5, v1
	v_add_co_u32 v25, vcc_lo, s6, v23
	s_delay_alu instid0(VALU_DEP_3)
	v_add_co_ci_u32_e32 v26, vcc_lo, s7, v24, vcc_lo
	v_add_co_u32 v23, vcc_lo, s8, v23
	v_add_co_ci_u32_e32 v24, vcc_lo, s9, v24, vcc_lo
	global_load_b64 v[25:26], v[25:26], off
	v_min_f64 v[17:18], v[17:18], s[0:1]
	s_waitcnt vmcnt(0)
	s_delay_alu instid0(VALU_DEP_1) | instskip(SKIP_4) | instid1(VALU_DEP_3)
	v_mul_f64 v[17:18], v[17:18], v[25:26]
	global_store_b64 v[23:24], v[17:18], off
	v_lshlrev_b64 v[23:24], 3, v[1:2]
	v_mul_f64 v[17:18], v[13:14], v[37:38]
	v_add_nc_u32_e32 v1, s12, v1
	v_add_co_u32 v23, vcc_lo, s10, v23
	s_delay_alu instid0(VALU_DEP_4) | instskip(SKIP_3) | instid1(VALU_DEP_1)
	v_add_co_ci_u32_e32 v24, vcc_lo, s11, v24, vcc_lo
	global_load_b64 v[23:24], v[23:24], off
	s_waitcnt vmcnt(0)
	v_mul_f64 v[25:26], v[9:10], v[23:24]
	v_div_scale_f64 v[31:32], null, v[25:26], v[25:26], 1.0
	s_delay_alu instid0(VALU_DEP_1) | instskip(SKIP_2) | instid1(VALU_DEP_1)
	v_rcp_f64_e32 v[37:38], v[31:32]
	s_waitcnt_depctr 0xfff
	v_fma_f64 v[41:42], -v[31:32], v[37:38], 1.0
	v_fma_f64 v[37:38], v[37:38], v[41:42], v[37:38]
	s_delay_alu instid0(VALU_DEP_1) | instskip(NEXT) | instid1(VALU_DEP_1)
	v_fma_f64 v[41:42], -v[31:32], v[37:38], 1.0
	v_fma_f64 v[37:38], v[37:38], v[41:42], v[37:38]
	v_div_scale_f64 v[41:42], vcc_lo, 1.0, v[25:26], 1.0
	s_delay_alu instid0(VALU_DEP_1) | instskip(NEXT) | instid1(VALU_DEP_1)
	v_mul_f64 v[43:44], v[41:42], v[37:38]
	v_fma_f64 v[31:32], -v[31:32], v[43:44], v[41:42]
	s_delay_alu instid0(VALU_DEP_1) | instskip(NEXT) | instid1(VALU_DEP_1)
	v_div_fmas_f64 v[31:32], v[31:32], v[37:38], v[43:44]
	v_div_fixup_f64 v[25:26], v[31:32], v[25:26], 1.0
	v_lshlrev_b64 v[31:32], 3, v[1:2]
	v_add_nc_u32_e32 v1, s2, v1
	s_delay_alu instid0(VALU_DEP_2) | instskip(NEXT) | instid1(VALU_DEP_3)
	v_add_co_u32 v37, vcc_lo, s6, v31
	v_add_co_ci_u32_e32 v38, vcc_lo, s7, v32, vcc_lo
	v_add_co_u32 v31, vcc_lo, s8, v31
	v_add_co_ci_u32_e32 v32, vcc_lo, s9, v32, vcc_lo
	global_load_b64 v[37:38], v[37:38], off
	v_mul_f64 v[17:18], v[17:18], v[25:26]
	s_delay_alu instid0(VALU_DEP_1) | instskip(SKIP_1) | instid1(VALU_DEP_1)
	v_min_f64 v[17:18], v[17:18], s[0:1]
	s_waitcnt vmcnt(0)
	v_mul_f64 v[17:18], v[37:38], v[17:18]
	global_store_b64 v[31:32], v[17:18], off
	v_mul_f64 v[17:18], v[13:14], v[39:40]
	s_delay_alu instid0(VALU_DEP_1) | instskip(SKIP_2) | instid1(VALU_DEP_2)
	v_mul_f64 v[17:18], v[17:18], v[25:26]
	v_lshlrev_b64 v[25:26], 3, v[1:2]
	v_add_nc_u32_e32 v1, s5, v1
	v_add_co_u32 v31, vcc_lo, s6, v25
	s_delay_alu instid0(VALU_DEP_3)
	v_add_co_ci_u32_e32 v32, vcc_lo, s7, v26, vcc_lo
	v_add_co_u32 v25, vcc_lo, s8, v25
	v_add_co_ci_u32_e32 v26, vcc_lo, s9, v26, vcc_lo
	global_load_b64 v[31:32], v[31:32], off
	v_min_f64 v[17:18], v[17:18], s[0:1]
	s_waitcnt vmcnt(0)
	s_delay_alu instid0(VALU_DEP_1) | instskip(SKIP_4) | instid1(VALU_DEP_3)
	v_mul_f64 v[17:18], v[31:32], v[17:18]
	global_store_b64 v[25:26], v[17:18], off
	v_lshlrev_b64 v[25:26], 3, v[1:2]
	v_mul_f64 v[17:18], v[13:14], v[13:14]
	v_add_nc_u32_e32 v1, s12, v1
	v_add_co_u32 v25, vcc_lo, s10, v25
	s_delay_alu instid0(VALU_DEP_4) | instskip(SKIP_4) | instid1(VALU_DEP_1)
	v_add_co_ci_u32_e32 v26, vcc_lo, s11, v26, vcc_lo
	global_load_b64 v[25:26], v[25:26], off
	v_mul_f64 v[7:8], v[7:8], v[17:18]
	s_waitcnt vmcnt(0)
	v_div_scale_f64 v[31:32], null, v[25:26], v[25:26], 1.0
	v_rcp_f64_e32 v[37:38], v[31:32]
	s_waitcnt_depctr 0xfff
	v_fma_f64 v[39:40], -v[31:32], v[37:38], 1.0
	s_delay_alu instid0(VALU_DEP_1) | instskip(NEXT) | instid1(VALU_DEP_1)
	v_fma_f64 v[37:38], v[37:38], v[39:40], v[37:38]
	v_fma_f64 v[39:40], -v[31:32], v[37:38], 1.0
	s_delay_alu instid0(VALU_DEP_1) | instskip(SKIP_1) | instid1(VALU_DEP_1)
	v_fma_f64 v[37:38], v[37:38], v[39:40], v[37:38]
	v_div_scale_f64 v[39:40], vcc_lo, 1.0, v[25:26], 1.0
	v_mul_f64 v[41:42], v[39:40], v[37:38]
	s_delay_alu instid0(VALU_DEP_1) | instskip(NEXT) | instid1(VALU_DEP_1)
	v_fma_f64 v[31:32], -v[31:32], v[41:42], v[39:40]
	v_div_fmas_f64 v[31:32], v[31:32], v[37:38], v[41:42]
	s_delay_alu instid0(VALU_DEP_1) | instskip(NEXT) | instid1(VALU_DEP_1)
	v_div_fixup_f64 v[25:26], v[31:32], v[25:26], 1.0
	v_mul_f64 v[7:8], v[7:8], v[25:26]
	v_lshlrev_b64 v[25:26], 3, v[1:2]
	s_delay_alu instid0(VALU_DEP_1) | instskip(NEXT) | instid1(VALU_DEP_2)
	v_add_co_u32 v31, vcc_lo, s6, v25
	v_add_co_ci_u32_e32 v32, vcc_lo, s7, v26, vcc_lo
	v_add_co_u32 v25, vcc_lo, s8, v25
	v_add_co_ci_u32_e32 v26, vcc_lo, s9, v26, vcc_lo
	global_load_b64 v[31:32], v[31:32], off
	v_min_f64 v[7:8], v[7:8], s[0:1]
	s_waitcnt vmcnt(0)
	s_delay_alu instid0(VALU_DEP_1) | instskip(SKIP_3) | instid1(VALU_DEP_1)
	v_mul_f64 v[7:8], v[31:32], v[7:8]
	global_store_b64 v[25:26], v[7:8], off
	v_mad_u64_u32 v[7:8], null, 0xffffffba, s2, v[1:2]
	v_mov_b32_e32 v8, v2
	v_lshlrev_b64 v[0:1], 3, v[7:8]
	s_delay_alu instid0(VALU_DEP_1) | instskip(NEXT) | instid1(VALU_DEP_2)
	v_add_co_u32 v0, vcc_lo, s10, v0
	v_add_co_ci_u32_e32 v1, vcc_lo, s11, v1, vcc_lo
	global_load_b64 v[0:1], v[0:1], off
	s_waitcnt vmcnt(0)
	v_mul_f64 v[0:1], v[9:10], v[0:1]
	s_delay_alu instid0(VALU_DEP_1) | instskip(NEXT) | instid1(VALU_DEP_1)
	v_div_scale_f64 v[25:26], null, v[0:1], v[0:1], 1.0
	v_rcp_f64_e32 v[31:32], v[25:26]
	s_waitcnt_depctr 0xfff
	v_fma_f64 v[37:38], -v[25:26], v[31:32], 1.0
	s_delay_alu instid0(VALU_DEP_1) | instskip(NEXT) | instid1(VALU_DEP_1)
	v_fma_f64 v[31:32], v[31:32], v[37:38], v[31:32]
	v_fma_f64 v[37:38], -v[25:26], v[31:32], 1.0
	s_delay_alu instid0(VALU_DEP_1) | instskip(SKIP_1) | instid1(VALU_DEP_1)
	v_fma_f64 v[31:32], v[31:32], v[37:38], v[31:32]
	v_div_scale_f64 v[37:38], vcc_lo, 1.0, v[0:1], 1.0
	v_mul_f64 v[39:40], v[37:38], v[31:32]
	s_delay_alu instid0(VALU_DEP_1) | instskip(NEXT) | instid1(VALU_DEP_1)
	v_fma_f64 v[25:26], -v[25:26], v[39:40], v[37:38]
	v_div_fmas_f64 v[25:26], v[25:26], v[31:32], v[39:40]
	s_delay_alu instid0(VALU_DEP_1) | instskip(NEXT) | instid1(VALU_DEP_1)
	v_div_fixup_f64 v[0:1], v[25:26], v[0:1], 1.0
	v_mul_f64 v[0:1], v[17:18], v[0:1]
	v_mad_u64_u32 v[17:18], null, 0x47, s2, v[7:8]
	v_mov_b32_e32 v18, v2
	s_delay_alu instid0(VALU_DEP_1) | instskip(NEXT) | instid1(VALU_DEP_1)
	v_lshlrev_b64 v[7:8], 3, v[17:18]
	v_add_co_u32 v25, vcc_lo, s6, v7
	s_delay_alu instid0(VALU_DEP_2)
	v_add_co_ci_u32_e32 v26, vcc_lo, s7, v8, vcc_lo
	v_add_co_u32 v7, vcc_lo, s8, v7
	v_add_co_ci_u32_e32 v8, vcc_lo, s9, v8, vcc_lo
	global_load_b64 v[25:26], v[25:26], off
	v_min_f64 v[0:1], v[0:1], s[0:1]
	s_waitcnt vmcnt(0)
	s_delay_alu instid0(VALU_DEP_1) | instskip(SKIP_2) | instid1(VALU_DEP_1)
	v_mul_f64 v[0:1], v[25:26], v[0:1]
	global_store_b64 v[7:8], v[0:1], off
	v_add_nc_u32_e32 v1, s4, v17
	v_lshlrev_b64 v[7:8], 3, v[1:2]
	v_add_nc_u32_e32 v1, s3, v1
	s_delay_alu instid0(VALU_DEP_2) | instskip(NEXT) | instid1(VALU_DEP_3)
	v_add_co_u32 v7, vcc_lo, s10, v7
	v_add_co_ci_u32_e32 v8, vcc_lo, s11, v8, vcc_lo
	global_load_b64 v[7:8], v[7:8], off
	s_waitcnt vmcnt(0)
	v_mul_f64 v[7:8], v[13:14], v[7:8]
	v_mul_f64 v[13:14], v[29:30], v[23:24]
	s_delay_alu instid0(VALU_DEP_1) | instskip(NEXT) | instid1(VALU_DEP_1)
	v_div_scale_f64 v[17:18], null, v[13:14], v[13:14], 1.0
	v_rcp_f64_e32 v[23:24], v[17:18]
	s_waitcnt_depctr 0xfff
	v_fma_f64 v[25:26], -v[17:18], v[23:24], 1.0
	s_delay_alu instid0(VALU_DEP_1) | instskip(NEXT) | instid1(VALU_DEP_1)
	v_fma_f64 v[23:24], v[23:24], v[25:26], v[23:24]
	v_fma_f64 v[25:26], -v[17:18], v[23:24], 1.0
	s_delay_alu instid0(VALU_DEP_1) | instskip(SKIP_1) | instid1(VALU_DEP_1)
	v_fma_f64 v[23:24], v[23:24], v[25:26], v[23:24]
	v_div_scale_f64 v[25:26], vcc_lo, 1.0, v[13:14], 1.0
	v_mul_f64 v[29:30], v[25:26], v[23:24]
	s_delay_alu instid0(VALU_DEP_1) | instskip(NEXT) | instid1(VALU_DEP_1)
	v_fma_f64 v[17:18], -v[17:18], v[29:30], v[25:26]
	v_div_fmas_f64 v[17:18], v[17:18], v[23:24], v[29:30]
	s_delay_alu instid0(VALU_DEP_1) | instskip(NEXT) | instid1(VALU_DEP_1)
	v_div_fixup_f64 v[13:14], v[17:18], v[13:14], 1.0
	v_mul_f64 v[7:8], v[13:14], v[7:8]
	v_lshlrev_b64 v[13:14], 3, v[1:2]
	v_add_nc_u32_e32 v1, s2, v1
	s_delay_alu instid0(VALU_DEP_2) | instskip(NEXT) | instid1(VALU_DEP_3)
	v_add_co_u32 v17, vcc_lo, s6, v13
	v_add_co_ci_u32_e32 v18, vcc_lo, s7, v14, vcc_lo
	v_add_co_u32 v13, vcc_lo, s8, v13
	v_add_co_ci_u32_e32 v14, vcc_lo, s9, v14, vcc_lo
	;; [unrolled: 2-line block ×3, first 2 shown]
	global_load_b64 v[17:18], v[17:18], off
	global_load_b64 v[5:6], v[5:6], off
	v_min_f64 v[7:8], v[7:8], s[0:1]
	s_waitcnt vmcnt(1)
	s_delay_alu instid0(VALU_DEP_1)
	v_mul_f64 v[7:8], v[17:18], v[7:8]
	s_waitcnt vmcnt(0)
	v_mul_f64 v[5:6], v[3:4], v[5:6]
	v_mul_f64 v[3:4], v[3:4], v[11:12]
	global_store_b64 v[13:14], v[7:8], off
	v_mul_f64 v[7:8], v[9:10], v[33:34]
	v_div_scale_f64 v[9:10], null, v[5:6], v[5:6], 1.0
	s_delay_alu instid0(VALU_DEP_1) | instskip(SKIP_2) | instid1(VALU_DEP_1)
	v_rcp_f64_e32 v[13:14], v[9:10]
	s_waitcnt_depctr 0xfff
	v_fma_f64 v[17:18], -v[9:10], v[13:14], 1.0
	v_fma_f64 v[13:14], v[13:14], v[17:18], v[13:14]
	s_delay_alu instid0(VALU_DEP_1) | instskip(NEXT) | instid1(VALU_DEP_1)
	v_fma_f64 v[17:18], -v[9:10], v[13:14], 1.0
	v_fma_f64 v[13:14], v[13:14], v[17:18], v[13:14]
	v_div_scale_f64 v[17:18], vcc_lo, 1.0, v[5:6], 1.0
	s_delay_alu instid0(VALU_DEP_1) | instskip(NEXT) | instid1(VALU_DEP_1)
	v_mul_f64 v[23:24], v[17:18], v[13:14]
	v_fma_f64 v[9:10], -v[9:10], v[23:24], v[17:18]
	s_delay_alu instid0(VALU_DEP_1) | instskip(NEXT) | instid1(VALU_DEP_1)
	v_div_fmas_f64 v[9:10], v[9:10], v[13:14], v[23:24]
	v_div_fixup_f64 v[5:6], v[9:10], v[5:6], 1.0
	v_lshlrev_b64 v[9:10], 3, v[1:2]
	v_add_nc_u32_e32 v1, s2, v1
	s_delay_alu instid0(VALU_DEP_2) | instskip(NEXT) | instid1(VALU_DEP_3)
	v_add_co_u32 v13, vcc_lo, s6, v9
	v_add_co_ci_u32_e32 v14, vcc_lo, s7, v10, vcc_lo
	v_add_co_u32 v9, vcc_lo, s8, v9
	v_add_co_ci_u32_e32 v10, vcc_lo, s9, v10, vcc_lo
	global_load_b64 v[13:14], v[13:14], off
	v_mul_f64 v[5:6], v[7:8], v[5:6]
	s_delay_alu instid0(VALU_DEP_1) | instskip(SKIP_1) | instid1(VALU_DEP_1)
	v_min_f64 v[5:6], v[5:6], s[0:1]
	s_waitcnt vmcnt(0)
	v_mul_f64 v[5:6], v[13:14], v[5:6]
	global_store_b64 v[9:10], v[5:6], off
	v_div_scale_f64 v[5:6], null, v[15:16], v[15:16], 1.0
	s_delay_alu instid0(VALU_DEP_1) | instskip(SKIP_2) | instid1(VALU_DEP_1)
	v_rcp_f64_e32 v[9:10], v[5:6]
	s_waitcnt_depctr 0xfff
	v_fma_f64 v[13:14], -v[5:6], v[9:10], 1.0
	v_fma_f64 v[9:10], v[9:10], v[13:14], v[9:10]
	s_delay_alu instid0(VALU_DEP_1) | instskip(NEXT) | instid1(VALU_DEP_1)
	v_fma_f64 v[13:14], -v[5:6], v[9:10], 1.0
	v_fma_f64 v[9:10], v[9:10], v[13:14], v[9:10]
	v_div_scale_f64 v[13:14], vcc_lo, 1.0, v[15:16], 1.0
	s_delay_alu instid0(VALU_DEP_1) | instskip(NEXT) | instid1(VALU_DEP_1)
	v_mul_f64 v[17:18], v[13:14], v[9:10]
	v_fma_f64 v[5:6], -v[5:6], v[17:18], v[13:14]
	s_delay_alu instid0(VALU_DEP_1) | instskip(SKIP_2) | instid1(VALU_DEP_2)
	v_div_fmas_f64 v[5:6], v[5:6], v[9:10], v[17:18]
	v_lshlrev_b64 v[9:10], 3, v[1:2]
	v_add_nc_u32_e32 v1, s2, v1
	v_add_co_u32 v13, vcc_lo, s6, v9
	s_delay_alu instid0(VALU_DEP_3) | instskip(SKIP_4) | instid1(VALU_DEP_1)
	v_add_co_ci_u32_e32 v14, vcc_lo, s7, v10, vcc_lo
	v_add_co_u32 v9, vcc_lo, s8, v9
	v_add_co_ci_u32_e32 v10, vcc_lo, s9, v10, vcc_lo
	global_load_b64 v[13:14], v[13:14], off
	v_div_fixup_f64 v[5:6], v[5:6], v[15:16], 1.0
	v_mul_f64 v[5:6], v[5:6], v[7:8]
	s_delay_alu instid0(VALU_DEP_1) | instskip(SKIP_1) | instid1(VALU_DEP_1)
	v_min_f64 v[5:6], v[5:6], s[0:1]
	s_waitcnt vmcnt(0)
	v_mul_f64 v[5:6], v[5:6], v[13:14]
	global_store_b64 v[9:10], v[5:6], off
	v_mul_f64 v[5:6], v[19:20], v[7:8]
	v_lshlrev_b64 v[7:8], 3, v[1:2]
	v_add_nc_u32_e32 v1, s2, v1
	s_delay_alu instid0(VALU_DEP_2) | instskip(NEXT) | instid1(VALU_DEP_3)
	v_add_co_u32 v9, vcc_lo, s6, v7
	v_add_co_ci_u32_e32 v10, vcc_lo, s7, v8, vcc_lo
	v_add_co_u32 v7, vcc_lo, s8, v7
	v_add_co_ci_u32_e32 v8, vcc_lo, s9, v8, vcc_lo
	global_load_b64 v[9:10], v[9:10], off
	v_min_f64 v[5:6], v[5:6], s[0:1]
	s_waitcnt vmcnt(0)
	s_delay_alu instid0(VALU_DEP_1) | instskip(SKIP_4) | instid1(VALU_DEP_3)
	v_mul_f64 v[5:6], v[5:6], v[9:10]
	global_store_b64 v[7:8], v[5:6], off
	v_lshlrev_b64 v[7:8], 3, v[1:2]
	v_mul_f64 v[5:6], v[35:36], v[27:28]
	v_add_nc_u32_e32 v1, s2, v1
	v_add_co_u32 v9, vcc_lo, s6, v7
	s_delay_alu instid0(VALU_DEP_4)
	v_add_co_ci_u32_e32 v10, vcc_lo, s7, v8, vcc_lo
	v_add_co_u32 v7, vcc_lo, s8, v7
	v_add_co_ci_u32_e32 v8, vcc_lo, s9, v8, vcc_lo
	global_load_b64 v[9:10], v[9:10], off
	v_lshlrev_b64 v[0:1], 3, v[1:2]
	v_min_f64 v[5:6], v[5:6], s[0:1]
	s_waitcnt vmcnt(0)
	s_delay_alu instid0(VALU_DEP_1) | instskip(SKIP_2) | instid1(VALU_DEP_1)
	v_mul_f64 v[5:6], v[5:6], v[9:10]
	global_store_b64 v[7:8], v[5:6], off
	v_div_scale_f64 v[5:6], null, v[3:4], v[3:4], 1.0
	v_rcp_f64_e32 v[7:8], v[5:6]
	s_waitcnt_depctr 0xfff
	v_fma_f64 v[9:10], -v[5:6], v[7:8], 1.0
	s_delay_alu instid0(VALU_DEP_1) | instskip(NEXT) | instid1(VALU_DEP_1)
	v_fma_f64 v[7:8], v[7:8], v[9:10], v[7:8]
	v_fma_f64 v[9:10], -v[5:6], v[7:8], 1.0
	s_delay_alu instid0(VALU_DEP_1) | instskip(SKIP_1) | instid1(VALU_DEP_1)
	v_fma_f64 v[7:8], v[7:8], v[9:10], v[7:8]
	v_div_scale_f64 v[9:10], vcc_lo, 1.0, v[3:4], 1.0
	v_mul_f64 v[11:12], v[9:10], v[7:8]
	s_delay_alu instid0(VALU_DEP_1) | instskip(NEXT) | instid1(VALU_DEP_1)
	v_fma_f64 v[5:6], -v[5:6], v[11:12], v[9:10]
	v_div_fmas_f64 v[5:6], v[5:6], v[7:8], v[11:12]
	s_delay_alu instid0(VALU_DEP_1)
	v_div_fixup_f64 v[3:4], v[5:6], v[3:4], 1.0
	v_add_co_u32 v5, vcc_lo, s6, v0
	v_add_co_ci_u32_e32 v6, vcc_lo, s7, v1, vcc_lo
	v_add_co_u32 v0, vcc_lo, s8, v0
	v_add_co_ci_u32_e32 v1, vcc_lo, s9, v1, vcc_lo
	global_load_b64 v[5:6], v[5:6], off
	v_mul_f64 v[3:4], v[3:4], v[21:22]
	s_delay_alu instid0(VALU_DEP_1) | instskip(SKIP_1) | instid1(VALU_DEP_1)
	v_min_f64 v[2:3], v[3:4], s[0:1]
	s_waitcnt vmcnt(0)
	v_mul_f64 v[2:3], v[2:3], v[5:6]
	global_store_b64 v[0:1], v[2:3], off
	s_nop 0
	s_sendmsg sendmsg(MSG_DEALLOC_VGPRS)
	s_endpgm
	.section	.rodata,"a",@progbits
	.p2align	6, 0x0
	.amdhsa_kernel _Z12ratt5_kernelIdEvPKT_S2_PS0_S2_S0_
		.amdhsa_group_segment_fixed_size 0
		.amdhsa_private_segment_fixed_size 0
		.amdhsa_kernarg_size 296
		.amdhsa_user_sgpr_count 15
		.amdhsa_user_sgpr_dispatch_ptr 0
		.amdhsa_user_sgpr_queue_ptr 0
		.amdhsa_user_sgpr_kernarg_segment_ptr 1
		.amdhsa_user_sgpr_dispatch_id 0
		.amdhsa_user_sgpr_private_segment_size 0
		.amdhsa_wavefront_size32 1
		.amdhsa_uses_dynamic_stack 0
		.amdhsa_enable_private_segment 0
		.amdhsa_system_sgpr_workgroup_id_x 1
		.amdhsa_system_sgpr_workgroup_id_y 0
		.amdhsa_system_sgpr_workgroup_id_z 0
		.amdhsa_system_sgpr_workgroup_info 0
		.amdhsa_system_vgpr_workitem_id 0
		.amdhsa_next_free_vgpr 53
		.amdhsa_next_free_sgpr 16
		.amdhsa_reserve_vcc 1
		.amdhsa_float_round_mode_32 0
		.amdhsa_float_round_mode_16_64 0
		.amdhsa_float_denorm_mode_32 3
		.amdhsa_float_denorm_mode_16_64 3
		.amdhsa_dx10_clamp 1
		.amdhsa_ieee_mode 1
		.amdhsa_fp16_overflow 0
		.amdhsa_workgroup_processor_mode 1
		.amdhsa_memory_ordered 1
		.amdhsa_forward_progress 0
		.amdhsa_shared_vgpr_count 0
		.amdhsa_exception_fp_ieee_invalid_op 0
		.amdhsa_exception_fp_denorm_src 0
		.amdhsa_exception_fp_ieee_div_zero 0
		.amdhsa_exception_fp_ieee_overflow 0
		.amdhsa_exception_fp_ieee_underflow 0
		.amdhsa_exception_fp_ieee_inexact 0
		.amdhsa_exception_int_div_zero 0
	.end_amdhsa_kernel
	.section	.text._Z12ratt5_kernelIdEvPKT_S2_PS0_S2_S0_,"axG",@progbits,_Z12ratt5_kernelIdEvPKT_S2_PS0_S2_S0_,comdat
.Lfunc_end33:
	.size	_Z12ratt5_kernelIdEvPKT_S2_PS0_S2_S0_, .Lfunc_end33-_Z12ratt5_kernelIdEvPKT_S2_PS0_S2_S0_
                                        ; -- End function
	.section	.AMDGPU.csdata,"",@progbits
; Kernel info:
; codeLenInByte = 6372
; NumSgprs: 18
; NumVgprs: 53
; ScratchSize: 0
; MemoryBound: 0
; FloatMode: 240
; IeeeMode: 1
; LDSByteSize: 0 bytes/workgroup (compile time only)
; SGPRBlocks: 2
; VGPRBlocks: 6
; NumSGPRsForWavesPerEU: 18
; NumVGPRsForWavesPerEU: 53
; Occupancy: 16
; WaveLimiterHint : 0
; COMPUTE_PGM_RSRC2:SCRATCH_EN: 0
; COMPUTE_PGM_RSRC2:USER_SGPR: 15
; COMPUTE_PGM_RSRC2:TRAP_HANDLER: 0
; COMPUTE_PGM_RSRC2:TGID_X_EN: 1
; COMPUTE_PGM_RSRC2:TGID_Y_EN: 0
; COMPUTE_PGM_RSRC2:TGID_Z_EN: 0
; COMPUTE_PGM_RSRC2:TIDIG_COMP_CNT: 0
	.section	.text._Z12ratt6_kernelIdEvPKT_S2_PS0_S2_S0_,"axG",@progbits,_Z12ratt6_kernelIdEvPKT_S2_PS0_S2_S0_,comdat
	.protected	_Z12ratt6_kernelIdEvPKT_S2_PS0_S2_S0_ ; -- Begin function _Z12ratt6_kernelIdEvPKT_S2_PS0_S2_S0_
	.globl	_Z12ratt6_kernelIdEvPKT_S2_PS0_S2_S0_
	.p2align	8
	.type	_Z12ratt6_kernelIdEvPKT_S2_PS0_S2_S0_,@function
_Z12ratt6_kernelIdEvPKT_S2_PS0_S2_S0_:  ; @_Z12ratt6_kernelIdEvPKT_S2_PS0_S2_S0_
; %bb.0:
	s_clause 0x3
	s_load_b256 s[4:11], s[0:1], 0x0
	s_load_b64 s[2:3], s[0:1], 0x20
	s_load_b32 s12, s[0:1], 0x28
	s_load_b32 s0, s[0:1], 0x34
	s_waitcnt lgkmcnt(0)
	s_and_b32 s13, s0, 0xffff
	s_brev_b32 s0, 12
	v_mad_u64_u32 v[1:2], null, s15, s13, v[0:1]
	v_mov_b32_e32 v2, 0
	s_mov_b32 s1, 0x4193d2c6
	s_delay_alu instid0(VALU_DEP_1) | instskip(NEXT) | instid1(VALU_DEP_1)
	v_lshlrev_b64 v[7:8], 3, v[1:2]
	v_add_co_u32 v3, vcc_lo, s4, v7
	s_delay_alu instid0(VALU_DEP_2) | instskip(SKIP_4) | instid1(SALU_CYCLE_1)
	v_add_co_ci_u32_e32 v4, vcc_lo, s5, v8, vcc_lo
	global_load_b64 v[3:4], v[3:4], off
	s_waitcnt vmcnt(0)
	v_mul_f64 v[3:4], v[3:4], s[2:3]
	s_mul_i32 s2, s12, s13
	s_mul_i32 s4, s2, 11
	s_mul_i32 s3, s2, -11
	s_mul_i32 s5, s2, 0x60
	s_delay_alu instid0(VALU_DEP_1) | instskip(SKIP_2) | instid1(VALU_DEP_1)
	v_mul_f64 v[3:4], v[3:4], s[0:1]
	s_mov_b32 s0, 0x4357691b
	s_mov_b32 s1, 0x479e17b8
	v_div_scale_f64 v[5:6], null, v[3:4], v[3:4], 1.0
	s_delay_alu instid0(VALU_DEP_1) | instskip(SKIP_2) | instid1(VALU_DEP_1)
	v_rcp_f64_e32 v[9:10], v[5:6]
	s_waitcnt_depctr 0xfff
	v_fma_f64 v[11:12], -v[5:6], v[9:10], 1.0
	v_fma_f64 v[9:10], v[9:10], v[11:12], v[9:10]
	s_delay_alu instid0(VALU_DEP_1) | instskip(NEXT) | instid1(VALU_DEP_1)
	v_fma_f64 v[11:12], -v[5:6], v[9:10], 1.0
	v_fma_f64 v[9:10], v[9:10], v[11:12], v[9:10]
	v_div_scale_f64 v[11:12], vcc_lo, 1.0, v[3:4], 1.0
	s_delay_alu instid0(VALU_DEP_1) | instskip(NEXT) | instid1(VALU_DEP_1)
	v_mul_f64 v[13:14], v[11:12], v[9:10]
	v_fma_f64 v[5:6], -v[5:6], v[13:14], v[11:12]
	s_delay_alu instid0(VALU_DEP_1) | instskip(SKIP_2) | instid1(VALU_DEP_1)
	v_div_fmas_f64 v[5:6], v[5:6], v[9:10], v[13:14]
	v_mad_u64_u32 v[9:10], null, s2, 3, v[1:2]
	v_mov_b32_e32 v10, v2
	v_mad_u64_u32 v[11:12], null, s2, 14, v[9:10]
	v_mov_b32_e32 v12, v2
	v_div_fixup_f64 v[3:4], v[5:6], v[3:4], 1.0
	s_delay_alu instid0(VALU_DEP_1) | instskip(SKIP_1) | instid1(VALU_DEP_4)
	v_mul_f64 v[5:6], 0x412eec04, v[3:4]
	v_lshlrev_b64 v[3:4], 3, v[9:10]
	v_lshlrev_b64 v[9:10], 3, v[11:12]
	v_add_nc_u32_e32 v11, s3, v11
	s_delay_alu instid0(VALU_DEP_3) | instskip(NEXT) | instid1(VALU_DEP_2)
	v_add_co_u32 v3, vcc_lo, s10, v3
	v_mad_u64_u32 v[15:16], null, s2, 10, v[11:12]
	v_mov_b32_e32 v16, v2
	v_lshlrev_b64 v[13:14], 3, v[11:12]
	v_add_co_ci_u32_e32 v4, vcc_lo, s11, v4, vcc_lo
	v_add_co_u32 v9, vcc_lo, s10, v9
	s_delay_alu instid0(VALU_DEP_4) | instskip(SKIP_3) | instid1(VALU_DEP_4)
	v_lshlrev_b64 v[11:12], 3, v[15:16]
	v_add_co_ci_u32_e32 v10, vcc_lo, s11, v10, vcc_lo
	v_add_co_u32 v13, vcc_lo, s10, v13
	v_add_co_ci_u32_e32 v14, vcc_lo, s11, v14, vcc_lo
	v_add_co_u32 v11, vcc_lo, s10, v11
	v_add_co_ci_u32_e32 v12, vcc_lo, s11, v12, vcc_lo
	s_clause 0x3
	global_load_b64 v[3:4], v[3:4], off
	global_load_b64 v[9:10], v[9:10], off
	global_load_b64 v[13:14], v[13:14], off
	global_load_b64 v[11:12], v[11:12], off
	s_waitcnt vmcnt(2)
	v_mul_f64 v[9:10], v[3:4], v[9:10]
	s_waitcnt vmcnt(0)
	v_mul_f64 v[11:12], v[13:14], v[11:12]
	s_delay_alu instid0(VALU_DEP_1) | instskip(NEXT) | instid1(VALU_DEP_1)
	v_div_scale_f64 v[13:14], null, v[11:12], v[11:12], 1.0
	v_rcp_f64_e32 v[16:17], v[13:14]
	s_waitcnt_depctr 0xfff
	v_fma_f64 v[18:19], -v[13:14], v[16:17], 1.0
	s_delay_alu instid0(VALU_DEP_1) | instskip(NEXT) | instid1(VALU_DEP_1)
	v_fma_f64 v[16:17], v[16:17], v[18:19], v[16:17]
	v_fma_f64 v[18:19], -v[13:14], v[16:17], 1.0
	s_delay_alu instid0(VALU_DEP_1) | instskip(SKIP_1) | instid1(VALU_DEP_1)
	v_fma_f64 v[16:17], v[16:17], v[18:19], v[16:17]
	v_div_scale_f64 v[18:19], vcc_lo, 1.0, v[11:12], 1.0
	v_mul_f64 v[20:21], v[18:19], v[16:17]
	s_delay_alu instid0(VALU_DEP_1) | instskip(NEXT) | instid1(VALU_DEP_1)
	v_fma_f64 v[13:14], -v[13:14], v[20:21], v[18:19]
	v_div_fmas_f64 v[13:14], v[13:14], v[16:17], v[20:21]
	s_delay_alu instid0(VALU_DEP_1) | instskip(NEXT) | instid1(VALU_DEP_1)
	v_div_fixup_f64 v[11:12], v[13:14], v[11:12], 1.0
	v_mul_f64 v[9:10], v[9:10], v[11:12]
	v_mad_u64_u32 v[11:12], null, 0x54, s2, v[15:16]
	v_mov_b32_e32 v12, v2
	s_delay_alu instid0(VALU_DEP_1) | instskip(NEXT) | instid1(VALU_DEP_1)
	v_lshlrev_b64 v[11:12], 3, v[11:12]
	v_add_co_u32 v13, vcc_lo, s6, v11
	s_delay_alu instid0(VALU_DEP_2)
	v_add_co_ci_u32_e32 v14, vcc_lo, s7, v12, vcc_lo
	v_add_co_u32 v11, vcc_lo, s8, v11
	v_add_co_ci_u32_e32 v12, vcc_lo, s9, v12, vcc_lo
	global_load_b64 v[13:14], v[13:14], off
	v_min_f64 v[9:10], v[9:10], s[0:1]
	s_waitcnt vmcnt(0)
	s_delay_alu instid0(VALU_DEP_1) | instskip(SKIP_3) | instid1(VALU_DEP_2)
	v_mul_f64 v[9:10], v[13:14], v[9:10]
	global_store_b64 v[11:12], v[9:10], off
	v_dual_mov_b32 v10, v2 :: v_dual_add_nc_u32 v9, s2, v1
	v_add_nc_u32_e32 v1, s4, v1
	v_lshlrev_b64 v[10:11], 3, v[9:10]
	v_add_nc_u32_e32 v9, s4, v9
	s_mul_i32 s4, s2, 0x62
	s_delay_alu instid0(VALU_DEP_2) | instskip(NEXT) | instid1(VALU_DEP_3)
	v_add_co_u32 v10, vcc_lo, s10, v10
	v_add_co_ci_u32_e32 v11, vcc_lo, s11, v11, vcc_lo
	global_load_b64 v[13:14], v[10:11], off
	v_mov_b32_e32 v10, v2
	v_lshlrev_b64 v[11:12], 3, v[1:2]
	s_delay_alu instid0(VALU_DEP_2) | instskip(NEXT) | instid1(VALU_DEP_1)
	v_lshlrev_b64 v[9:10], 3, v[9:10]
	v_add_co_u32 v9, vcc_lo, s10, v9
	s_delay_alu instid0(VALU_DEP_2)
	v_add_co_ci_u32_e32 v10, vcc_lo, s11, v10, vcc_lo
	v_add_co_u32 v7, vcc_lo, s10, v7
	v_add_co_ci_u32_e32 v8, vcc_lo, s11, v8, vcc_lo
	v_add_co_u32 v11, vcc_lo, s10, v11
	v_add_co_ci_u32_e32 v12, vcc_lo, s11, v12, vcc_lo
	s_clause 0x2
	global_load_b64 v[17:18], v[9:10], off
	global_load_b64 v[11:12], v[11:12], off
	;; [unrolled: 1-line block ×3, first 2 shown]
	s_waitcnt vmcnt(2)
	v_mul_f64 v[9:10], v[13:14], v[17:18]
	s_waitcnt vmcnt(0)
	v_mul_f64 v[7:8], v[7:8], v[11:12]
	s_delay_alu instid0(VALU_DEP_1) | instskip(NEXT) | instid1(VALU_DEP_1)
	v_div_scale_f64 v[15:16], null, v[7:8], v[7:8], 1.0
	v_rcp_f64_e32 v[19:20], v[15:16]
	s_waitcnt_depctr 0xfff
	v_fma_f64 v[21:22], -v[15:16], v[19:20], 1.0
	s_delay_alu instid0(VALU_DEP_1) | instskip(NEXT) | instid1(VALU_DEP_1)
	v_fma_f64 v[19:20], v[19:20], v[21:22], v[19:20]
	v_fma_f64 v[21:22], -v[15:16], v[19:20], 1.0
	s_delay_alu instid0(VALU_DEP_1) | instskip(SKIP_1) | instid1(VALU_DEP_1)
	v_fma_f64 v[19:20], v[19:20], v[21:22], v[19:20]
	v_div_scale_f64 v[21:22], vcc_lo, 1.0, v[7:8], 1.0
	v_mul_f64 v[23:24], v[21:22], v[19:20]
	s_delay_alu instid0(VALU_DEP_1) | instskip(NEXT) | instid1(VALU_DEP_1)
	v_fma_f64 v[15:16], -v[15:16], v[23:24], v[21:22]
	v_div_fmas_f64 v[15:16], v[15:16], v[19:20], v[23:24]
	s_delay_alu instid0(VALU_DEP_1) | instskip(NEXT) | instid1(VALU_DEP_1)
	v_div_fixup_f64 v[7:8], v[15:16], v[7:8], 1.0
	v_mul_f64 v[7:8], v[9:10], v[7:8]
	v_mad_u64_u32 v[9:10], null, 0x5a, s2, v[1:2]
	v_mov_b32_e32 v10, v2
	s_delay_alu instid0(VALU_DEP_1) | instskip(NEXT) | instid1(VALU_DEP_1)
	v_lshlrev_b64 v[0:1], 3, v[9:10]
	v_add_co_u32 v15, vcc_lo, s6, v0
	s_delay_alu instid0(VALU_DEP_2)
	v_add_co_ci_u32_e32 v16, vcc_lo, s7, v1, vcc_lo
	v_add_co_u32 v0, vcc_lo, s8, v0
	v_add_co_ci_u32_e32 v1, vcc_lo, s9, v1, vcc_lo
	global_load_b64 v[15:16], v[15:16], off
	v_min_f64 v[7:8], v[7:8], s[0:1]
	s_waitcnt vmcnt(0)
	s_delay_alu instid0(VALU_DEP_1) | instskip(SKIP_3) | instid1(VALU_DEP_1)
	v_mul_f64 v[7:8], v[15:16], v[7:8]
	global_store_b64 v[0:1], v[7:8], off
	v_mad_u64_u32 v[0:1], null, 0xffffff9d, s2, v[9:10]
	v_mov_b32_e32 v1, v2
	v_lshlrev_b64 v[7:8], 3, v[0:1]
	v_lshl_add_u32 v1, s2, 1, v0
	s_delay_alu instid0(VALU_DEP_2) | instskip(NEXT) | instid1(VALU_DEP_3)
	v_add_co_u32 v7, vcc_lo, s10, v7
	v_add_co_ci_u32_e32 v8, vcc_lo, s11, v8, vcc_lo
	global_load_b64 v[9:10], v[7:8], off
	v_lshlrev_b64 v[7:8], 3, v[1:2]
	v_add_nc_u32_e32 v1, s4, v1
	s_delay_alu instid0(VALU_DEP_2) | instskip(NEXT) | instid1(VALU_DEP_3)
	v_add_co_u32 v7, vcc_lo, s10, v7
	v_add_co_ci_u32_e32 v8, vcc_lo, s11, v8, vcc_lo
	global_load_b64 v[7:8], v[7:8], off
	s_waitcnt vmcnt(1)
	v_mul_f64 v[15:16], v[17:18], v[9:10]
	s_waitcnt vmcnt(0)
	v_mul_f64 v[19:20], v[11:12], v[7:8]
	s_delay_alu instid0(VALU_DEP_1) | instskip(NEXT) | instid1(VALU_DEP_1)
	v_div_scale_f64 v[21:22], null, v[19:20], v[19:20], 1.0
	v_rcp_f64_e32 v[23:24], v[21:22]
	s_waitcnt_depctr 0xfff
	v_fma_f64 v[25:26], -v[21:22], v[23:24], 1.0
	s_delay_alu instid0(VALU_DEP_1) | instskip(NEXT) | instid1(VALU_DEP_1)
	v_fma_f64 v[23:24], v[23:24], v[25:26], v[23:24]
	v_fma_f64 v[25:26], -v[21:22], v[23:24], 1.0
	s_delay_alu instid0(VALU_DEP_1) | instskip(SKIP_1) | instid1(VALU_DEP_1)
	v_fma_f64 v[23:24], v[23:24], v[25:26], v[23:24]
	v_div_scale_f64 v[25:26], vcc_lo, 1.0, v[19:20], 1.0
	v_mul_f64 v[27:28], v[25:26], v[23:24]
	s_delay_alu instid0(VALU_DEP_1) | instskip(NEXT) | instid1(VALU_DEP_1)
	v_fma_f64 v[21:22], -v[21:22], v[27:28], v[25:26]
	v_div_fmas_f64 v[21:22], v[21:22], v[23:24], v[27:28]
	s_delay_alu instid0(VALU_DEP_1) | instskip(NEXT) | instid1(VALU_DEP_1)
	v_div_fixup_f64 v[19:20], v[21:22], v[19:20], 1.0
	v_mul_f64 v[15:16], v[15:16], v[19:20]
	v_lshlrev_b64 v[19:20], 3, v[1:2]
	s_delay_alu instid0(VALU_DEP_1) | instskip(NEXT) | instid1(VALU_DEP_2)
	v_add_co_u32 v21, vcc_lo, s6, v19
	v_add_co_ci_u32_e32 v22, vcc_lo, s7, v20, vcc_lo
	v_add_co_u32 v19, vcc_lo, s8, v19
	v_add_co_ci_u32_e32 v20, vcc_lo, s9, v20, vcc_lo
	global_load_b64 v[21:22], v[21:22], off
	v_min_f64 v[15:16], v[15:16], s[0:1]
	s_waitcnt vmcnt(0)
	s_delay_alu instid0(VALU_DEP_1) | instskip(SKIP_4) | instid1(VALU_DEP_2)
	v_mul_f64 v[15:16], v[21:22], v[15:16]
	global_store_b64 v[19:20], v[15:16], off
	v_mad_u64_u32 v[19:20], null, 0xffffff9f, s2, v[1:2]
	v_mov_b32_e32 v20, v2
	v_mul_f64 v[15:16], v[17:18], v[7:8]
	v_lshlrev_b64 v[0:1], 3, v[19:20]
	s_delay_alu instid0(VALU_DEP_1) | instskip(NEXT) | instid1(VALU_DEP_2)
	v_add_co_u32 v0, vcc_lo, s10, v0
	v_add_co_ci_u32_e32 v1, vcc_lo, s11, v1, vcc_lo
	global_load_b64 v[0:1], v[0:1], off
	s_waitcnt vmcnt(0)
	v_mul_f64 v[0:1], v[11:12], v[0:1]
	s_delay_alu instid0(VALU_DEP_1) | instskip(NEXT) | instid1(VALU_DEP_1)
	v_div_scale_f64 v[20:21], null, v[0:1], v[0:1], 1.0
	v_rcp_f64_e32 v[22:23], v[20:21]
	s_waitcnt_depctr 0xfff
	v_fma_f64 v[24:25], -v[20:21], v[22:23], 1.0
	s_delay_alu instid0(VALU_DEP_1) | instskip(NEXT) | instid1(VALU_DEP_1)
	v_fma_f64 v[22:23], v[22:23], v[24:25], v[22:23]
	v_fma_f64 v[24:25], -v[20:21], v[22:23], 1.0
	s_delay_alu instid0(VALU_DEP_1) | instskip(SKIP_1) | instid1(VALU_DEP_1)
	v_fma_f64 v[22:23], v[22:23], v[24:25], v[22:23]
	v_div_scale_f64 v[24:25], vcc_lo, 1.0, v[0:1], 1.0
	v_mul_f64 v[26:27], v[24:25], v[22:23]
	s_delay_alu instid0(VALU_DEP_1) | instskip(NEXT) | instid1(VALU_DEP_1)
	v_fma_f64 v[20:21], -v[20:21], v[26:27], v[24:25]
	v_div_fmas_f64 v[20:21], v[20:21], v[22:23], v[26:27]
	s_delay_alu instid0(VALU_DEP_1) | instskip(NEXT) | instid1(VALU_DEP_1)
	v_div_fixup_f64 v[0:1], v[20:21], v[0:1], 1.0
	v_mul_f64 v[15:16], v[15:16], v[0:1]
	v_add_nc_u32_e32 v1, s4, v19
	s_mul_i32 s4, s2, 0xffffffa1
	s_delay_alu instid0(VALU_DEP_1) | instskip(SKIP_1) | instid1(VALU_DEP_2)
	v_lshlrev_b64 v[19:20], 3, v[1:2]
	v_add_nc_u32_e32 v1, s4, v1
	v_add_co_u32 v21, vcc_lo, s6, v19
	s_delay_alu instid0(VALU_DEP_3)
	v_add_co_ci_u32_e32 v22, vcc_lo, s7, v20, vcc_lo
	v_add_co_u32 v19, vcc_lo, s8, v19
	v_add_co_ci_u32_e32 v20, vcc_lo, s9, v20, vcc_lo
	global_load_b64 v[21:22], v[21:22], off
	v_min_f64 v[15:16], v[15:16], s[0:1]
	s_waitcnt vmcnt(0)
	s_delay_alu instid0(VALU_DEP_1) | instskip(SKIP_4) | instid1(VALU_DEP_2)
	v_mul_f64 v[15:16], v[21:22], v[15:16]
	global_store_b64 v[19:20], v[15:16], off
	v_mad_u64_u32 v[19:20], null, s2, 13, v[1:2]
	v_mov_b32_e32 v20, v2
	v_lshlrev_b64 v[15:16], 3, v[1:2]
	v_lshlrev_b64 v[0:1], 3, v[19:20]
	s_delay_alu instid0(VALU_DEP_2) | instskip(NEXT) | instid1(VALU_DEP_3)
	v_add_co_u32 v15, vcc_lo, s10, v15
	v_add_co_ci_u32_e32 v16, vcc_lo, s11, v16, vcc_lo
	s_delay_alu instid0(VALU_DEP_3) | instskip(NEXT) | instid1(VALU_DEP_4)
	v_add_co_u32 v0, vcc_lo, s10, v0
	v_add_co_ci_u32_e32 v1, vcc_lo, s11, v1, vcc_lo
	s_clause 0x1
	global_load_b64 v[21:22], v[15:16], off
	global_load_b64 v[0:1], v[0:1], off
	s_waitcnt vmcnt(1)
	v_mul_f64 v[15:16], v[17:18], v[21:22]
	s_waitcnt vmcnt(0)
	v_mul_f64 v[0:1], v[13:14], v[0:1]
	s_delay_alu instid0(VALU_DEP_1) | instskip(NEXT) | instid1(VALU_DEP_1)
	v_div_scale_f64 v[23:24], null, v[0:1], v[0:1], 1.0
	v_rcp_f64_e32 v[25:26], v[23:24]
	s_waitcnt_depctr 0xfff
	v_fma_f64 v[27:28], -v[23:24], v[25:26], 1.0
	s_delay_alu instid0(VALU_DEP_1) | instskip(NEXT) | instid1(VALU_DEP_1)
	v_fma_f64 v[25:26], v[25:26], v[27:28], v[25:26]
	v_fma_f64 v[27:28], -v[23:24], v[25:26], 1.0
	s_delay_alu instid0(VALU_DEP_1) | instskip(SKIP_1) | instid1(VALU_DEP_1)
	v_fma_f64 v[25:26], v[25:26], v[27:28], v[25:26]
	v_div_scale_f64 v[27:28], vcc_lo, 1.0, v[0:1], 1.0
	v_mul_f64 v[29:30], v[27:28], v[25:26]
	s_delay_alu instid0(VALU_DEP_1) | instskip(NEXT) | instid1(VALU_DEP_1)
	v_fma_f64 v[23:24], -v[23:24], v[29:30], v[27:28]
	v_div_fmas_f64 v[23:24], v[23:24], v[25:26], v[29:30]
	s_delay_alu instid0(VALU_DEP_1) | instskip(NEXT) | instid1(VALU_DEP_1)
	v_div_fixup_f64 v[0:1], v[23:24], v[0:1], 1.0
	v_mul_f64 v[0:1], v[15:16], v[0:1]
	v_mad_u64_u32 v[15:16], null, 0x53, s2, v[19:20]
	v_mov_b32_e32 v16, v2
	s_delay_alu instid0(VALU_DEP_1) | instskip(NEXT) | instid1(VALU_DEP_1)
	v_lshlrev_b64 v[19:20], 3, v[15:16]
	v_add_co_u32 v23, vcc_lo, s6, v19
	s_delay_alu instid0(VALU_DEP_2)
	v_add_co_ci_u32_e32 v24, vcc_lo, s7, v20, vcc_lo
	v_add_co_u32 v19, vcc_lo, s8, v19
	v_add_co_ci_u32_e32 v20, vcc_lo, s9, v20, vcc_lo
	global_load_b64 v[23:24], v[23:24], off
	v_min_f64 v[0:1], v[0:1], s[0:1]
	s_waitcnt vmcnt(0)
	s_delay_alu instid0(VALU_DEP_1) | instskip(SKIP_4) | instid1(VALU_DEP_1)
	v_mul_f64 v[0:1], v[23:24], v[0:1]
	v_mul_f64 v[23:24], v[11:12], v[11:12]
	global_store_b64 v[19:20], v[0:1], off
	v_div_scale_f64 v[25:26], null, v[23:24], v[23:24], 1.0
	v_add_nc_u32_e32 v1, s4, v15
	v_lshlrev_b64 v[15:16], 3, v[1:2]
	v_add_nc_u32_e32 v1, s5, v1
	s_delay_alu instid0(VALU_DEP_2) | instskip(NEXT) | instid1(VALU_DEP_3)
	v_add_co_u32 v15, vcc_lo, s10, v15
	v_add_co_ci_u32_e32 v16, vcc_lo, s11, v16, vcc_lo
	global_load_b64 v[15:16], v[15:16], off
	v_rcp_f64_e32 v[27:28], v[25:26]
	s_waitcnt_depctr 0xfff
	v_fma_f64 v[29:30], -v[25:26], v[27:28], 1.0
	s_delay_alu instid0(VALU_DEP_1) | instskip(NEXT) | instid1(VALU_DEP_1)
	v_fma_f64 v[27:28], v[27:28], v[29:30], v[27:28]
	v_fma_f64 v[29:30], -v[25:26], v[27:28], 1.0
	s_delay_alu instid0(VALU_DEP_1) | instskip(SKIP_1) | instid1(VALU_DEP_1)
	v_fma_f64 v[27:28], v[27:28], v[29:30], v[27:28]
	v_div_scale_f64 v[29:30], vcc_lo, 1.0, v[23:24], 1.0
	v_mul_f64 v[31:32], v[29:30], v[27:28]
	s_delay_alu instid0(VALU_DEP_1) | instskip(NEXT) | instid1(VALU_DEP_1)
	v_fma_f64 v[25:26], -v[25:26], v[31:32], v[29:30]
	v_div_fmas_f64 v[25:26], v[25:26], v[27:28], v[31:32]
	s_waitcnt vmcnt(0)
	v_mul_f64 v[19:20], v[17:18], v[15:16]
	s_delay_alu instid0(VALU_DEP_2) | instskip(SKIP_3) | instid1(VALU_DEP_2)
	v_div_fixup_f64 v[23:24], v[25:26], v[23:24], 1.0
	v_lshlrev_b64 v[25:26], 3, v[1:2]
	v_add_nc_u32_e32 v1, s4, v1
	s_mul_i32 s4, s2, 0x5c
	v_add_co_u32 v27, vcc_lo, s6, v25
	s_delay_alu instid0(VALU_DEP_3) | instskip(SKIP_4) | instid1(VALU_DEP_1)
	v_add_co_ci_u32_e32 v28, vcc_lo, s7, v26, vcc_lo
	v_add_co_u32 v25, vcc_lo, s8, v25
	v_add_co_ci_u32_e32 v26, vcc_lo, s9, v26, vcc_lo
	global_load_b64 v[27:28], v[27:28], off
	v_mul_f64 v[19:20], v[23:24], v[19:20]
	v_min_f64 v[19:20], v[19:20], s[0:1]
	s_waitcnt vmcnt(0)
	s_delay_alu instid0(VALU_DEP_1) | instskip(SKIP_4) | instid1(VALU_DEP_2)
	v_mul_f64 v[19:20], v[27:28], v[19:20]
	global_store_b64 v[25:26], v[19:20], off
	v_lshlrev_b64 v[19:20], 3, v[1:2]
	v_add_nc_u32_e32 v1, s5, v1
	s_mul_i32 s5, s2, 0x5e
	v_add_co_u32 v19, vcc_lo, s10, v19
	s_delay_alu instid0(VALU_DEP_3) | instskip(SKIP_4) | instid1(VALU_DEP_1)
	v_add_co_ci_u32_e32 v20, vcc_lo, s11, v20, vcc_lo
	global_load_b64 v[25:26], v[19:20], off
	v_lshlrev_b64 v[19:20], 3, v[1:2]
	s_waitcnt vmcnt(0)
	v_mul_f64 v[17:18], v[17:18], v[25:26]
	v_mul_f64 v[17:18], v[23:24], v[17:18]
	s_delay_alu instid0(VALU_DEP_3) | instskip(NEXT) | instid1(VALU_DEP_4)
	v_add_co_u32 v23, vcc_lo, s6, v19
	v_add_co_ci_u32_e32 v24, vcc_lo, s7, v20, vcc_lo
	v_add_co_u32 v19, vcc_lo, s8, v19
	v_add_co_ci_u32_e32 v20, vcc_lo, s9, v20, vcc_lo
	global_load_b64 v[23:24], v[23:24], off
	v_min_f64 v[17:18], v[17:18], s[0:1]
	s_waitcnt vmcnt(0)
	s_delay_alu instid0(VALU_DEP_1) | instskip(SKIP_3) | instid1(VALU_DEP_1)
	v_mul_f64 v[17:18], v[23:24], v[17:18]
	global_store_b64 v[19:20], v[17:18], off
	v_mad_u64_u32 v[17:18], null, 0xffffffae, s2, v[1:2]
	v_mov_b32_e32 v18, v2
	v_lshlrev_b64 v[0:1], 3, v[17:18]
	s_delay_alu instid0(VALU_DEP_1) | instskip(NEXT) | instid1(VALU_DEP_2)
	v_add_co_u32 v0, vcc_lo, s10, v0
	v_add_co_ci_u32_e32 v1, vcc_lo, s11, v1, vcc_lo
	global_load_b64 v[23:24], v[0:1], off
	v_add_nc_u32_e32 v1, s3, v17
	s_mul_i32 s3, s2, 0xffffffa5
	s_delay_alu instid0(VALU_DEP_1) | instskip(SKIP_1) | instid1(VALU_DEP_2)
	v_lshlrev_b64 v[17:18], 3, v[1:2]
	v_add_nc_u32_e32 v1, s5, v1
	v_add_co_u32 v17, vcc_lo, s10, v17
	s_delay_alu instid0(VALU_DEP_3)
	v_add_co_ci_u32_e32 v18, vcc_lo, s11, v18, vcc_lo
	global_load_b64 v[17:18], v[17:18], off
	s_waitcnt vmcnt(1)
	v_mul_f64 v[19:20], v[13:14], v[23:24]
	s_waitcnt vmcnt(0)
	v_mul_f64 v[25:26], v[25:26], v[17:18]
	s_delay_alu instid0(VALU_DEP_1) | instskip(NEXT) | instid1(VALU_DEP_1)
	v_div_scale_f64 v[27:28], null, v[25:26], v[25:26], 1.0
	v_rcp_f64_e32 v[29:30], v[27:28]
	s_waitcnt_depctr 0xfff
	v_fma_f64 v[31:32], -v[27:28], v[29:30], 1.0
	s_delay_alu instid0(VALU_DEP_1) | instskip(NEXT) | instid1(VALU_DEP_1)
	v_fma_f64 v[29:30], v[29:30], v[31:32], v[29:30]
	v_fma_f64 v[31:32], -v[27:28], v[29:30], 1.0
	s_delay_alu instid0(VALU_DEP_1) | instskip(SKIP_1) | instid1(VALU_DEP_1)
	v_fma_f64 v[29:30], v[29:30], v[31:32], v[29:30]
	v_div_scale_f64 v[31:32], vcc_lo, 1.0, v[25:26], 1.0
	v_mul_f64 v[33:34], v[31:32], v[29:30]
	s_delay_alu instid0(VALU_DEP_1) | instskip(NEXT) | instid1(VALU_DEP_1)
	v_fma_f64 v[27:28], -v[27:28], v[33:34], v[31:32]
	v_div_fmas_f64 v[27:28], v[27:28], v[29:30], v[33:34]
	s_delay_alu instid0(VALU_DEP_1) | instskip(SKIP_2) | instid1(VALU_DEP_2)
	v_div_fixup_f64 v[25:26], v[27:28], v[25:26], 1.0
	v_lshlrev_b64 v[27:28], 3, v[1:2]
	v_add_nc_u32_e32 v1, s2, v1
	v_add_co_u32 v29, vcc_lo, s6, v27
	s_delay_alu instid0(VALU_DEP_3) | instskip(SKIP_4) | instid1(VALU_DEP_1)
	v_add_co_ci_u32_e32 v30, vcc_lo, s7, v28, vcc_lo
	v_add_co_u32 v27, vcc_lo, s8, v27
	v_add_co_ci_u32_e32 v28, vcc_lo, s9, v28, vcc_lo
	global_load_b64 v[29:30], v[29:30], off
	v_mul_f64 v[25:26], v[19:20], v[25:26]
	v_min_f64 v[25:26], v[25:26], s[0:1]
	s_waitcnt vmcnt(0)
	s_delay_alu instid0(VALU_DEP_1) | instskip(SKIP_3) | instid1(VALU_DEP_2)
	v_mul_f64 v[25:26], v[29:30], v[25:26]
	global_store_b64 v[27:28], v[25:26], off
	v_mul_f64 v[27:28], v[13:14], v[17:18]
	v_mul_f64 v[25:26], v[9:10], v[23:24]
	;; [unrolled: 1-line block ×3, first 2 shown]
	s_delay_alu instid0(VALU_DEP_1) | instskip(NEXT) | instid1(VALU_DEP_1)
	v_mul_f64 v[27:28], v[5:6], v[27:28]
	v_div_scale_f64 v[29:30], null, v[27:28], v[27:28], 1.0
	s_delay_alu instid0(VALU_DEP_1) | instskip(SKIP_2) | instid1(VALU_DEP_1)
	v_rcp_f64_e32 v[31:32], v[29:30]
	s_waitcnt_depctr 0xfff
	v_fma_f64 v[33:34], -v[29:30], v[31:32], 1.0
	v_fma_f64 v[31:32], v[31:32], v[33:34], v[31:32]
	s_delay_alu instid0(VALU_DEP_1) | instskip(NEXT) | instid1(VALU_DEP_1)
	v_fma_f64 v[33:34], -v[29:30], v[31:32], 1.0
	v_fma_f64 v[31:32], v[31:32], v[33:34], v[31:32]
	v_div_scale_f64 v[33:34], vcc_lo, 1.0, v[27:28], 1.0
	s_delay_alu instid0(VALU_DEP_1) | instskip(NEXT) | instid1(VALU_DEP_1)
	v_mul_f64 v[35:36], v[33:34], v[31:32]
	v_fma_f64 v[29:30], -v[29:30], v[35:36], v[33:34]
	s_delay_alu instid0(VALU_DEP_1) | instskip(NEXT) | instid1(VALU_DEP_1)
	v_div_fmas_f64 v[29:30], v[29:30], v[31:32], v[35:36]
	v_div_fixup_f64 v[27:28], v[29:30], v[27:28], 1.0
	s_delay_alu instid0(VALU_DEP_1) | instskip(SKIP_2) | instid1(VALU_DEP_2)
	v_mul_f64 v[25:26], v[25:26], v[27:28]
	v_lshlrev_b64 v[27:28], 3, v[1:2]
	v_add_nc_u32_e32 v1, s2, v1
	v_add_co_u32 v29, vcc_lo, s6, v27
	s_delay_alu instid0(VALU_DEP_3)
	v_add_co_ci_u32_e32 v30, vcc_lo, s7, v28, vcc_lo
	v_add_co_u32 v27, vcc_lo, s8, v27
	v_add_co_ci_u32_e32 v28, vcc_lo, s9, v28, vcc_lo
	global_load_b64 v[29:30], v[29:30], off
	v_min_f64 v[25:26], v[25:26], s[0:1]
	s_waitcnt vmcnt(0)
	s_delay_alu instid0(VALU_DEP_1) | instskip(SKIP_3) | instid1(VALU_DEP_2)
	v_mul_f64 v[25:26], v[29:30], v[25:26]
	global_store_b64 v[27:28], v[25:26], off
	v_mul_f64 v[27:28], v[7:8], v[17:18]
	v_mul_f64 v[25:26], v[3:4], v[23:24]
	;; [unrolled: 1-line block ×3, first 2 shown]
	s_delay_alu instid0(VALU_DEP_1) | instskip(NEXT) | instid1(VALU_DEP_1)
	v_mul_f64 v[27:28], v[5:6], v[27:28]
	v_div_scale_f64 v[29:30], null, v[27:28], v[27:28], 1.0
	s_delay_alu instid0(VALU_DEP_1) | instskip(SKIP_2) | instid1(VALU_DEP_1)
	v_rcp_f64_e32 v[31:32], v[29:30]
	s_waitcnt_depctr 0xfff
	v_fma_f64 v[33:34], -v[29:30], v[31:32], 1.0
	v_fma_f64 v[31:32], v[31:32], v[33:34], v[31:32]
	s_delay_alu instid0(VALU_DEP_1) | instskip(NEXT) | instid1(VALU_DEP_1)
	v_fma_f64 v[33:34], -v[29:30], v[31:32], 1.0
	v_fma_f64 v[31:32], v[31:32], v[33:34], v[31:32]
	v_div_scale_f64 v[33:34], vcc_lo, 1.0, v[27:28], 1.0
	s_delay_alu instid0(VALU_DEP_1) | instskip(NEXT) | instid1(VALU_DEP_1)
	v_mul_f64 v[35:36], v[33:34], v[31:32]
	v_fma_f64 v[29:30], -v[29:30], v[35:36], v[33:34]
	s_delay_alu instid0(VALU_DEP_1) | instskip(NEXT) | instid1(VALU_DEP_1)
	v_div_fmas_f64 v[29:30], v[29:30], v[31:32], v[35:36]
	v_div_fixup_f64 v[27:28], v[29:30], v[27:28], 1.0
	s_delay_alu instid0(VALU_DEP_1) | instskip(SKIP_2) | instid1(VALU_DEP_2)
	v_mul_f64 v[25:26], v[25:26], v[27:28]
	v_lshlrev_b64 v[27:28], 3, v[1:2]
	v_add_nc_u32_e32 v1, s3, v1
	v_add_co_u32 v29, vcc_lo, s6, v27
	s_delay_alu instid0(VALU_DEP_3)
	v_add_co_ci_u32_e32 v30, vcc_lo, s7, v28, vcc_lo
	v_add_co_u32 v27, vcc_lo, s8, v27
	v_add_co_ci_u32_e32 v28, vcc_lo, s9, v28, vcc_lo
	global_load_b64 v[29:30], v[29:30], off
	v_min_f64 v[25:26], v[25:26], s[0:1]
	s_waitcnt vmcnt(0)
	s_delay_alu instid0(VALU_DEP_1) | instskip(SKIP_4) | instid1(VALU_DEP_2)
	v_mul_f64 v[25:26], v[29:30], v[25:26]
	global_store_b64 v[27:28], v[25:26], off
	v_mul_f64 v[25:26], v[21:22], v[23:24]
	v_lshlrev_b64 v[21:22], 3, v[1:2]
	v_add_nc_u32_e32 v1, s4, v1
	v_add_co_u32 v21, vcc_lo, s10, v21
	s_delay_alu instid0(VALU_DEP_3) | instskip(SKIP_3) | instid1(VALU_DEP_1)
	v_add_co_ci_u32_e32 v22, vcc_lo, s11, v22, vcc_lo
	global_load_b64 v[21:22], v[21:22], off
	s_waitcnt vmcnt(0)
	v_mul_f64 v[27:28], v[17:18], v[21:22]
	v_div_scale_f64 v[29:30], null, v[27:28], v[27:28], 1.0
	s_delay_alu instid0(VALU_DEP_1) | instskip(SKIP_2) | instid1(VALU_DEP_1)
	v_rcp_f64_e32 v[31:32], v[29:30]
	s_waitcnt_depctr 0xfff
	v_fma_f64 v[33:34], -v[29:30], v[31:32], 1.0
	v_fma_f64 v[31:32], v[31:32], v[33:34], v[31:32]
	s_delay_alu instid0(VALU_DEP_1) | instskip(NEXT) | instid1(VALU_DEP_1)
	v_fma_f64 v[33:34], -v[29:30], v[31:32], 1.0
	v_fma_f64 v[31:32], v[31:32], v[33:34], v[31:32]
	v_div_scale_f64 v[33:34], vcc_lo, 1.0, v[27:28], 1.0
	s_delay_alu instid0(VALU_DEP_1) | instskip(NEXT) | instid1(VALU_DEP_1)
	v_mul_f64 v[35:36], v[33:34], v[31:32]
	v_fma_f64 v[29:30], -v[29:30], v[35:36], v[33:34]
	s_delay_alu instid0(VALU_DEP_1) | instskip(NEXT) | instid1(VALU_DEP_1)
	v_div_fmas_f64 v[29:30], v[29:30], v[31:32], v[35:36]
	v_div_fixup_f64 v[27:28], v[29:30], v[27:28], 1.0
	s_delay_alu instid0(VALU_DEP_1) | instskip(SKIP_1) | instid1(VALU_DEP_1)
	v_mul_f64 v[25:26], v[25:26], v[27:28]
	v_lshlrev_b64 v[27:28], 3, v[1:2]
	v_add_co_u32 v29, vcc_lo, s6, v27
	s_delay_alu instid0(VALU_DEP_2)
	v_add_co_ci_u32_e32 v30, vcc_lo, s7, v28, vcc_lo
	v_add_co_u32 v27, vcc_lo, s8, v27
	v_add_co_ci_u32_e32 v28, vcc_lo, s9, v28, vcc_lo
	global_load_b64 v[29:30], v[29:30], off
	v_min_f64 v[25:26], v[25:26], s[0:1]
	s_waitcnt vmcnt(0)
	s_delay_alu instid0(VALU_DEP_1) | instskip(SKIP_2) | instid1(VALU_DEP_1)
	v_mul_f64 v[25:26], v[29:30], v[25:26]
	v_mad_u64_u32 v[29:30], null, 0xffffffa6, s2, v[1:2]
	v_mov_b32_e32 v30, v2
	v_lshlrev_b64 v[0:1], 3, v[29:30]
	s_delay_alu instid0(VALU_DEP_1) | instskip(NEXT) | instid1(VALU_DEP_2)
	v_add_co_u32 v0, vcc_lo, s10, v0
	v_add_co_ci_u32_e32 v1, vcc_lo, s11, v1, vcc_lo
	global_load_b64 v[30:31], v[0:1], off
	global_store_b64 v[27:28], v[25:26], off
	v_mul_f64 v[27:28], v[15:16], v[23:24]
	s_waitcnt vmcnt(0)
	v_mul_f64 v[0:1], v[17:18], v[30:31]
	s_delay_alu instid0(VALU_DEP_1) | instskip(NEXT) | instid1(VALU_DEP_1)
	v_div_scale_f64 v[25:26], null, v[0:1], v[0:1], 1.0
	v_rcp_f64_e32 v[32:33], v[25:26]
	s_waitcnt_depctr 0xfff
	v_fma_f64 v[34:35], -v[25:26], v[32:33], 1.0
	s_delay_alu instid0(VALU_DEP_1) | instskip(NEXT) | instid1(VALU_DEP_1)
	v_fma_f64 v[32:33], v[32:33], v[34:35], v[32:33]
	v_fma_f64 v[34:35], -v[25:26], v[32:33], 1.0
	s_delay_alu instid0(VALU_DEP_1) | instskip(SKIP_1) | instid1(VALU_DEP_1)
	v_fma_f64 v[32:33], v[32:33], v[34:35], v[32:33]
	v_div_scale_f64 v[34:35], vcc_lo, 1.0, v[0:1], 1.0
	v_mul_f64 v[36:37], v[34:35], v[32:33]
	s_delay_alu instid0(VALU_DEP_1) | instskip(NEXT) | instid1(VALU_DEP_1)
	v_fma_f64 v[25:26], -v[25:26], v[36:37], v[34:35]
	v_div_fmas_f64 v[25:26], v[25:26], v[32:33], v[36:37]
	s_delay_alu instid0(VALU_DEP_1) | instskip(NEXT) | instid1(VALU_DEP_1)
	v_div_fixup_f64 v[25:26], v[25:26], v[0:1], 1.0
	v_mul_f64 v[0:1], v[27:28], v[25:26]
	v_mad_u64_u32 v[27:28], null, 0x5b, s2, v[29:30]
	v_mov_b32_e32 v28, v2
	s_delay_alu instid0(VALU_DEP_1) | instskip(NEXT) | instid1(VALU_DEP_1)
	v_lshlrev_b64 v[28:29], 3, v[27:28]
	v_add_co_u32 v32, vcc_lo, s6, v28
	s_delay_alu instid0(VALU_DEP_2)
	v_add_co_ci_u32_e32 v33, vcc_lo, s7, v29, vcc_lo
	v_add_co_u32 v28, vcc_lo, s8, v28
	v_add_co_ci_u32_e32 v29, vcc_lo, s9, v29, vcc_lo
	global_load_b64 v[32:33], v[32:33], off
	v_min_f64 v[0:1], v[0:1], s[0:1]
	s_waitcnt vmcnt(0)
	s_delay_alu instid0(VALU_DEP_1) | instskip(SKIP_3) | instid1(VALU_DEP_1)
	v_mul_f64 v[0:1], v[32:33], v[0:1]
	global_store_b64 v[28:29], v[0:1], off
	v_mul_f64 v[0:1], v[23:24], v[23:24]
	v_mul_f64 v[23:24], v[17:18], v[17:18]
	;; [unrolled: 1-line block ×3, first 2 shown]
	s_delay_alu instid0(VALU_DEP_1) | instskip(NEXT) | instid1(VALU_DEP_1)
	v_mul_f64 v[23:24], v[5:6], v[23:24]
	v_div_scale_f64 v[28:29], null, v[23:24], v[23:24], 1.0
	s_delay_alu instid0(VALU_DEP_1) | instskip(SKIP_2) | instid1(VALU_DEP_1)
	v_rcp_f64_e32 v[32:33], v[28:29]
	s_waitcnt_depctr 0xfff
	v_fma_f64 v[34:35], -v[28:29], v[32:33], 1.0
	v_fma_f64 v[32:33], v[32:33], v[34:35], v[32:33]
	s_delay_alu instid0(VALU_DEP_1) | instskip(NEXT) | instid1(VALU_DEP_1)
	v_fma_f64 v[34:35], -v[28:29], v[32:33], 1.0
	v_fma_f64 v[32:33], v[32:33], v[34:35], v[32:33]
	v_div_scale_f64 v[34:35], vcc_lo, 1.0, v[23:24], 1.0
	s_delay_alu instid0(VALU_DEP_1) | instskip(NEXT) | instid1(VALU_DEP_1)
	v_mul_f64 v[36:37], v[34:35], v[32:33]
	v_fma_f64 v[28:29], -v[28:29], v[36:37], v[34:35]
	s_delay_alu instid0(VALU_DEP_1) | instskip(NEXT) | instid1(VALU_DEP_1)
	v_div_fmas_f64 v[28:29], v[28:29], v[32:33], v[36:37]
	v_div_fixup_f64 v[23:24], v[28:29], v[23:24], 1.0
	s_delay_alu instid0(VALU_DEP_1) | instskip(SKIP_1) | instid1(VALU_DEP_1)
	v_mul_f64 v[23:24], v[0:1], v[23:24]
	v_add_nc_u32_e32 v1, s2, v27
	v_lshlrev_b64 v[27:28], 3, v[1:2]
	s_delay_alu instid0(VALU_DEP_1) | instskip(NEXT) | instid1(VALU_DEP_2)
	v_add_co_u32 v32, vcc_lo, s6, v27
	v_add_co_ci_u32_e32 v33, vcc_lo, s7, v28, vcc_lo
	v_add_co_u32 v27, vcc_lo, s8, v27
	v_add_co_ci_u32_e32 v28, vcc_lo, s9, v28, vcc_lo
	global_load_b64 v[32:33], v[32:33], off
	v_min_f64 v[23:24], v[23:24], s[0:1]
	s_waitcnt vmcnt(0)
	s_delay_alu instid0(VALU_DEP_1) | instskip(SKIP_3) | instid1(VALU_DEP_1)
	v_mul_f64 v[23:24], v[23:24], v[32:33]
	global_store_b64 v[27:28], v[23:24], off
	v_mad_u64_u32 v[27:28], null, 0xffffffa3, s2, v[1:2]
	v_mov_b32_e32 v28, v2
	v_lshlrev_b64 v[0:1], 3, v[27:28]
	s_delay_alu instid0(VALU_DEP_1) | instskip(NEXT) | instid1(VALU_DEP_2)
	v_add_co_u32 v0, vcc_lo, s10, v0
	v_add_co_ci_u32_e32 v1, vcc_lo, s11, v1, vcc_lo
	global_load_b64 v[23:24], v[0:1], off
	s_waitcnt vmcnt(0)
	v_div_scale_f64 v[0:1], null, v[23:24], v[23:24], 1.0
	v_mul_f64 v[3:4], v[3:4], v[23:24]
	s_delay_alu instid0(VALU_DEP_2) | instskip(SKIP_2) | instid1(VALU_DEP_1)
	v_rcp_f64_e32 v[28:29], v[0:1]
	s_waitcnt_depctr 0xfff
	v_fma_f64 v[32:33], -v[0:1], v[28:29], 1.0
	v_fma_f64 v[28:29], v[28:29], v[32:33], v[28:29]
	s_delay_alu instid0(VALU_DEP_1) | instskip(NEXT) | instid1(VALU_DEP_1)
	v_fma_f64 v[32:33], -v[0:1], v[28:29], 1.0
	v_fma_f64 v[28:29], v[28:29], v[32:33], v[28:29]
	v_div_scale_f64 v[32:33], vcc_lo, 1.0, v[23:24], 1.0
	s_delay_alu instid0(VALU_DEP_1) | instskip(NEXT) | instid1(VALU_DEP_1)
	v_mul_f64 v[34:35], v[32:33], v[28:29]
	v_fma_f64 v[0:1], -v[0:1], v[34:35], v[32:33]
	s_delay_alu instid0(VALU_DEP_1) | instskip(NEXT) | instid1(VALU_DEP_1)
	v_div_fmas_f64 v[0:1], v[0:1], v[28:29], v[34:35]
	v_div_fixup_f64 v[0:1], v[0:1], v[23:24], 1.0
	s_delay_alu instid0(VALU_DEP_1) | instskip(SKIP_1) | instid1(VALU_DEP_1)
	v_mul_f64 v[28:29], v[21:22], v[0:1]
	v_add_nc_u32_e32 v1, s5, v27
	v_lshlrev_b64 v[32:33], 3, v[1:2]
	v_add_nc_u32_e32 v1, s2, v1
	s_delay_alu instid0(VALU_DEP_2) | instskip(NEXT) | instid1(VALU_DEP_3)
	v_add_co_u32 v34, vcc_lo, s6, v32
	v_add_co_ci_u32_e32 v35, vcc_lo, s7, v33, vcc_lo
	v_add_co_u32 v32, vcc_lo, s8, v32
	v_add_co_ci_u32_e32 v33, vcc_lo, s9, v33, vcc_lo
	global_load_b64 v[34:35], v[34:35], off
	v_min_f64 v[27:28], v[28:29], s[0:1]
	s_waitcnt vmcnt(0)
	s_delay_alu instid0(VALU_DEP_1) | instskip(SKIP_2) | instid1(VALU_DEP_1)
	v_mul_f64 v[34:35], v[34:35], v[27:28]
	global_store_b64 v[32:33], v[34:35], off
	v_mul_f64 v[32:33], v[13:14], v[21:22]
	v_mul_f64 v[32:33], v[5:6], v[32:33]
	s_delay_alu instid0(VALU_DEP_1) | instskip(NEXT) | instid1(VALU_DEP_1)
	v_div_scale_f64 v[34:35], null, v[32:33], v[32:33], 1.0
	v_rcp_f64_e32 v[36:37], v[34:35]
	s_waitcnt_depctr 0xfff
	v_fma_f64 v[38:39], -v[34:35], v[36:37], 1.0
	s_delay_alu instid0(VALU_DEP_1) | instskip(NEXT) | instid1(VALU_DEP_1)
	v_fma_f64 v[36:37], v[36:37], v[38:39], v[36:37]
	v_fma_f64 v[38:39], -v[34:35], v[36:37], 1.0
	s_delay_alu instid0(VALU_DEP_1) | instskip(SKIP_1) | instid1(VALU_DEP_1)
	v_fma_f64 v[36:37], v[36:37], v[38:39], v[36:37]
	v_div_scale_f64 v[38:39], vcc_lo, 1.0, v[32:33], 1.0
	v_mul_f64 v[40:41], v[38:39], v[36:37]
	s_delay_alu instid0(VALU_DEP_1) | instskip(NEXT) | instid1(VALU_DEP_1)
	v_fma_f64 v[34:35], -v[34:35], v[40:41], v[38:39]
	v_div_fmas_f64 v[34:35], v[34:35], v[36:37], v[40:41]
	s_delay_alu instid0(VALU_DEP_1) | instskip(NEXT) | instid1(VALU_DEP_1)
	v_div_fixup_f64 v[32:33], v[34:35], v[32:33], 1.0
	v_mul_f64 v[29:30], v[32:33], v[30:31]
	v_lshlrev_b64 v[31:32], 3, v[1:2]
	v_add_nc_u32_e32 v1, s2, v1
	s_delay_alu instid0(VALU_DEP_2) | instskip(NEXT) | instid1(VALU_DEP_3)
	v_add_co_u32 v33, vcc_lo, s6, v31
	v_add_co_ci_u32_e32 v34, vcc_lo, s7, v32, vcc_lo
	v_add_co_u32 v31, vcc_lo, s8, v31
	v_add_co_ci_u32_e32 v32, vcc_lo, s9, v32, vcc_lo
	global_load_b64 v[33:34], v[33:34], off
	v_min_f64 v[29:30], v[29:30], s[0:1]
	s_waitcnt vmcnt(0)
	s_delay_alu instid0(VALU_DEP_1) | instskip(SKIP_3) | instid1(VALU_DEP_2)
	v_mul_f64 v[29:30], v[29:30], v[33:34]
	global_store_b64 v[31:32], v[29:30], off
	v_div_scale_f64 v[31:32], null, v[19:20], v[19:20], 1.0
	v_mul_f64 v[29:30], v[9:10], v[21:22]
	v_rcp_f64_e32 v[33:34], v[31:32]
	s_waitcnt_depctr 0xfff
	v_fma_f64 v[35:36], -v[31:32], v[33:34], 1.0
	s_delay_alu instid0(VALU_DEP_1) | instskip(NEXT) | instid1(VALU_DEP_1)
	v_fma_f64 v[33:34], v[33:34], v[35:36], v[33:34]
	v_fma_f64 v[35:36], -v[31:32], v[33:34], 1.0
	s_delay_alu instid0(VALU_DEP_1) | instskip(SKIP_1) | instid1(VALU_DEP_1)
	v_fma_f64 v[33:34], v[33:34], v[35:36], v[33:34]
	v_div_scale_f64 v[35:36], vcc_lo, 1.0, v[19:20], 1.0
	v_mul_f64 v[37:38], v[35:36], v[33:34]
	s_delay_alu instid0(VALU_DEP_1) | instskip(NEXT) | instid1(VALU_DEP_1)
	v_fma_f64 v[31:32], -v[31:32], v[37:38], v[35:36]
	v_div_fmas_f64 v[31:32], v[31:32], v[33:34], v[37:38]
	s_delay_alu instid0(VALU_DEP_1) | instskip(SKIP_2) | instid1(VALU_DEP_2)
	v_div_fixup_f64 v[19:20], v[31:32], v[19:20], 1.0
	v_lshlrev_b64 v[31:32], 3, v[1:2]
	v_add_nc_u32_e32 v1, s2, v1
	v_add_co_u32 v33, vcc_lo, s6, v31
	s_delay_alu instid0(VALU_DEP_3) | instskip(SKIP_4) | instid1(VALU_DEP_1)
	v_add_co_ci_u32_e32 v34, vcc_lo, s7, v32, vcc_lo
	v_add_co_u32 v31, vcc_lo, s8, v31
	v_add_co_ci_u32_e32 v32, vcc_lo, s9, v32, vcc_lo
	global_load_b64 v[33:34], v[33:34], off
	v_mul_f64 v[19:20], v[19:20], v[29:30]
	v_min_f64 v[19:20], v[19:20], s[0:1]
	s_waitcnt vmcnt(0)
	s_delay_alu instid0(VALU_DEP_1) | instskip(SKIP_3) | instid1(VALU_DEP_2)
	v_mul_f64 v[19:20], v[19:20], v[33:34]
	global_store_b64 v[31:32], v[19:20], off
	v_mul_f64 v[19:20], v[15:16], v[17:18]
	v_mul_f64 v[17:18], v[11:12], v[17:18]
	v_div_scale_f64 v[31:32], null, v[19:20], v[19:20], 1.0
	s_delay_alu instid0(VALU_DEP_1) | instskip(SKIP_2) | instid1(VALU_DEP_1)
	v_rcp_f64_e32 v[33:34], v[31:32]
	s_waitcnt_depctr 0xfff
	v_fma_f64 v[35:36], -v[31:32], v[33:34], 1.0
	v_fma_f64 v[33:34], v[33:34], v[35:36], v[33:34]
	s_delay_alu instid0(VALU_DEP_1) | instskip(NEXT) | instid1(VALU_DEP_1)
	v_fma_f64 v[35:36], -v[31:32], v[33:34], 1.0
	v_fma_f64 v[33:34], v[33:34], v[35:36], v[33:34]
	v_div_scale_f64 v[35:36], vcc_lo, 1.0, v[19:20], 1.0
	s_delay_alu instid0(VALU_DEP_1) | instskip(NEXT) | instid1(VALU_DEP_1)
	v_mul_f64 v[37:38], v[35:36], v[33:34]
	v_fma_f64 v[31:32], -v[31:32], v[37:38], v[35:36]
	s_delay_alu instid0(VALU_DEP_1) | instskip(NEXT) | instid1(VALU_DEP_1)
	v_div_fmas_f64 v[31:32], v[31:32], v[33:34], v[37:38]
	v_div_fixup_f64 v[19:20], v[31:32], v[19:20], 1.0
	v_lshlrev_b64 v[31:32], 3, v[1:2]
	v_add_nc_u32_e32 v1, s3, v1
	s_delay_alu instid0(VALU_DEP_2) | instskip(NEXT) | instid1(VALU_DEP_3)
	v_add_co_u32 v33, vcc_lo, s6, v31
	v_add_co_ci_u32_e32 v34, vcc_lo, s7, v32, vcc_lo
	v_add_co_u32 v31, vcc_lo, s8, v31
	v_add_co_ci_u32_e32 v32, vcc_lo, s9, v32, vcc_lo
	global_load_b64 v[33:34], v[33:34], off
	v_mul_f64 v[29:30], v[19:20], v[29:30]
	s_delay_alu instid0(VALU_DEP_1) | instskip(SKIP_1) | instid1(VALU_DEP_1)
	v_min_f64 v[29:30], v[29:30], s[0:1]
	s_waitcnt vmcnt(0)
	v_mul_f64 v[29:30], v[29:30], v[33:34]
	global_store_b64 v[31:32], v[29:30], off
	v_lshlrev_b64 v[31:32], 3, v[1:2]
	v_add_nc_u32_e32 v1, s4, v1
	v_mul_f64 v[29:30], v[7:8], v[21:22]
	s_delay_alu instid0(VALU_DEP_3) | instskip(NEXT) | instid1(VALU_DEP_4)
	v_add_co_u32 v31, vcc_lo, s10, v31
	v_add_co_ci_u32_e32 v32, vcc_lo, s11, v32, vcc_lo
	global_load_b64 v[31:32], v[31:32], off
	s_waitcnt vmcnt(0)
	v_mul_f64 v[13:14], v[13:14], v[31:32]
	s_delay_alu instid0(VALU_DEP_1) | instskip(NEXT) | instid1(VALU_DEP_1)
	v_div_scale_f64 v[31:32], null, v[13:14], v[13:14], 1.0
	v_rcp_f64_e32 v[33:34], v[31:32]
	s_waitcnt_depctr 0xfff
	v_fma_f64 v[35:36], -v[31:32], v[33:34], 1.0
	s_delay_alu instid0(VALU_DEP_1) | instskip(NEXT) | instid1(VALU_DEP_1)
	v_fma_f64 v[33:34], v[33:34], v[35:36], v[33:34]
	v_fma_f64 v[35:36], -v[31:32], v[33:34], 1.0
	s_delay_alu instid0(VALU_DEP_1) | instskip(SKIP_1) | instid1(VALU_DEP_1)
	v_fma_f64 v[33:34], v[33:34], v[35:36], v[33:34]
	v_div_scale_f64 v[35:36], vcc_lo, 1.0, v[13:14], 1.0
	v_mul_f64 v[37:38], v[35:36], v[33:34]
	s_delay_alu instid0(VALU_DEP_1) | instskip(NEXT) | instid1(VALU_DEP_1)
	v_fma_f64 v[31:32], -v[31:32], v[37:38], v[35:36]
	v_div_fmas_f64 v[31:32], v[31:32], v[33:34], v[37:38]
	v_lshlrev_b64 v[33:34], 3, v[1:2]
	v_add_nc_u32_e32 v1, s2, v1
	s_delay_alu instid0(VALU_DEP_2) | instskip(NEXT) | instid1(VALU_DEP_3)
	v_add_co_u32 v35, vcc_lo, s6, v33
	v_add_co_ci_u32_e32 v36, vcc_lo, s7, v34, vcc_lo
	v_add_co_u32 v33, vcc_lo, s8, v33
	v_add_co_ci_u32_e32 v34, vcc_lo, s9, v34, vcc_lo
	global_load_b64 v[35:36], v[35:36], off
	v_div_fixup_f64 v[13:14], v[31:32], v[13:14], 1.0
	s_delay_alu instid0(VALU_DEP_1) | instskip(NEXT) | instid1(VALU_DEP_1)
	v_mul_f64 v[31:32], v[29:30], v[13:14]
	v_min_f64 v[31:32], v[31:32], s[0:1]
	s_waitcnt vmcnt(0)
	s_delay_alu instid0(VALU_DEP_1) | instskip(SKIP_2) | instid1(VALU_DEP_1)
	v_mul_f64 v[31:32], v[35:36], v[31:32]
	global_store_b64 v[33:34], v[31:32], off
	v_div_scale_f64 v[31:32], null, v[17:18], v[17:18], 1.0
	v_rcp_f64_e32 v[33:34], v[31:32]
	s_waitcnt_depctr 0xfff
	v_fma_f64 v[35:36], -v[31:32], v[33:34], 1.0
	s_delay_alu instid0(VALU_DEP_1) | instskip(NEXT) | instid1(VALU_DEP_1)
	v_fma_f64 v[33:34], v[33:34], v[35:36], v[33:34]
	v_fma_f64 v[35:36], -v[31:32], v[33:34], 1.0
	s_delay_alu instid0(VALU_DEP_1) | instskip(SKIP_1) | instid1(VALU_DEP_1)
	v_fma_f64 v[33:34], v[33:34], v[35:36], v[33:34]
	v_div_scale_f64 v[35:36], vcc_lo, 1.0, v[17:18], 1.0
	v_mul_f64 v[37:38], v[35:36], v[33:34]
	s_delay_alu instid0(VALU_DEP_1) | instskip(NEXT) | instid1(VALU_DEP_1)
	v_fma_f64 v[31:32], -v[31:32], v[37:38], v[35:36]
	v_div_fmas_f64 v[31:32], v[31:32], v[33:34], v[37:38]
	s_delay_alu instid0(VALU_DEP_1) | instskip(NEXT) | instid1(VALU_DEP_1)
	v_div_fixup_f64 v[17:18], v[31:32], v[17:18], 1.0
	v_mul_f64 v[17:18], v[17:18], v[29:30]
	v_lshlrev_b64 v[29:30], 3, v[1:2]
	s_delay_alu instid0(VALU_DEP_1) | instskip(NEXT) | instid1(VALU_DEP_2)
	v_add_co_u32 v31, vcc_lo, s6, v29
	v_add_co_ci_u32_e32 v32, vcc_lo, s7, v30, vcc_lo
	v_add_co_u32 v29, vcc_lo, s8, v29
	v_add_co_ci_u32_e32 v30, vcc_lo, s9, v30, vcc_lo
	global_load_b64 v[31:32], v[31:32], off
	v_min_f64 v[17:18], v[17:18], s[0:1]
	s_waitcnt vmcnt(0)
	s_delay_alu instid0(VALU_DEP_1) | instskip(SKIP_3) | instid1(VALU_DEP_1)
	v_mul_f64 v[17:18], v[17:18], v[31:32]
	global_store_b64 v[29:30], v[17:18], off
	v_mad_u64_u32 v[17:18], null, 0xffffff99, s2, v[1:2]
	v_mov_b32_e32 v18, v2
	v_lshlrev_b64 v[0:1], 3, v[17:18]
	s_delay_alu instid0(VALU_DEP_1) | instskip(NEXT) | instid1(VALU_DEP_2)
	v_add_co_u32 v0, vcc_lo, s10, v0
	v_add_co_ci_u32_e32 v1, vcc_lo, s11, v1, vcc_lo
	global_load_b64 v[0:1], v[0:1], off
	s_waitcnt vmcnt(0)
	v_mul_f64 v[0:1], v[21:22], v[0:1]
	s_delay_alu instid0(VALU_DEP_1) | instskip(SKIP_2) | instid1(VALU_DEP_1)
	v_mul_f64 v[0:1], v[25:26], v[0:1]
	v_mad_u64_u32 v[25:26], null, 0x68, s2, v[17:18]
	v_mov_b32_e32 v26, v2
	v_lshlrev_b64 v[17:18], 3, v[25:26]
	s_delay_alu instid0(VALU_DEP_1) | instskip(NEXT) | instid1(VALU_DEP_2)
	v_add_co_u32 v29, vcc_lo, s6, v17
	v_add_co_ci_u32_e32 v30, vcc_lo, s7, v18, vcc_lo
	v_add_co_u32 v17, vcc_lo, s8, v17
	v_add_co_ci_u32_e32 v18, vcc_lo, s9, v18, vcc_lo
	global_load_b64 v[29:30], v[29:30], off
	v_min_f64 v[0:1], v[0:1], s[0:1]
	s_waitcnt vmcnt(0)
	s_delay_alu instid0(VALU_DEP_1) | instskip(SKIP_2) | instid1(VALU_DEP_1)
	v_mul_f64 v[0:1], v[29:30], v[0:1]
	global_store_b64 v[17:18], v[0:1], off
	v_mul_f64 v[0:1], v[11:12], v[21:22]
	v_mul_f64 v[5:6], v[5:6], v[0:1]
	v_add_nc_u32_e32 v1, s3, v25
	s_delay_alu instid0(VALU_DEP_1) | instskip(SKIP_1) | instid1(VALU_DEP_2)
	v_lshlrev_b64 v[11:12], 3, v[1:2]
	v_add_nc_u32_e32 v1, s4, v1
	v_add_co_u32 v11, vcc_lo, s10, v11
	s_delay_alu instid0(VALU_DEP_3) | instskip(SKIP_3) | instid1(VALU_DEP_1)
	v_add_co_ci_u32_e32 v12, vcc_lo, s11, v12, vcc_lo
	global_load_b64 v[11:12], v[11:12], off
	s_waitcnt vmcnt(0)
	v_div_scale_f64 v[17:18], null, v[11:12], v[11:12], 1.0
	v_rcp_f64_e32 v[21:22], v[17:18]
	s_waitcnt_depctr 0xfff
	v_fma_f64 v[25:26], -v[17:18], v[21:22], 1.0
	s_delay_alu instid0(VALU_DEP_1) | instskip(NEXT) | instid1(VALU_DEP_1)
	v_fma_f64 v[21:22], v[21:22], v[25:26], v[21:22]
	v_fma_f64 v[25:26], -v[17:18], v[21:22], 1.0
	s_delay_alu instid0(VALU_DEP_1) | instskip(SKIP_1) | instid1(VALU_DEP_1)
	v_fma_f64 v[21:22], v[21:22], v[25:26], v[21:22]
	v_div_scale_f64 v[25:26], vcc_lo, 1.0, v[11:12], 1.0
	v_mul_f64 v[29:30], v[25:26], v[21:22]
	s_delay_alu instid0(VALU_DEP_1) | instskip(NEXT) | instid1(VALU_DEP_1)
	v_fma_f64 v[17:18], -v[17:18], v[29:30], v[25:26]
	v_div_fmas_f64 v[17:18], v[17:18], v[21:22], v[29:30]
	s_delay_alu instid0(VALU_DEP_1) | instskip(NEXT) | instid1(VALU_DEP_1)
	v_div_fixup_f64 v[11:12], v[17:18], v[11:12], 1.0
	v_mul_f64 v[5:6], v[5:6], v[11:12]
	v_lshlrev_b64 v[11:12], 3, v[1:2]
	v_add_nc_u32_e32 v1, s2, v1
	s_delay_alu instid0(VALU_DEP_2) | instskip(NEXT) | instid1(VALU_DEP_3)
	v_add_co_u32 v17, vcc_lo, s6, v11
	v_add_co_ci_u32_e32 v18, vcc_lo, s7, v12, vcc_lo
	v_add_co_u32 v11, vcc_lo, s8, v11
	v_add_co_ci_u32_e32 v12, vcc_lo, s9, v12, vcc_lo
	global_load_b64 v[17:18], v[17:18], off
	v_min_f64 v[5:6], v[5:6], s[0:1]
	s_waitcnt vmcnt(0)
	s_delay_alu instid0(VALU_DEP_1) | instskip(SKIP_3) | instid1(VALU_DEP_2)
	v_mul_f64 v[5:6], v[17:18], v[5:6]
	global_store_b64 v[11:12], v[5:6], off
	v_lshlrev_b64 v[5:6], 3, v[1:2]
	v_add_nc_u32_e32 v1, s2, v1
	v_add_co_u32 v11, vcc_lo, s6, v5
	s_delay_alu instid0(VALU_DEP_3)
	v_add_co_ci_u32_e32 v12, vcc_lo, s7, v6, vcc_lo
	v_add_co_u32 v5, vcc_lo, s8, v5
	v_add_co_ci_u32_e32 v6, vcc_lo, s9, v6, vcc_lo
	global_load_b64 v[11:12], v[11:12], off
	s_waitcnt vmcnt(0)
	v_mul_f64 v[11:12], v[27:28], v[11:12]
	global_store_b64 v[5:6], v[11:12], off
	v_mul_f64 v[5:6], v[9:10], v[23:24]
	v_lshlrev_b64 v[9:10], 3, v[1:2]
	v_add_nc_u32_e32 v1, s2, v1
	s_delay_alu instid0(VALU_DEP_2) | instskip(NEXT) | instid1(VALU_DEP_3)
	v_add_co_u32 v11, vcc_lo, s6, v9
	v_add_co_ci_u32_e32 v12, vcc_lo, s7, v10, vcc_lo
	v_add_co_u32 v9, vcc_lo, s8, v9
	v_add_co_ci_u32_e32 v10, vcc_lo, s9, v10, vcc_lo
	global_load_b64 v[11:12], v[11:12], off
	v_mul_f64 v[5:6], v[19:20], v[5:6]
	s_delay_alu instid0(VALU_DEP_1) | instskip(SKIP_1) | instid1(VALU_DEP_1)
	v_min_f64 v[5:6], v[5:6], s[0:1]
	s_waitcnt vmcnt(0)
	v_mul_f64 v[5:6], v[5:6], v[11:12]
	global_store_b64 v[9:10], v[5:6], off
	v_mul_f64 v[5:6], v[7:8], v[23:24]
	v_lshlrev_b64 v[7:8], 3, v[1:2]
	s_delay_alu instid0(VALU_DEP_1) | instskip(NEXT) | instid1(VALU_DEP_2)
	v_add_co_u32 v9, vcc_lo, s6, v7
	v_add_co_ci_u32_e32 v10, vcc_lo, s7, v8, vcc_lo
	v_add_co_u32 v7, vcc_lo, s8, v7
	v_add_co_ci_u32_e32 v8, vcc_lo, s9, v8, vcc_lo
	global_load_b64 v[9:10], v[9:10], off
	v_mul_f64 v[5:6], v[5:6], v[13:14]
	s_delay_alu instid0(VALU_DEP_1) | instskip(SKIP_1) | instid1(VALU_DEP_1)
	v_min_f64 v[5:6], v[5:6], s[0:1]
	s_waitcnt vmcnt(0)
	v_mul_f64 v[5:6], v[5:6], v[9:10]
	global_store_b64 v[7:8], v[5:6], off
	v_mad_u64_u32 v[5:6], null, 0xffffff93, s2, v[1:2]
	v_mov_b32_e32 v6, v2
	s_delay_alu instid0(VALU_DEP_1) | instskip(NEXT) | instid1(VALU_DEP_1)
	v_lshlrev_b64 v[0:1], 3, v[5:6]
	v_add_co_u32 v0, vcc_lo, s10, v0
	s_delay_alu instid0(VALU_DEP_2) | instskip(SKIP_3) | instid1(VALU_DEP_1)
	v_add_co_ci_u32_e32 v1, vcc_lo, s11, v1, vcc_lo
	global_load_b64 v[0:1], v[0:1], off
	s_waitcnt vmcnt(0)
	v_mul_f64 v[0:1], v[15:16], v[0:1]
	v_div_scale_f64 v[6:7], null, v[0:1], v[0:1], 1.0
	s_delay_alu instid0(VALU_DEP_1) | instskip(SKIP_2) | instid1(VALU_DEP_1)
	v_rcp_f64_e32 v[8:9], v[6:7]
	s_waitcnt_depctr 0xfff
	v_fma_f64 v[10:11], -v[6:7], v[8:9], 1.0
	v_fma_f64 v[8:9], v[8:9], v[10:11], v[8:9]
	s_delay_alu instid0(VALU_DEP_1) | instskip(NEXT) | instid1(VALU_DEP_1)
	v_fma_f64 v[10:11], -v[6:7], v[8:9], 1.0
	v_fma_f64 v[8:9], v[8:9], v[10:11], v[8:9]
	v_div_scale_f64 v[10:11], vcc_lo, 1.0, v[0:1], 1.0
	s_delay_alu instid0(VALU_DEP_1) | instskip(NEXT) | instid1(VALU_DEP_1)
	v_mul_f64 v[12:13], v[10:11], v[8:9]
	v_fma_f64 v[6:7], -v[6:7], v[12:13], v[10:11]
	s_delay_alu instid0(VALU_DEP_1) | instskip(NEXT) | instid1(VALU_DEP_1)
	v_div_fmas_f64 v[6:7], v[6:7], v[8:9], v[12:13]
	v_div_fixup_f64 v[0:1], v[6:7], v[0:1], 1.0
	s_delay_alu instid0(VALU_DEP_1) | instskip(SKIP_2) | instid1(VALU_DEP_1)
	v_mul_f64 v[0:1], v[3:4], v[0:1]
	v_mad_u64_u32 v[3:4], null, 0x6e, s2, v[5:6]
	v_mov_b32_e32 v4, v2
	v_lshlrev_b64 v[2:3], 3, v[3:4]
	s_delay_alu instid0(VALU_DEP_1) | instskip(NEXT) | instid1(VALU_DEP_2)
	v_add_co_u32 v4, vcc_lo, s6, v2
	v_add_co_ci_u32_e32 v5, vcc_lo, s7, v3, vcc_lo
	v_add_co_u32 v2, vcc_lo, s8, v2
	v_add_co_ci_u32_e32 v3, vcc_lo, s9, v3, vcc_lo
	global_load_b64 v[4:5], v[4:5], off
	v_min_f64 v[0:1], v[0:1], s[0:1]
	s_waitcnt vmcnt(0)
	s_delay_alu instid0(VALU_DEP_1)
	v_mul_f64 v[0:1], v[4:5], v[0:1]
	global_store_b64 v[2:3], v[0:1], off
	s_nop 0
	s_sendmsg sendmsg(MSG_DEALLOC_VGPRS)
	s_endpgm
	.section	.rodata,"a",@progbits
	.p2align	6, 0x0
	.amdhsa_kernel _Z12ratt6_kernelIdEvPKT_S2_PS0_S2_S0_
		.amdhsa_group_segment_fixed_size 0
		.amdhsa_private_segment_fixed_size 0
		.amdhsa_kernarg_size 296
		.amdhsa_user_sgpr_count 15
		.amdhsa_user_sgpr_dispatch_ptr 0
		.amdhsa_user_sgpr_queue_ptr 0
		.amdhsa_user_sgpr_kernarg_segment_ptr 1
		.amdhsa_user_sgpr_dispatch_id 0
		.amdhsa_user_sgpr_private_segment_size 0
		.amdhsa_wavefront_size32 1
		.amdhsa_uses_dynamic_stack 0
		.amdhsa_enable_private_segment 0
		.amdhsa_system_sgpr_workgroup_id_x 1
		.amdhsa_system_sgpr_workgroup_id_y 0
		.amdhsa_system_sgpr_workgroup_id_z 0
		.amdhsa_system_sgpr_workgroup_info 0
		.amdhsa_system_vgpr_workitem_id 0
		.amdhsa_next_free_vgpr 42
		.amdhsa_next_free_sgpr 16
		.amdhsa_reserve_vcc 1
		.amdhsa_float_round_mode_32 0
		.amdhsa_float_round_mode_16_64 0
		.amdhsa_float_denorm_mode_32 3
		.amdhsa_float_denorm_mode_16_64 3
		.amdhsa_dx10_clamp 1
		.amdhsa_ieee_mode 1
		.amdhsa_fp16_overflow 0
		.amdhsa_workgroup_processor_mode 1
		.amdhsa_memory_ordered 1
		.amdhsa_forward_progress 0
		.amdhsa_shared_vgpr_count 0
		.amdhsa_exception_fp_ieee_invalid_op 0
		.amdhsa_exception_fp_denorm_src 0
		.amdhsa_exception_fp_ieee_div_zero 0
		.amdhsa_exception_fp_ieee_overflow 0
		.amdhsa_exception_fp_ieee_underflow 0
		.amdhsa_exception_fp_ieee_inexact 0
		.amdhsa_exception_int_div_zero 0
	.end_amdhsa_kernel
	.section	.text._Z12ratt6_kernelIdEvPKT_S2_PS0_S2_S0_,"axG",@progbits,_Z12ratt6_kernelIdEvPKT_S2_PS0_S2_S0_,comdat
.Lfunc_end34:
	.size	_Z12ratt6_kernelIdEvPKT_S2_PS0_S2_S0_, .Lfunc_end34-_Z12ratt6_kernelIdEvPKT_S2_PS0_S2_S0_
                                        ; -- End function
	.section	.AMDGPU.csdata,"",@progbits
; Kernel info:
; codeLenInByte = 6200
; NumSgprs: 18
; NumVgprs: 42
; ScratchSize: 0
; MemoryBound: 0
; FloatMode: 240
; IeeeMode: 1
; LDSByteSize: 0 bytes/workgroup (compile time only)
; SGPRBlocks: 2
; VGPRBlocks: 5
; NumSGPRsForWavesPerEU: 18
; NumVGPRsForWavesPerEU: 42
; Occupancy: 16
; WaveLimiterHint : 0
; COMPUTE_PGM_RSRC2:SCRATCH_EN: 0
; COMPUTE_PGM_RSRC2:USER_SGPR: 15
; COMPUTE_PGM_RSRC2:TRAP_HANDLER: 0
; COMPUTE_PGM_RSRC2:TGID_X_EN: 1
; COMPUTE_PGM_RSRC2:TGID_Y_EN: 0
; COMPUTE_PGM_RSRC2:TGID_Z_EN: 0
; COMPUTE_PGM_RSRC2:TIDIG_COMP_CNT: 0
	.section	.text._Z12ratt7_kernelIdEvPKT_S2_PS0_S2_S0_,"axG",@progbits,_Z12ratt7_kernelIdEvPKT_S2_PS0_S2_S0_,comdat
	.protected	_Z12ratt7_kernelIdEvPKT_S2_PS0_S2_S0_ ; -- Begin function _Z12ratt7_kernelIdEvPKT_S2_PS0_S2_S0_
	.globl	_Z12ratt7_kernelIdEvPKT_S2_PS0_S2_S0_
	.p2align	8
	.type	_Z12ratt7_kernelIdEvPKT_S2_PS0_S2_S0_,@function
_Z12ratt7_kernelIdEvPKT_S2_PS0_S2_S0_:  ; @_Z12ratt7_kernelIdEvPKT_S2_PS0_S2_S0_
; %bb.0:
	s_clause 0x3
	s_load_b256 s[4:11], s[0:1], 0x0
	s_load_b64 s[2:3], s[0:1], 0x20
	s_load_b32 s12, s[0:1], 0x28
	s_load_b32 s0, s[0:1], 0x34
	s_waitcnt lgkmcnt(0)
	s_and_b32 s13, s0, 0xffff
	s_brev_b32 s0, 12
	v_mad_u64_u32 v[1:2], null, s15, s13, v[0:1]
	v_mov_b32_e32 v2, 0
	s_mov_b32 s1, 0x4193d2c6
	s_delay_alu instid0(VALU_DEP_1) | instskip(NEXT) | instid1(VALU_DEP_1)
	v_lshlrev_b64 v[7:8], 3, v[1:2]
	v_add_co_u32 v3, vcc_lo, s4, v7
	s_delay_alu instid0(VALU_DEP_2) | instskip(SKIP_4) | instid1(SALU_CYCLE_1)
	v_add_co_ci_u32_e32 v4, vcc_lo, s5, v8, vcc_lo
	global_load_b64 v[3:4], v[3:4], off
	s_waitcnt vmcnt(0)
	v_mul_f64 v[3:4], v[3:4], s[2:3]
	s_mul_i32 s2, s12, s13
	v_add_nc_u32_e32 v1, s2, v1
	s_lshl_b32 s3, s2, 1
	s_mul_i32 s5, s2, 0x72
	s_mul_i32 s4, s2, 0x73
	;; [unrolled: 1-line block ×3, first 2 shown]
	s_delay_alu instid0(VALU_DEP_2) | instskip(SKIP_2) | instid1(VALU_DEP_1)
	v_mul_f64 v[3:4], v[3:4], s[0:1]
	s_mov_b32 s0, 0x4357691b
	s_mov_b32 s1, 0x479e17b8
	v_div_scale_f64 v[5:6], null, v[3:4], v[3:4], 1.0
	s_delay_alu instid0(VALU_DEP_1) | instskip(SKIP_2) | instid1(VALU_DEP_1)
	v_rcp_f64_e32 v[9:10], v[5:6]
	s_waitcnt_depctr 0xfff
	v_fma_f64 v[11:12], -v[5:6], v[9:10], 1.0
	v_fma_f64 v[9:10], v[9:10], v[11:12], v[9:10]
	s_delay_alu instid0(VALU_DEP_1) | instskip(NEXT) | instid1(VALU_DEP_1)
	v_fma_f64 v[11:12], -v[5:6], v[9:10], 1.0
	v_fma_f64 v[9:10], v[9:10], v[11:12], v[9:10]
	v_div_scale_f64 v[11:12], vcc_lo, 1.0, v[3:4], 1.0
	s_delay_alu instid0(VALU_DEP_1) | instskip(NEXT) | instid1(VALU_DEP_1)
	v_mul_f64 v[13:14], v[11:12], v[9:10]
	v_fma_f64 v[5:6], -v[5:6], v[13:14], v[11:12]
	v_mad_u64_u32 v[11:12], null, s2, 24, v[1:2]
	v_mov_b32_e32 v12, v2
	s_delay_alu instid0(VALU_DEP_3) | instskip(NEXT) | instid1(VALU_DEP_1)
	v_div_fmas_f64 v[5:6], v[5:6], v[9:10], v[13:14]
	v_div_fixup_f64 v[3:4], v[5:6], v[3:4], 1.0
	s_delay_alu instid0(VALU_DEP_1) | instskip(SKIP_2) | instid1(VALU_DEP_2)
	v_mul_f64 v[5:6], 0x412eec04, v[3:4]
	v_lshlrev_b64 v[3:4], 3, v[1:2]
	v_lshlrev_b64 v[0:1], 3, v[11:12]
	v_add_co_u32 v3, vcc_lo, s10, v3
	s_delay_alu instid0(VALU_DEP_3) | instskip(NEXT) | instid1(VALU_DEP_3)
	v_add_co_ci_u32_e32 v4, vcc_lo, s11, v4, vcc_lo
	v_add_co_u32 v0, vcc_lo, s10, v0
	s_delay_alu instid0(VALU_DEP_4) | instskip(SKIP_4) | instid1(VALU_DEP_1)
	v_add_co_ci_u32_e32 v1, vcc_lo, s11, v1, vcc_lo
	s_clause 0x1
	global_load_b64 v[9:10], v[3:4], off
	global_load_b64 v[3:4], v[0:1], off
	v_add_nc_u32_e32 v1, s2, v11
	v_lshlrev_b64 v[11:12], 3, v[1:2]
	s_delay_alu instid0(VALU_DEP_1) | instskip(NEXT) | instid1(VALU_DEP_2)
	v_add_co_u32 v11, vcc_lo, s10, v11
	v_add_co_ci_u32_e32 v12, vcc_lo, s11, v12, vcc_lo
	global_load_b64 v[11:12], v[11:12], off
	s_waitcnt vmcnt(1)
	v_mul_f64 v[21:22], v[9:10], v[3:4]
	s_waitcnt vmcnt(0)
	v_div_scale_f64 v[15:16], null, v[11:12], v[11:12], 1.0
	s_delay_alu instid0(VALU_DEP_2) | instskip(NEXT) | instid1(VALU_DEP_2)
	v_mul_f64 v[13:14], v[21:22], v[5:6]
	v_rcp_f64_e32 v[17:18], v[15:16]
	s_waitcnt_depctr 0xfff
	v_fma_f64 v[19:20], -v[15:16], v[17:18], 1.0
	s_delay_alu instid0(VALU_DEP_1) | instskip(NEXT) | instid1(VALU_DEP_1)
	v_fma_f64 v[17:18], v[17:18], v[19:20], v[17:18]
	v_fma_f64 v[19:20], -v[15:16], v[17:18], 1.0
	s_delay_alu instid0(VALU_DEP_1) | instskip(SKIP_1) | instid1(VALU_DEP_1)
	v_fma_f64 v[17:18], v[17:18], v[19:20], v[17:18]
	v_div_scale_f64 v[19:20], vcc_lo, 1.0, v[11:12], 1.0
	v_mul_f64 v[23:24], v[19:20], v[17:18]
	s_delay_alu instid0(VALU_DEP_1) | instskip(NEXT) | instid1(VALU_DEP_1)
	v_fma_f64 v[15:16], -v[15:16], v[23:24], v[19:20]
	v_div_fmas_f64 v[15:16], v[15:16], v[17:18], v[23:24]
	s_delay_alu instid0(VALU_DEP_1) | instskip(NEXT) | instid1(VALU_DEP_1)
	v_div_fixup_f64 v[15:16], v[15:16], v[11:12], 1.0
	v_mul_f64 v[13:14], v[15:16], v[13:14]
	v_mad_u64_u32 v[15:16], null, 0x63, s2, v[1:2]
	v_mov_b32_e32 v16, v2
	s_delay_alu instid0(VALU_DEP_1) | instskip(NEXT) | instid1(VALU_DEP_1)
	v_lshlrev_b64 v[0:1], 3, v[15:16]
	v_add_co_u32 v17, vcc_lo, s6, v0
	s_delay_alu instid0(VALU_DEP_2)
	v_add_co_ci_u32_e32 v18, vcc_lo, s7, v1, vcc_lo
	v_add_co_u32 v0, vcc_lo, s8, v0
	v_add_co_ci_u32_e32 v1, vcc_lo, s9, v1, vcc_lo
	global_load_b64 v[17:18], v[17:18], off
	v_min_f64 v[13:14], v[13:14], s[0:1]
	s_waitcnt vmcnt(0)
	s_delay_alu instid0(VALU_DEP_1)
	v_mul_f64 v[13:14], v[17:18], v[13:14]
	global_store_b64 v[0:1], v[13:14], off
	v_add_co_u32 v0, vcc_lo, s10, v7
	v_add_co_ci_u32_e32 v1, vcc_lo, s11, v8, vcc_lo
	global_load_b64 v[7:8], v[0:1], off
	v_mad_u64_u32 v[0:1], null, 0xffffff9b, s2, v[15:16]
	v_mov_b32_e32 v1, v2
	s_delay_alu instid0(VALU_DEP_1) | instskip(NEXT) | instid1(VALU_DEP_1)
	v_lshlrev_b64 v[13:14], 3, v[0:1]
	v_add_co_u32 v13, vcc_lo, s10, v13
	s_delay_alu instid0(VALU_DEP_2) | instskip(SKIP_3) | instid1(VALU_DEP_1)
	v_add_co_ci_u32_e32 v14, vcc_lo, s11, v14, vcc_lo
	global_load_b64 v[23:24], v[13:14], off
	s_waitcnt vmcnt(0)
	v_mul_f64 v[13:14], v[7:8], v[23:24]
	v_div_scale_f64 v[15:16], null, v[13:14], v[13:14], 1.0
	s_delay_alu instid0(VALU_DEP_1) | instskip(SKIP_2) | instid1(VALU_DEP_1)
	v_rcp_f64_e32 v[17:18], v[15:16]
	s_waitcnt_depctr 0xfff
	v_fma_f64 v[19:20], -v[15:16], v[17:18], 1.0
	v_fma_f64 v[17:18], v[17:18], v[19:20], v[17:18]
	s_delay_alu instid0(VALU_DEP_1) | instskip(NEXT) | instid1(VALU_DEP_1)
	v_fma_f64 v[19:20], -v[15:16], v[17:18], 1.0
	v_fma_f64 v[17:18], v[17:18], v[19:20], v[17:18]
	v_div_scale_f64 v[19:20], vcc_lo, 1.0, v[13:14], 1.0
	s_delay_alu instid0(VALU_DEP_1) | instskip(NEXT) | instid1(VALU_DEP_1)
	v_mul_f64 v[25:26], v[19:20], v[17:18]
	v_fma_f64 v[15:16], -v[15:16], v[25:26], v[19:20]
	s_delay_alu instid0(VALU_DEP_1) | instskip(NEXT) | instid1(VALU_DEP_1)
	v_div_fmas_f64 v[15:16], v[15:16], v[17:18], v[25:26]
	v_div_fixup_f64 v[13:14], v[15:16], v[13:14], 1.0
	v_mad_u64_u32 v[15:16], null, 0x66, s2, v[0:1]
	v_mov_b32_e32 v16, v2
	s_delay_alu instid0(VALU_DEP_1) | instskip(NEXT) | instid1(VALU_DEP_1)
	v_lshlrev_b64 v[0:1], 3, v[15:16]
	v_add_co_u32 v17, vcc_lo, s6, v0
	s_delay_alu instid0(VALU_DEP_2) | instskip(SKIP_4) | instid1(VALU_DEP_1)
	v_add_co_ci_u32_e32 v18, vcc_lo, s7, v1, vcc_lo
	v_add_co_u32 v0, vcc_lo, s8, v0
	v_add_co_ci_u32_e32 v1, vcc_lo, s9, v1, vcc_lo
	global_load_b64 v[17:18], v[17:18], off
	v_mul_f64 v[13:14], v[21:22], v[13:14]
	v_min_f64 v[13:14], v[13:14], s[0:1]
	s_waitcnt vmcnt(0)
	s_delay_alu instid0(VALU_DEP_1) | instskip(SKIP_3) | instid1(VALU_DEP_1)
	v_mul_f64 v[13:14], v[17:18], v[13:14]
	global_store_b64 v[0:1], v[13:14], off
	v_mad_u64_u32 v[0:1], null, 0xffffff8d, s2, v[15:16]
	v_mov_b32_e32 v1, v2
	v_lshlrev_b64 v[13:14], 3, v[0:1]
	v_add_nc_u32_e32 v1, s3, v0
	s_delay_alu instid0(VALU_DEP_1) | instskip(SKIP_1) | instid1(VALU_DEP_4)
	v_lshlrev_b64 v[15:16], 3, v[1:2]
	v_add_nc_u32_e32 v1, s5, v1
	v_add_co_u32 v13, vcc_lo, s10, v13
	v_add_co_ci_u32_e32 v14, vcc_lo, s11, v14, vcc_lo
	s_delay_alu instid0(VALU_DEP_4)
	v_add_co_u32 v15, vcc_lo, s10, v15
	v_add_co_ci_u32_e32 v16, vcc_lo, s11, v16, vcc_lo
	s_clause 0x1
	global_load_b64 v[13:14], v[13:14], off
	global_load_b64 v[17:18], v[15:16], off
	s_waitcnt vmcnt(0)
	v_mul_f64 v[15:16], v[13:14], v[17:18]
	s_delay_alu instid0(VALU_DEP_1) | instskip(NEXT) | instid1(VALU_DEP_1)
	v_div_scale_f64 v[19:20], null, v[15:16], v[15:16], 1.0
	v_rcp_f64_e32 v[25:26], v[19:20]
	s_waitcnt_depctr 0xfff
	v_fma_f64 v[27:28], -v[19:20], v[25:26], 1.0
	s_delay_alu instid0(VALU_DEP_1) | instskip(NEXT) | instid1(VALU_DEP_1)
	v_fma_f64 v[25:26], v[25:26], v[27:28], v[25:26]
	v_fma_f64 v[27:28], -v[19:20], v[25:26], 1.0
	s_delay_alu instid0(VALU_DEP_1) | instskip(SKIP_1) | instid1(VALU_DEP_1)
	v_fma_f64 v[25:26], v[25:26], v[27:28], v[25:26]
	v_div_scale_f64 v[27:28], vcc_lo, 1.0, v[15:16], 1.0
	v_mul_f64 v[29:30], v[27:28], v[25:26]
	s_delay_alu instid0(VALU_DEP_1) | instskip(NEXT) | instid1(VALU_DEP_1)
	v_fma_f64 v[19:20], -v[19:20], v[29:30], v[27:28]
	v_div_fmas_f64 v[19:20], v[19:20], v[25:26], v[29:30]
	v_lshlrev_b64 v[25:26], 3, v[1:2]
	s_delay_alu instid0(VALU_DEP_1) | instskip(NEXT) | instid1(VALU_DEP_2)
	v_add_co_u32 v27, vcc_lo, s6, v25
	v_add_co_ci_u32_e32 v28, vcc_lo, s7, v26, vcc_lo
	v_add_co_u32 v25, vcc_lo, s8, v25
	v_add_co_ci_u32_e32 v26, vcc_lo, s9, v26, vcc_lo
	global_load_b64 v[27:28], v[27:28], off
	v_div_fixup_f64 v[31:32], v[19:20], v[15:16], 1.0
	s_delay_alu instid0(VALU_DEP_1) | instskip(NEXT) | instid1(VALU_DEP_1)
	v_mul_f64 v[19:20], v[21:22], v[31:32]
	v_min_f64 v[19:20], v[19:20], s[0:1]
	s_waitcnt vmcnt(0)
	s_delay_alu instid0(VALU_DEP_1) | instskip(SKIP_3) | instid1(VALU_DEP_1)
	v_mul_f64 v[19:20], v[27:28], v[19:20]
	global_store_b64 v[25:26], v[19:20], off
	v_mad_u64_u32 v[19:20], null, 0xffffff83, s2, v[1:2]
	v_mov_b32_e32 v20, v2
	v_lshlrev_b64 v[0:1], 3, v[19:20]
	s_delay_alu instid0(VALU_DEP_1) | instskip(NEXT) | instid1(VALU_DEP_2)
	v_add_co_u32 v0, vcc_lo, s10, v0
	v_add_co_ci_u32_e32 v1, vcc_lo, s11, v1, vcc_lo
	global_load_b64 v[25:26], v[0:1], off
	v_add_nc_u32_e32 v1, s3, v19
	s_mul_i32 s3, s2, 0xffffff89
	s_delay_alu instid0(VALU_DEP_1) | instskip(NEXT) | instid1(VALU_DEP_1)
	v_lshlrev_b64 v[19:20], 3, v[1:2]
	v_add_co_u32 v19, vcc_lo, s10, v19
	s_delay_alu instid0(VALU_DEP_2)
	v_add_co_ci_u32_e32 v20, vcc_lo, s11, v20, vcc_lo
	global_load_b64 v[19:20], v[19:20], off
	s_waitcnt vmcnt(1)
	v_mul_f64 v[27:28], v[3:4], v[25:26]
	s_waitcnt vmcnt(0)
	v_mul_f64 v[29:30], v[23:24], v[19:20]
	s_delay_alu instid0(VALU_DEP_1) | instskip(NEXT) | instid1(VALU_DEP_1)
	v_div_scale_f64 v[33:34], null, v[29:30], v[29:30], 1.0
	v_rcp_f64_e32 v[35:36], v[33:34]
	s_waitcnt_depctr 0xfff
	v_fma_f64 v[37:38], -v[33:34], v[35:36], 1.0
	s_delay_alu instid0(VALU_DEP_1) | instskip(NEXT) | instid1(VALU_DEP_1)
	v_fma_f64 v[35:36], v[35:36], v[37:38], v[35:36]
	v_fma_f64 v[37:38], -v[33:34], v[35:36], 1.0
	s_delay_alu instid0(VALU_DEP_1) | instskip(SKIP_1) | instid1(VALU_DEP_1)
	v_fma_f64 v[35:36], v[35:36], v[37:38], v[35:36]
	v_div_scale_f64 v[37:38], vcc_lo, 1.0, v[29:30], 1.0
	v_mul_f64 v[39:40], v[37:38], v[35:36]
	s_delay_alu instid0(VALU_DEP_1) | instskip(NEXT) | instid1(VALU_DEP_1)
	v_fma_f64 v[33:34], -v[33:34], v[39:40], v[37:38]
	v_div_fmas_f64 v[33:34], v[33:34], v[35:36], v[39:40]
	s_delay_alu instid0(VALU_DEP_1) | instskip(SKIP_2) | instid1(VALU_DEP_1)
	v_div_fixup_f64 v[29:30], v[33:34], v[29:30], 1.0
	v_mad_u64_u32 v[33:34], null, 0x7c, s2, v[1:2]
	v_mov_b32_e32 v34, v2
	v_lshlrev_b64 v[0:1], 3, v[33:34]
	s_delay_alu instid0(VALU_DEP_1) | instskip(NEXT) | instid1(VALU_DEP_2)
	v_add_co_u32 v34, vcc_lo, s6, v0
	v_add_co_ci_u32_e32 v35, vcc_lo, s7, v1, vcc_lo
	v_add_co_u32 v0, vcc_lo, s8, v0
	v_add_co_ci_u32_e32 v1, vcc_lo, s9, v1, vcc_lo
	global_load_b64 v[34:35], v[34:35], off
	v_mul_f64 v[29:30], v[27:28], v[29:30]
	s_delay_alu instid0(VALU_DEP_1) | instskip(SKIP_1) | instid1(VALU_DEP_1)
	v_min_f64 v[29:30], v[29:30], s[0:1]
	s_waitcnt vmcnt(0)
	v_mul_f64 v[29:30], v[34:35], v[29:30]
	global_store_b64 v[0:1], v[29:30], off
	v_add_nc_u32_e32 v1, s3, v33
	s_delay_alu instid0(VALU_DEP_1) | instskip(SKIP_2) | instid1(VALU_DEP_2)
	v_mad_u64_u32 v[33:34], null, s2, 5, v[1:2]
	v_mov_b32_e32 v34, v2
	v_lshlrev_b64 v[29:30], 3, v[1:2]
	v_lshlrev_b64 v[0:1], 3, v[33:34]
	s_delay_alu instid0(VALU_DEP_2) | instskip(NEXT) | instid1(VALU_DEP_3)
	v_add_co_u32 v29, vcc_lo, s10, v29
	v_add_co_ci_u32_e32 v30, vcc_lo, s11, v30, vcc_lo
	s_delay_alu instid0(VALU_DEP_3) | instskip(NEXT) | instid1(VALU_DEP_4)
	v_add_co_u32 v0, vcc_lo, s10, v0
	v_add_co_ci_u32_e32 v1, vcc_lo, s11, v1, vcc_lo
	s_clause 0x1
	global_load_b64 v[29:30], v[29:30], off
	global_load_b64 v[0:1], v[0:1], off
	s_waitcnt vmcnt(0)
	v_mul_f64 v[0:1], v[29:30], v[0:1]
	s_delay_alu instid0(VALU_DEP_1) | instskip(NEXT) | instid1(VALU_DEP_1)
	v_div_scale_f64 v[29:30], null, v[0:1], v[0:1], 1.0
	v_rcp_f64_e32 v[34:35], v[29:30]
	s_waitcnt_depctr 0xfff
	v_fma_f64 v[36:37], -v[29:30], v[34:35], 1.0
	s_delay_alu instid0(VALU_DEP_1) | instskip(NEXT) | instid1(VALU_DEP_1)
	v_fma_f64 v[34:35], v[34:35], v[36:37], v[34:35]
	v_fma_f64 v[36:37], -v[29:30], v[34:35], 1.0
	s_delay_alu instid0(VALU_DEP_1) | instskip(SKIP_1) | instid1(VALU_DEP_1)
	v_fma_f64 v[34:35], v[34:35], v[36:37], v[34:35]
	v_div_scale_f64 v[36:37], vcc_lo, 1.0, v[0:1], 1.0
	v_mul_f64 v[38:39], v[36:37], v[34:35]
	s_delay_alu instid0(VALU_DEP_1) | instskip(NEXT) | instid1(VALU_DEP_1)
	v_fma_f64 v[29:30], -v[29:30], v[38:39], v[36:37]
	v_div_fmas_f64 v[29:30], v[29:30], v[34:35], v[38:39]
	s_delay_alu instid0(VALU_DEP_1) | instskip(NEXT) | instid1(VALU_DEP_1)
	v_div_fixup_f64 v[0:1], v[29:30], v[0:1], 1.0
	v_mul_f64 v[27:28], v[27:28], v[0:1]
	v_add_nc_u32_e32 v1, s4, v33
	s_delay_alu instid0(VALU_DEP_1) | instskip(NEXT) | instid1(VALU_DEP_1)
	v_lshlrev_b64 v[29:30], 3, v[1:2]
	v_add_co_u32 v33, vcc_lo, s6, v29
	s_delay_alu instid0(VALU_DEP_2)
	v_add_co_ci_u32_e32 v34, vcc_lo, s7, v30, vcc_lo
	v_add_co_u32 v29, vcc_lo, s8, v29
	v_add_co_ci_u32_e32 v30, vcc_lo, s9, v30, vcc_lo
	global_load_b64 v[33:34], v[33:34], off
	v_min_f64 v[27:28], v[27:28], s[0:1]
	s_waitcnt vmcnt(0)
	s_delay_alu instid0(VALU_DEP_1)
	v_mul_f64 v[27:28], v[33:34], v[27:28]
	global_store_b64 v[29:30], v[27:28], off
	v_mad_u64_u32 v[29:30], null, 0xffffff84, s2, v[1:2]
	v_mov_b32_e32 v30, v2
	v_mul_f64 v[27:28], v[3:4], v[19:20]
	v_mul_f64 v[3:4], v[3:4], v[7:8]
	s_delay_alu instid0(VALU_DEP_3) | instskip(NEXT) | instid1(VALU_DEP_1)
	v_lshlrev_b64 v[0:1], 3, v[29:30]
	v_add_co_u32 v0, vcc_lo, s10, v0
	s_delay_alu instid0(VALU_DEP_2) | instskip(SKIP_3) | instid1(VALU_DEP_1)
	v_add_co_ci_u32_e32 v1, vcc_lo, s11, v1, vcc_lo
	global_load_b64 v[33:34], v[0:1], off
	s_waitcnt vmcnt(0)
	v_mul_f64 v[0:1], v[23:24], v[33:34]
	v_div_scale_f64 v[23:24], null, v[0:1], v[0:1], 1.0
	s_delay_alu instid0(VALU_DEP_1) | instskip(SKIP_2) | instid1(VALU_DEP_1)
	v_rcp_f64_e32 v[35:36], v[23:24]
	s_waitcnt_depctr 0xfff
	v_fma_f64 v[37:38], -v[23:24], v[35:36], 1.0
	v_fma_f64 v[35:36], v[35:36], v[37:38], v[35:36]
	s_delay_alu instid0(VALU_DEP_1) | instskip(NEXT) | instid1(VALU_DEP_1)
	v_fma_f64 v[37:38], -v[23:24], v[35:36], 1.0
	v_fma_f64 v[35:36], v[35:36], v[37:38], v[35:36]
	v_div_scale_f64 v[37:38], vcc_lo, 1.0, v[0:1], 1.0
	s_delay_alu instid0(VALU_DEP_1) | instskip(NEXT) | instid1(VALU_DEP_1)
	v_mul_f64 v[39:40], v[37:38], v[35:36]
	v_fma_f64 v[23:24], -v[23:24], v[39:40], v[37:38]
	s_delay_alu instid0(VALU_DEP_1) | instskip(NEXT) | instid1(VALU_DEP_1)
	v_div_fmas_f64 v[23:24], v[23:24], v[35:36], v[39:40]
	v_div_fixup_f64 v[0:1], v[23:24], v[0:1], 1.0
	v_mad_u64_u32 v[23:24], null, 0x7d, s2, v[29:30]
	v_mov_b32_e32 v24, v2
	s_delay_alu instid0(VALU_DEP_3) | instskip(NEXT) | instid1(VALU_DEP_2)
	v_mul_f64 v[0:1], v[27:28], v[0:1]
	v_lshlrev_b64 v[27:28], 3, v[23:24]
	s_delay_alu instid0(VALU_DEP_1) | instskip(NEXT) | instid1(VALU_DEP_2)
	v_add_co_u32 v29, vcc_lo, s6, v27
	v_add_co_ci_u32_e32 v30, vcc_lo, s7, v28, vcc_lo
	v_add_co_u32 v27, vcc_lo, s8, v27
	v_add_co_ci_u32_e32 v28, vcc_lo, s9, v28, vcc_lo
	global_load_b64 v[29:30], v[29:30], off
	v_min_f64 v[0:1], v[0:1], s[0:1]
	s_waitcnt vmcnt(0)
	s_delay_alu instid0(VALU_DEP_1) | instskip(SKIP_3) | instid1(VALU_DEP_1)
	v_mul_f64 v[0:1], v[29:30], v[0:1]
	global_store_b64 v[27:28], v[0:1], off
	v_mad_u64_u32 v[0:1], null, 0xffffff92, s2, v[23:24]
	v_mov_b32_e32 v1, v2
	v_lshlrev_b64 v[23:24], 3, v[0:1]
	v_add_nc_u32_e32 v1, s2, v0
	s_delay_alu instid0(VALU_DEP_1) | instskip(NEXT) | instid1(VALU_DEP_3)
	v_lshlrev_b64 v[27:28], 3, v[1:2]
	v_add_co_u32 v23, vcc_lo, s10, v23
	s_delay_alu instid0(VALU_DEP_4) | instskip(NEXT) | instid1(VALU_DEP_3)
	v_add_co_ci_u32_e32 v24, vcc_lo, s11, v24, vcc_lo
	v_add_co_u32 v27, vcc_lo, s10, v27
	s_delay_alu instid0(VALU_DEP_4)
	v_add_co_ci_u32_e32 v28, vcc_lo, s11, v28, vcc_lo
	s_clause 0x1
	global_load_b64 v[23:24], v[23:24], off
	global_load_b64 v[27:28], v[27:28], off
	s_waitcnt vmcnt(1)
	v_mul_f64 v[35:36], v[9:10], v[23:24]
	s_waitcnt vmcnt(0)
	v_div_scale_f64 v[37:38], null, v[27:28], v[27:28], 1.0
	v_mul_f64 v[17:18], v[17:18], v[27:28]
	s_delay_alu instid0(VALU_DEP_3) | instskip(NEXT) | instid1(VALU_DEP_3)
	v_mul_f64 v[29:30], v[5:6], v[35:36]
	v_rcp_f64_e32 v[39:40], v[37:38]
	s_waitcnt_depctr 0xfff
	v_fma_f64 v[41:42], -v[37:38], v[39:40], 1.0
	s_delay_alu instid0(VALU_DEP_1) | instskip(NEXT) | instid1(VALU_DEP_1)
	v_fma_f64 v[39:40], v[39:40], v[41:42], v[39:40]
	v_fma_f64 v[41:42], -v[37:38], v[39:40], 1.0
	s_delay_alu instid0(VALU_DEP_1) | instskip(SKIP_1) | instid1(VALU_DEP_1)
	v_fma_f64 v[39:40], v[39:40], v[41:42], v[39:40]
	v_div_scale_f64 v[41:42], vcc_lo, 1.0, v[27:28], 1.0
	v_mul_f64 v[43:44], v[41:42], v[39:40]
	s_delay_alu instid0(VALU_DEP_1) | instskip(NEXT) | instid1(VALU_DEP_1)
	v_fma_f64 v[37:38], -v[37:38], v[43:44], v[41:42]
	v_div_fmas_f64 v[37:38], v[37:38], v[39:40], v[43:44]
	s_delay_alu instid0(VALU_DEP_1) | instskip(NEXT) | instid1(VALU_DEP_1)
	v_div_fixup_f64 v[37:38], v[37:38], v[27:28], 1.0
	v_mul_f64 v[29:30], v[37:38], v[29:30]
	v_mad_u64_u32 v[37:38], null, 0x6e, s2, v[1:2]
	v_mov_b32_e32 v38, v2
	s_delay_alu instid0(VALU_DEP_1) | instskip(NEXT) | instid1(VALU_DEP_1)
	v_lshlrev_b64 v[0:1], 3, v[37:38]
	v_add_co_u32 v38, vcc_lo, s6, v0
	s_delay_alu instid0(VALU_DEP_2)
	v_add_co_ci_u32_e32 v39, vcc_lo, s7, v1, vcc_lo
	v_add_co_u32 v0, vcc_lo, s8, v0
	v_add_co_ci_u32_e32 v1, vcc_lo, s9, v1, vcc_lo
	global_load_b64 v[38:39], v[38:39], off
	v_min_f64 v[29:30], v[29:30], s[0:1]
	s_waitcnt vmcnt(0)
	s_delay_alu instid0(VALU_DEP_1) | instskip(SKIP_2) | instid1(VALU_DEP_1)
	v_mul_f64 v[29:30], v[38:39], v[29:30]
	global_store_b64 v[0:1], v[29:30], off
	v_add_nc_u32_e32 v1, s12, v37
	v_lshlrev_b64 v[29:30], 3, v[1:2]
	v_add_nc_u32_e32 v1, s5, v1
	s_delay_alu instid0(VALU_DEP_2) | instskip(NEXT) | instid1(VALU_DEP_3)
	v_add_co_u32 v29, vcc_lo, s10, v29
	v_add_co_ci_u32_e32 v30, vcc_lo, s11, v30, vcc_lo
	global_load_b64 v[29:30], v[29:30], off
	s_waitcnt vmcnt(0)
	v_mul_f64 v[37:38], v[7:8], v[29:30]
	s_delay_alu instid0(VALU_DEP_1) | instskip(NEXT) | instid1(VALU_DEP_1)
	v_div_scale_f64 v[39:40], null, v[37:38], v[37:38], 1.0
	v_rcp_f64_e32 v[41:42], v[39:40]
	s_waitcnt_depctr 0xfff
	v_fma_f64 v[43:44], -v[39:40], v[41:42], 1.0
	s_delay_alu instid0(VALU_DEP_1) | instskip(NEXT) | instid1(VALU_DEP_1)
	v_fma_f64 v[41:42], v[41:42], v[43:44], v[41:42]
	v_fma_f64 v[43:44], -v[39:40], v[41:42], 1.0
	s_delay_alu instid0(VALU_DEP_1) | instskip(SKIP_1) | instid1(VALU_DEP_1)
	v_fma_f64 v[41:42], v[41:42], v[43:44], v[41:42]
	v_div_scale_f64 v[43:44], vcc_lo, 1.0, v[37:38], 1.0
	v_mul_f64 v[45:46], v[43:44], v[41:42]
	s_delay_alu instid0(VALU_DEP_1) | instskip(NEXT) | instid1(VALU_DEP_1)
	v_fma_f64 v[39:40], -v[39:40], v[45:46], v[43:44]
	v_div_fmas_f64 v[39:40], v[39:40], v[41:42], v[45:46]
	s_delay_alu instid0(VALU_DEP_1) | instskip(SKIP_3) | instid1(VALU_DEP_2)
	v_div_fixup_f64 v[37:38], v[39:40], v[37:38], 1.0
	v_lshlrev_b64 v[39:40], 3, v[1:2]
	v_add_nc_u32_e32 v1, s12, v1
	s_mul_i32 s12, s2, 0xffffff7b
	v_add_co_u32 v41, vcc_lo, s6, v39
	s_delay_alu instid0(VALU_DEP_3) | instskip(SKIP_4) | instid1(VALU_DEP_1)
	v_add_co_ci_u32_e32 v42, vcc_lo, s7, v40, vcc_lo
	v_add_co_u32 v39, vcc_lo, s8, v39
	v_add_co_ci_u32_e32 v40, vcc_lo, s9, v40, vcc_lo
	global_load_b64 v[41:42], v[41:42], off
	v_mul_f64 v[37:38], v[35:36], v[37:38]
	v_min_f64 v[37:38], v[37:38], s[0:1]
	s_waitcnt vmcnt(0)
	s_delay_alu instid0(VALU_DEP_1) | instskip(SKIP_4) | instid1(VALU_DEP_2)
	v_mul_f64 v[37:38], v[41:42], v[37:38]
	global_store_b64 v[39:40], v[37:38], off
	v_lshlrev_b64 v[37:38], 3, v[1:2]
	v_add_nc_u32_e32 v1, s5, v1
	s_mul_i32 s5, s2, 0x83
	v_add_co_u32 v37, vcc_lo, s10, v37
	s_delay_alu instid0(VALU_DEP_3) | instskip(SKIP_3) | instid1(VALU_DEP_1)
	v_add_co_ci_u32_e32 v38, vcc_lo, s11, v38, vcc_lo
	global_load_b64 v[37:38], v[37:38], off
	s_waitcnt vmcnt(0)
	v_mul_f64 v[37:38], v[7:8], v[37:38]
	v_div_scale_f64 v[39:40], null, v[37:38], v[37:38], 1.0
	s_delay_alu instid0(VALU_DEP_1) | instskip(SKIP_2) | instid1(VALU_DEP_1)
	v_rcp_f64_e32 v[41:42], v[39:40]
	s_waitcnt_depctr 0xfff
	v_fma_f64 v[43:44], -v[39:40], v[41:42], 1.0
	v_fma_f64 v[41:42], v[41:42], v[43:44], v[41:42]
	s_delay_alu instid0(VALU_DEP_1) | instskip(NEXT) | instid1(VALU_DEP_1)
	v_fma_f64 v[43:44], -v[39:40], v[41:42], 1.0
	v_fma_f64 v[41:42], v[41:42], v[43:44], v[41:42]
	v_div_scale_f64 v[43:44], vcc_lo, 1.0, v[37:38], 1.0
	s_delay_alu instid0(VALU_DEP_1) | instskip(NEXT) | instid1(VALU_DEP_1)
	v_mul_f64 v[45:46], v[43:44], v[41:42]
	v_fma_f64 v[39:40], -v[39:40], v[45:46], v[43:44]
	s_delay_alu instid0(VALU_DEP_1) | instskip(NEXT) | instid1(VALU_DEP_1)
	v_div_fmas_f64 v[39:40], v[39:40], v[41:42], v[45:46]
	v_div_fixup_f64 v[37:38], v[39:40], v[37:38], 1.0
	s_delay_alu instid0(VALU_DEP_1) | instskip(SKIP_2) | instid1(VALU_DEP_2)
	v_mul_f64 v[35:36], v[35:36], v[37:38]
	v_lshlrev_b64 v[37:38], 3, v[1:2]
	v_add_nc_u32_e32 v1, s2, v1
	v_add_co_u32 v39, vcc_lo, s6, v37
	s_delay_alu instid0(VALU_DEP_3)
	v_add_co_ci_u32_e32 v40, vcc_lo, s7, v38, vcc_lo
	v_add_co_u32 v37, vcc_lo, s8, v37
	v_add_co_ci_u32_e32 v38, vcc_lo, s9, v38, vcc_lo
	global_load_b64 v[39:40], v[39:40], off
	v_min_f64 v[35:36], v[35:36], s[0:1]
	s_waitcnt vmcnt(0)
	s_delay_alu instid0(VALU_DEP_1) | instskip(SKIP_3) | instid1(VALU_DEP_2)
	v_mul_f64 v[35:36], v[39:40], v[35:36]
	global_store_b64 v[37:38], v[35:36], off
	v_div_scale_f64 v[37:38], null, v[21:22], v[21:22], 1.0
	v_mul_f64 v[35:36], v[25:26], v[23:24]
	v_rcp_f64_e32 v[39:40], v[37:38]
	s_waitcnt_depctr 0xfff
	v_fma_f64 v[41:42], -v[37:38], v[39:40], 1.0
	s_delay_alu instid0(VALU_DEP_1) | instskip(NEXT) | instid1(VALU_DEP_1)
	v_fma_f64 v[39:40], v[39:40], v[41:42], v[39:40]
	v_fma_f64 v[41:42], -v[37:38], v[39:40], 1.0
	s_delay_alu instid0(VALU_DEP_1) | instskip(SKIP_1) | instid1(VALU_DEP_1)
	v_fma_f64 v[39:40], v[39:40], v[41:42], v[39:40]
	v_div_scale_f64 v[41:42], vcc_lo, 1.0, v[21:22], 1.0
	v_mul_f64 v[43:44], v[41:42], v[39:40]
	s_delay_alu instid0(VALU_DEP_1) | instskip(NEXT) | instid1(VALU_DEP_1)
	v_fma_f64 v[37:38], -v[37:38], v[43:44], v[41:42]
	v_div_fmas_f64 v[37:38], v[37:38], v[39:40], v[43:44]
	s_delay_alu instid0(VALU_DEP_1) | instskip(SKIP_2) | instid1(VALU_DEP_2)
	v_div_fixup_f64 v[21:22], v[37:38], v[21:22], 1.0
	v_lshlrev_b64 v[37:38], 3, v[1:2]
	v_add_nc_u32_e32 v1, s2, v1
	v_add_co_u32 v39, vcc_lo, s6, v37
	s_delay_alu instid0(VALU_DEP_3) | instskip(SKIP_4) | instid1(VALU_DEP_1)
	v_add_co_ci_u32_e32 v40, vcc_lo, s7, v38, vcc_lo
	v_add_co_u32 v37, vcc_lo, s8, v37
	v_add_co_ci_u32_e32 v38, vcc_lo, s9, v38, vcc_lo
	global_load_b64 v[39:40], v[39:40], off
	v_mul_f64 v[21:22], v[21:22], v[35:36]
	v_min_f64 v[21:22], v[21:22], s[0:1]
	s_waitcnt vmcnt(0)
	s_delay_alu instid0(VALU_DEP_1) | instskip(SKIP_4) | instid1(VALU_DEP_2)
	v_mul_f64 v[21:22], v[21:22], v[39:40]
	global_store_b64 v[37:38], v[21:22], off
	v_mul_f64 v[21:22], v[31:32], v[35:36]
	v_lshlrev_b64 v[31:32], 3, v[1:2]
	v_add_nc_u32_e32 v1, s2, v1
	v_add_co_u32 v35, vcc_lo, s6, v31
	s_delay_alu instid0(VALU_DEP_3)
	v_add_co_ci_u32_e32 v36, vcc_lo, s7, v32, vcc_lo
	v_add_co_u32 v31, vcc_lo, s8, v31
	v_add_co_ci_u32_e32 v32, vcc_lo, s9, v32, vcc_lo
	global_load_b64 v[35:36], v[35:36], off
	v_min_f64 v[21:22], v[21:22], s[0:1]
	s_waitcnt vmcnt(0)
	s_delay_alu instid0(VALU_DEP_1) | instskip(SKIP_4) | instid1(VALU_DEP_3)
	v_mul_f64 v[21:22], v[21:22], v[35:36]
	global_store_b64 v[31:32], v[21:22], off
	v_mul_f64 v[31:32], v[33:34], v[29:30]
	v_mul_f64 v[21:22], v[19:20], v[23:24]
	;; [unrolled: 1-line block ×3, first 2 shown]
	v_div_scale_f64 v[33:34], null, v[31:32], v[31:32], 1.0
	s_delay_alu instid0(VALU_DEP_1) | instskip(SKIP_2) | instid1(VALU_DEP_1)
	v_rcp_f64_e32 v[35:36], v[33:34]
	s_waitcnt_depctr 0xfff
	v_fma_f64 v[37:38], -v[33:34], v[35:36], 1.0
	v_fma_f64 v[35:36], v[35:36], v[37:38], v[35:36]
	s_delay_alu instid0(VALU_DEP_1) | instskip(NEXT) | instid1(VALU_DEP_1)
	v_fma_f64 v[37:38], -v[33:34], v[35:36], 1.0
	v_fma_f64 v[35:36], v[35:36], v[37:38], v[35:36]
	v_div_scale_f64 v[37:38], vcc_lo, 1.0, v[31:32], 1.0
	s_delay_alu instid0(VALU_DEP_1) | instskip(NEXT) | instid1(VALU_DEP_1)
	v_mul_f64 v[39:40], v[37:38], v[35:36]
	v_fma_f64 v[33:34], -v[33:34], v[39:40], v[37:38]
	s_delay_alu instid0(VALU_DEP_1) | instskip(NEXT) | instid1(VALU_DEP_1)
	v_div_fmas_f64 v[33:34], v[33:34], v[35:36], v[39:40]
	v_div_fixup_f64 v[31:32], v[33:34], v[31:32], 1.0
	s_delay_alu instid0(VALU_DEP_1) | instskip(SKIP_2) | instid1(VALU_DEP_2)
	v_mul_f64 v[21:22], v[21:22], v[31:32]
	v_lshlrev_b64 v[31:32], 3, v[1:2]
	v_add_nc_u32_e32 v1, s12, v1
	v_add_co_u32 v33, vcc_lo, s6, v31
	s_delay_alu instid0(VALU_DEP_3)
	v_add_co_ci_u32_e32 v34, vcc_lo, s7, v32, vcc_lo
	v_add_co_u32 v31, vcc_lo, s8, v31
	v_add_co_ci_u32_e32 v32, vcc_lo, s9, v32, vcc_lo
	global_load_b64 v[33:34], v[33:34], off
	v_min_f64 v[21:22], v[21:22], s[0:1]
	s_waitcnt vmcnt(0)
	s_delay_alu instid0(VALU_DEP_1) | instskip(SKIP_2) | instid1(VALU_DEP_1)
	v_mul_f64 v[21:22], v[21:22], v[33:34]
	global_store_b64 v[31:32], v[21:22], off
	v_lshlrev_b64 v[21:22], 3, v[1:2]
	v_add_co_u32 v21, vcc_lo, s10, v21
	s_delay_alu instid0(VALU_DEP_2)
	v_add_co_ci_u32_e32 v22, vcc_lo, s11, v22, vcc_lo
	global_load_b64 v[21:22], v[21:22], off
	s_waitcnt vmcnt(0)
	v_mul_f64 v[31:32], v[23:24], v[21:22]
	v_mad_u64_u32 v[21:22], null, s2, 3, v[1:2]
	v_mov_b32_e32 v22, v2
	s_delay_alu instid0(VALU_DEP_1) | instskip(NEXT) | instid1(VALU_DEP_1)
	v_lshlrev_b64 v[0:1], 3, v[21:22]
	v_add_co_u32 v0, vcc_lo, s10, v0
	s_delay_alu instid0(VALU_DEP_2) | instskip(SKIP_3) | instid1(VALU_DEP_1)
	v_add_co_ci_u32_e32 v1, vcc_lo, s11, v1, vcc_lo
	global_load_b64 v[33:34], v[0:1], off
	s_waitcnt vmcnt(0)
	v_mul_f64 v[0:1], v[29:30], v[33:34]
	v_div_scale_f64 v[35:36], null, v[0:1], v[0:1], 1.0
	s_delay_alu instid0(VALU_DEP_1) | instskip(SKIP_2) | instid1(VALU_DEP_1)
	v_rcp_f64_e32 v[37:38], v[35:36]
	s_waitcnt_depctr 0xfff
	v_fma_f64 v[39:40], -v[35:36], v[37:38], 1.0
	v_fma_f64 v[37:38], v[37:38], v[39:40], v[37:38]
	s_delay_alu instid0(VALU_DEP_1) | instskip(NEXT) | instid1(VALU_DEP_1)
	v_fma_f64 v[39:40], -v[35:36], v[37:38], 1.0
	v_fma_f64 v[37:38], v[37:38], v[39:40], v[37:38]
	v_div_scale_f64 v[39:40], vcc_lo, 1.0, v[0:1], 1.0
	s_delay_alu instid0(VALU_DEP_1) | instskip(NEXT) | instid1(VALU_DEP_1)
	v_mul_f64 v[41:42], v[39:40], v[37:38]
	v_fma_f64 v[35:36], -v[35:36], v[41:42], v[39:40]
	s_delay_alu instid0(VALU_DEP_1) | instskip(NEXT) | instid1(VALU_DEP_1)
	v_div_fmas_f64 v[35:36], v[35:36], v[37:38], v[41:42]
	v_div_fixup_f64 v[0:1], v[35:36], v[0:1], 1.0
	s_delay_alu instid0(VALU_DEP_1) | instskip(SKIP_1) | instid1(VALU_DEP_1)
	v_mul_f64 v[35:36], v[31:32], v[0:1]
	v_add_nc_u32_e32 v1, s5, v21
	v_lshlrev_b64 v[21:22], 3, v[1:2]
	v_add_nc_u32_e32 v1, s2, v1
	s_delay_alu instid0(VALU_DEP_2) | instskip(NEXT) | instid1(VALU_DEP_3)
	v_add_co_u32 v37, vcc_lo, s6, v21
	v_add_co_ci_u32_e32 v38, vcc_lo, s7, v22, vcc_lo
	v_add_co_u32 v21, vcc_lo, s8, v21
	v_add_co_ci_u32_e32 v22, vcc_lo, s9, v22, vcc_lo
	global_load_b64 v[37:38], v[37:38], off
	v_min_f64 v[35:36], v[35:36], s[0:1]
	s_waitcnt vmcnt(0)
	s_delay_alu instid0(VALU_DEP_1) | instskip(SKIP_2) | instid1(VALU_DEP_1)
	v_mul_f64 v[35:36], v[37:38], v[35:36]
	global_store_b64 v[21:22], v[35:36], off
	v_mul_f64 v[21:22], v[11:12], v[25:26]
	v_div_scale_f64 v[25:26], null, v[21:22], v[21:22], 1.0
	s_delay_alu instid0(VALU_DEP_1) | instskip(SKIP_2) | instid1(VALU_DEP_1)
	v_rcp_f64_e32 v[35:36], v[25:26]
	s_waitcnt_depctr 0xfff
	v_fma_f64 v[37:38], -v[25:26], v[35:36], 1.0
	v_fma_f64 v[35:36], v[35:36], v[37:38], v[35:36]
	s_delay_alu instid0(VALU_DEP_1) | instskip(NEXT) | instid1(VALU_DEP_1)
	v_fma_f64 v[37:38], -v[25:26], v[35:36], 1.0
	v_fma_f64 v[35:36], v[35:36], v[37:38], v[35:36]
	v_div_scale_f64 v[37:38], vcc_lo, 1.0, v[21:22], 1.0
	s_delay_alu instid0(VALU_DEP_1) | instskip(NEXT) | instid1(VALU_DEP_1)
	v_mul_f64 v[39:40], v[37:38], v[35:36]
	v_fma_f64 v[25:26], -v[25:26], v[39:40], v[37:38]
	s_delay_alu instid0(VALU_DEP_1) | instskip(NEXT) | instid1(VALU_DEP_1)
	v_div_fmas_f64 v[25:26], v[25:26], v[35:36], v[39:40]
	v_div_fixup_f64 v[21:22], v[25:26], v[21:22], 1.0
	v_lshlrev_b64 v[25:26], 3, v[1:2]
	s_delay_alu instid0(VALU_DEP_1) | instskip(NEXT) | instid1(VALU_DEP_2)
	v_add_co_u32 v35, vcc_lo, s6, v25
	v_add_co_ci_u32_e32 v36, vcc_lo, s7, v26, vcc_lo
	v_add_co_u32 v25, vcc_lo, s8, v25
	v_add_co_ci_u32_e32 v26, vcc_lo, s9, v26, vcc_lo
	global_load_b64 v[35:36], v[35:36], off
	v_mul_f64 v[21:22], v[21:22], v[31:32]
	s_delay_alu instid0(VALU_DEP_1) | instskip(SKIP_1) | instid1(VALU_DEP_1)
	v_min_f64 v[21:22], v[21:22], s[0:1]
	s_waitcnt vmcnt(0)
	v_mul_f64 v[21:22], v[21:22], v[35:36]
	global_store_b64 v[25:26], v[21:22], off
	v_mad_u64_u32 v[25:26], null, 0xffffff85, s2, v[1:2]
	v_mov_b32_e32 v26, v2
	s_delay_alu instid0(VALU_DEP_1) | instskip(NEXT) | instid1(VALU_DEP_1)
	v_lshlrev_b64 v[0:1], 3, v[25:26]
	v_add_co_u32 v0, vcc_lo, s10, v0
	s_delay_alu instid0(VALU_DEP_2) | instskip(SKIP_2) | instid1(VALU_DEP_1)
	v_add_co_ci_u32_e32 v1, vcc_lo, s11, v1, vcc_lo
	global_load_b64 v[21:22], v[0:1], off
	v_add_nc_u32_e32 v1, s2, v25
	v_lshlrev_b64 v[25:26], 3, v[1:2]
	s_delay_alu instid0(VALU_DEP_1) | instskip(NEXT) | instid1(VALU_DEP_2)
	v_add_co_u32 v25, vcc_lo, s10, v25
	v_add_co_ci_u32_e32 v26, vcc_lo, s11, v26, vcc_lo
	global_load_b64 v[25:26], v[25:26], off
	s_waitcnt vmcnt(0)
	v_mul_f64 v[25:26], v[21:22], v[25:26]
	s_delay_alu instid0(VALU_DEP_1) | instskip(NEXT) | instid1(VALU_DEP_1)
	v_div_scale_f64 v[35:36], null, v[25:26], v[25:26], 1.0
	v_rcp_f64_e32 v[37:38], v[35:36]
	s_waitcnt_depctr 0xfff
	v_fma_f64 v[39:40], -v[35:36], v[37:38], 1.0
	s_delay_alu instid0(VALU_DEP_1) | instskip(NEXT) | instid1(VALU_DEP_1)
	v_fma_f64 v[37:38], v[37:38], v[39:40], v[37:38]
	v_fma_f64 v[39:40], -v[35:36], v[37:38], 1.0
	s_delay_alu instid0(VALU_DEP_1) | instskip(SKIP_1) | instid1(VALU_DEP_1)
	v_fma_f64 v[37:38], v[37:38], v[39:40], v[37:38]
	v_div_scale_f64 v[39:40], vcc_lo, 1.0, v[25:26], 1.0
	v_mul_f64 v[41:42], v[39:40], v[37:38]
	s_delay_alu instid0(VALU_DEP_1) | instskip(NEXT) | instid1(VALU_DEP_1)
	v_fma_f64 v[35:36], -v[35:36], v[41:42], v[39:40]
	v_div_fmas_f64 v[35:36], v[35:36], v[37:38], v[41:42]
	s_delay_alu instid0(VALU_DEP_1) | instskip(NEXT) | instid1(VALU_DEP_1)
	v_div_fixup_f64 v[25:26], v[35:36], v[25:26], 1.0
	v_mul_f64 v[25:26], v[31:32], v[25:26]
	v_mad_u64_u32 v[31:32], null, 0x7b, s2, v[1:2]
	v_mov_b32_e32 v32, v2
	s_delay_alu instid0(VALU_DEP_1) | instskip(NEXT) | instid1(VALU_DEP_1)
	v_lshlrev_b64 v[0:1], 3, v[31:32]
	v_add_co_u32 v35, vcc_lo, s6, v0
	s_delay_alu instid0(VALU_DEP_2)
	v_add_co_ci_u32_e32 v36, vcc_lo, s7, v1, vcc_lo
	v_add_co_u32 v0, vcc_lo, s8, v0
	v_add_co_ci_u32_e32 v1, vcc_lo, s9, v1, vcc_lo
	global_load_b64 v[35:36], v[35:36], off
	v_min_f64 v[25:26], v[25:26], s[0:1]
	s_waitcnt vmcnt(0)
	s_delay_alu instid0(VALU_DEP_1) | instskip(SKIP_3) | instid1(VALU_DEP_2)
	v_mul_f64 v[25:26], v[35:36], v[25:26]
	global_store_b64 v[0:1], v[25:26], off
	v_div_scale_f64 v[25:26], null, v[19:20], v[19:20], 1.0
	v_mul_f64 v[0:1], v[23:24], v[33:34]
	v_rcp_f64_e32 v[35:36], v[25:26]
	s_waitcnt_depctr 0xfff
	v_fma_f64 v[37:38], -v[25:26], v[35:36], 1.0
	s_delay_alu instid0(VALU_DEP_1) | instskip(NEXT) | instid1(VALU_DEP_1)
	v_fma_f64 v[35:36], v[35:36], v[37:38], v[35:36]
	v_fma_f64 v[37:38], -v[25:26], v[35:36], 1.0
	s_delay_alu instid0(VALU_DEP_1) | instskip(SKIP_1) | instid1(VALU_DEP_1)
	v_fma_f64 v[35:36], v[35:36], v[37:38], v[35:36]
	v_div_scale_f64 v[37:38], vcc_lo, 1.0, v[19:20], 1.0
	v_mul_f64 v[39:40], v[37:38], v[35:36]
	s_delay_alu instid0(VALU_DEP_1) | instskip(NEXT) | instid1(VALU_DEP_1)
	v_fma_f64 v[25:26], -v[25:26], v[39:40], v[37:38]
	v_div_fmas_f64 v[25:26], v[25:26], v[35:36], v[39:40]
	s_delay_alu instid0(VALU_DEP_1) | instskip(NEXT) | instid1(VALU_DEP_1)
	v_div_fixup_f64 v[19:20], v[25:26], v[19:20], 1.0
	v_mul_f64 v[19:20], v[19:20], v[0:1]
	v_add_nc_u32_e32 v1, s2, v31
	s_delay_alu instid0(VALU_DEP_1) | instskip(SKIP_1) | instid1(VALU_DEP_2)
	v_lshlrev_b64 v[25:26], 3, v[1:2]
	v_add_nc_u32_e32 v1, s12, v1
	v_add_co_u32 v31, vcc_lo, s6, v25
	s_delay_alu instid0(VALU_DEP_3)
	v_add_co_ci_u32_e32 v32, vcc_lo, s7, v26, vcc_lo
	v_add_co_u32 v25, vcc_lo, s8, v25
	v_add_co_ci_u32_e32 v26, vcc_lo, s9, v26, vcc_lo
	global_load_b64 v[31:32], v[31:32], off
	v_min_f64 v[19:20], v[19:20], s[0:1]
	s_waitcnt vmcnt(0)
	s_delay_alu instid0(VALU_DEP_1) | instskip(SKIP_3) | instid1(VALU_DEP_1)
	v_mul_f64 v[19:20], v[19:20], v[31:32]
	global_store_b64 v[25:26], v[19:20], off
	v_mul_f64 v[25:26], v[27:28], v[33:34]
	v_lshlrev_b64 v[19:20], 3, v[1:2]
	v_add_co_u32 v19, vcc_lo, s10, v19
	s_delay_alu instid0(VALU_DEP_2) | instskip(SKIP_2) | instid1(VALU_DEP_1)
	v_add_co_ci_u32_e32 v20, vcc_lo, s11, v20, vcc_lo
	global_load_b64 v[19:20], v[19:20], off
	v_div_scale_f64 v[31:32], null, v[25:26], v[25:26], 1.0
	v_rcp_f64_e32 v[33:34], v[31:32]
	s_waitcnt_depctr 0xfff
	v_fma_f64 v[35:36], -v[31:32], v[33:34], 1.0
	s_delay_alu instid0(VALU_DEP_1) | instskip(NEXT) | instid1(VALU_DEP_1)
	v_fma_f64 v[33:34], v[33:34], v[35:36], v[33:34]
	v_fma_f64 v[35:36], -v[31:32], v[33:34], 1.0
	s_delay_alu instid0(VALU_DEP_1) | instskip(SKIP_1) | instid1(VALU_DEP_1)
	v_fma_f64 v[33:34], v[33:34], v[35:36], v[33:34]
	v_div_scale_f64 v[35:36], vcc_lo, 1.0, v[25:26], 1.0
	v_mul_f64 v[37:38], v[35:36], v[33:34]
	s_delay_alu instid0(VALU_DEP_1) | instskip(SKIP_2) | instid1(VALU_DEP_2)
	v_fma_f64 v[31:32], -v[31:32], v[37:38], v[35:36]
	s_waitcnt vmcnt(0)
	v_mul_f64 v[19:20], v[23:24], v[19:20]
	v_div_fmas_f64 v[31:32], v[31:32], v[33:34], v[37:38]
	s_delay_alu instid0(VALU_DEP_1) | instskip(NEXT) | instid1(VALU_DEP_1)
	v_div_fixup_f64 v[25:26], v[31:32], v[25:26], 1.0
	v_mul_f64 v[19:20], v[25:26], v[19:20]
	v_mad_u64_u32 v[25:26], null, 0x86, s2, v[1:2]
	v_mov_b32_e32 v26, v2
	s_delay_alu instid0(VALU_DEP_1) | instskip(NEXT) | instid1(VALU_DEP_1)
	v_lshlrev_b64 v[0:1], 3, v[25:26]
	v_add_co_u32 v31, vcc_lo, s6, v0
	s_delay_alu instid0(VALU_DEP_2)
	v_add_co_ci_u32_e32 v32, vcc_lo, s7, v1, vcc_lo
	v_add_co_u32 v0, vcc_lo, s8, v0
	v_add_co_ci_u32_e32 v1, vcc_lo, s9, v1, vcc_lo
	global_load_b64 v[31:32], v[31:32], off
	v_min_f64 v[19:20], v[19:20], s[0:1]
	s_waitcnt vmcnt(0)
	s_delay_alu instid0(VALU_DEP_1) | instskip(SKIP_3) | instid1(VALU_DEP_2)
	v_mul_f64 v[19:20], v[31:32], v[19:20]
	global_store_b64 v[0:1], v[19:20], off
	v_div_scale_f64 v[19:20], null, v[17:18], v[17:18], 1.0
	v_mul_f64 v[0:1], v[23:24], v[21:22]
	v_rcp_f64_e32 v[26:27], v[19:20]
	s_waitcnt_depctr 0xfff
	v_fma_f64 v[31:32], -v[19:20], v[26:27], 1.0
	s_delay_alu instid0(VALU_DEP_1) | instskip(NEXT) | instid1(VALU_DEP_1)
	v_fma_f64 v[26:27], v[26:27], v[31:32], v[26:27]
	v_fma_f64 v[31:32], -v[19:20], v[26:27], 1.0
	s_delay_alu instid0(VALU_DEP_1) | instskip(SKIP_1) | instid1(VALU_DEP_1)
	v_fma_f64 v[26:27], v[26:27], v[31:32], v[26:27]
	v_div_scale_f64 v[31:32], vcc_lo, 1.0, v[17:18], 1.0
	v_mul_f64 v[33:34], v[31:32], v[26:27]
	s_delay_alu instid0(VALU_DEP_1) | instskip(NEXT) | instid1(VALU_DEP_1)
	v_fma_f64 v[19:20], -v[19:20], v[33:34], v[31:32]
	v_div_fmas_f64 v[19:20], v[19:20], v[26:27], v[33:34]
	s_delay_alu instid0(VALU_DEP_1) | instskip(NEXT) | instid1(VALU_DEP_1)
	v_div_fixup_f64 v[17:18], v[19:20], v[17:18], 1.0
	v_mul_f64 v[17:18], v[17:18], v[0:1]
	v_add_nc_u32_e32 v1, s2, v25
	s_delay_alu instid0(VALU_DEP_1) | instskip(NEXT) | instid1(VALU_DEP_1)
	v_lshlrev_b64 v[19:20], 3, v[1:2]
	v_add_co_u32 v25, vcc_lo, s6, v19
	s_delay_alu instid0(VALU_DEP_2)
	v_add_co_ci_u32_e32 v26, vcc_lo, s7, v20, vcc_lo
	v_add_co_u32 v19, vcc_lo, s8, v19
	v_add_co_ci_u32_e32 v20, vcc_lo, s9, v20, vcc_lo
	global_load_b64 v[25:26], v[25:26], off
	v_min_f64 v[17:18], v[17:18], s[0:1]
	s_waitcnt vmcnt(0)
	s_delay_alu instid0(VALU_DEP_1) | instskip(SKIP_4) | instid1(VALU_DEP_2)
	v_mul_f64 v[17:18], v[17:18], v[25:26]
	global_store_b64 v[19:20], v[17:18], off
	v_mad_u64_u32 v[19:20], null, 0xffffff7e, s2, v[1:2]
	v_mov_b32_e32 v20, v2
	v_mul_f64 v[17:18], v[13:14], v[23:24]
	v_lshlrev_b64 v[0:1], 3, v[19:20]
	s_delay_alu instid0(VALU_DEP_1) | instskip(NEXT) | instid1(VALU_DEP_2)
	v_add_co_u32 v0, vcc_lo, s10, v0
	v_add_co_ci_u32_e32 v1, vcc_lo, s11, v1, vcc_lo
	global_load_b64 v[0:1], v[0:1], off
	s_waitcnt vmcnt(0)
	v_mul_f64 v[0:1], v[29:30], v[0:1]
	s_delay_alu instid0(VALU_DEP_1) | instskip(NEXT) | instid1(VALU_DEP_1)
	v_div_scale_f64 v[23:24], null, v[0:1], v[0:1], 1.0
	v_rcp_f64_e32 v[25:26], v[23:24]
	s_waitcnt_depctr 0xfff
	v_fma_f64 v[27:28], -v[23:24], v[25:26], 1.0
	s_delay_alu instid0(VALU_DEP_1) | instskip(NEXT) | instid1(VALU_DEP_1)
	v_fma_f64 v[25:26], v[25:26], v[27:28], v[25:26]
	v_fma_f64 v[27:28], -v[23:24], v[25:26], 1.0
	s_delay_alu instid0(VALU_DEP_1) | instskip(SKIP_1) | instid1(VALU_DEP_1)
	v_fma_f64 v[25:26], v[25:26], v[27:28], v[25:26]
	v_div_scale_f64 v[27:28], vcc_lo, 1.0, v[0:1], 1.0
	v_mul_f64 v[29:30], v[27:28], v[25:26]
	s_delay_alu instid0(VALU_DEP_1) | instskip(NEXT) | instid1(VALU_DEP_1)
	v_fma_f64 v[23:24], -v[23:24], v[29:30], v[27:28]
	v_div_fmas_f64 v[23:24], v[23:24], v[25:26], v[29:30]
	s_delay_alu instid0(VALU_DEP_1) | instskip(NEXT) | instid1(VALU_DEP_1)
	v_div_fixup_f64 v[0:1], v[23:24], v[0:1], 1.0
	v_mul_f64 v[23:24], v[17:18], v[0:1]
	v_add_nc_u32_e32 v1, s5, v19
	s_delay_alu instid0(VALU_DEP_1) | instskip(NEXT) | instid1(VALU_DEP_1)
	v_lshlrev_b64 v[19:20], 3, v[1:2]
	v_add_co_u32 v25, vcc_lo, s6, v19
	s_delay_alu instid0(VALU_DEP_2)
	v_add_co_ci_u32_e32 v26, vcc_lo, s7, v20, vcc_lo
	v_add_co_u32 v19, vcc_lo, s8, v19
	v_add_co_ci_u32_e32 v20, vcc_lo, s9, v20, vcc_lo
	global_load_b64 v[25:26], v[25:26], off
	v_min_f64 v[23:24], v[23:24], s[0:1]
	s_waitcnt vmcnt(0)
	s_delay_alu instid0(VALU_DEP_1) | instskip(SKIP_4) | instid1(VALU_DEP_2)
	v_mul_f64 v[23:24], v[25:26], v[23:24]
	global_store_b64 v[19:20], v[23:24], off
	v_mad_u64_u32 v[23:24], null, 0xffffff8e, s2, v[1:2]
	v_mov_b32_e32 v24, v2
	v_mul_f64 v[19:20], v[5:6], v[17:18]
	v_lshlrev_b64 v[0:1], 3, v[23:24]
	s_delay_alu instid0(VALU_DEP_1) | instskip(NEXT) | instid1(VALU_DEP_2)
	v_add_co_u32 v0, vcc_lo, s10, v0
	v_add_co_ci_u32_e32 v1, vcc_lo, s11, v1, vcc_lo
	global_load_b64 v[0:1], v[0:1], off
	s_waitcnt vmcnt(0)
	v_div_scale_f64 v[24:25], null, v[0:1], v[0:1], 1.0
	s_delay_alu instid0(VALU_DEP_1) | instskip(SKIP_2) | instid1(VALU_DEP_1)
	v_rcp_f64_e32 v[26:27], v[24:25]
	s_waitcnt_depctr 0xfff
	v_fma_f64 v[28:29], -v[24:25], v[26:27], 1.0
	v_fma_f64 v[26:27], v[26:27], v[28:29], v[26:27]
	s_delay_alu instid0(VALU_DEP_1) | instskip(NEXT) | instid1(VALU_DEP_1)
	v_fma_f64 v[28:29], -v[24:25], v[26:27], 1.0
	v_fma_f64 v[26:27], v[26:27], v[28:29], v[26:27]
	v_div_scale_f64 v[28:29], vcc_lo, 1.0, v[0:1], 1.0
	s_delay_alu instid0(VALU_DEP_1) | instskip(NEXT) | instid1(VALU_DEP_1)
	v_mul_f64 v[30:31], v[28:29], v[26:27]
	v_fma_f64 v[24:25], -v[24:25], v[30:31], v[28:29]
	s_delay_alu instid0(VALU_DEP_1) | instskip(NEXT) | instid1(VALU_DEP_1)
	v_div_fmas_f64 v[24:25], v[24:25], v[26:27], v[30:31]
	v_div_fixup_f64 v[0:1], v[24:25], v[0:1], 1.0
	s_delay_alu instid0(VALU_DEP_1) | instskip(SKIP_1) | instid1(VALU_DEP_1)
	v_mul_f64 v[19:20], v[19:20], v[0:1]
	v_add_nc_u32_e32 v1, s4, v23
	v_lshlrev_b64 v[23:24], 3, v[1:2]
	s_delay_alu instid0(VALU_DEP_1) | instskip(NEXT) | instid1(VALU_DEP_2)
	v_add_co_u32 v25, vcc_lo, s6, v23
	v_add_co_ci_u32_e32 v26, vcc_lo, s7, v24, vcc_lo
	v_add_co_u32 v23, vcc_lo, s8, v23
	v_add_co_ci_u32_e32 v24, vcc_lo, s9, v24, vcc_lo
	global_load_b64 v[25:26], v[25:26], off
	v_min_f64 v[19:20], v[19:20], s[0:1]
	s_waitcnt vmcnt(0)
	s_delay_alu instid0(VALU_DEP_1) | instskip(SKIP_3) | instid1(VALU_DEP_1)
	v_mul_f64 v[19:20], v[25:26], v[19:20]
	global_store_b64 v[23:24], v[19:20], off
	v_mad_u64_u32 v[19:20], null, 0xffffff8c, s2, v[1:2]
	v_mov_b32_e32 v20, v2
	v_lshlrev_b64 v[0:1], 3, v[19:20]
	s_delay_alu instid0(VALU_DEP_1) | instskip(NEXT) | instid1(VALU_DEP_2)
	v_add_co_u32 v0, vcc_lo, s10, v0
	v_add_co_ci_u32_e32 v1, vcc_lo, s11, v1, vcc_lo
	global_load_b64 v[0:1], v[0:1], off
	s_waitcnt vmcnt(0)
	v_mul_f64 v[0:1], v[9:10], v[0:1]
	v_mul_f64 v[9:10], v[9:10], v[11:12]
	s_delay_alu instid0(VALU_DEP_2) | instskip(NEXT) | instid1(VALU_DEP_1)
	v_div_scale_f64 v[23:24], null, v[0:1], v[0:1], 1.0
	v_rcp_f64_e32 v[25:26], v[23:24]
	s_waitcnt_depctr 0xfff
	v_fma_f64 v[27:28], -v[23:24], v[25:26], 1.0
	s_delay_alu instid0(VALU_DEP_1) | instskip(NEXT) | instid1(VALU_DEP_1)
	v_fma_f64 v[25:26], v[25:26], v[27:28], v[25:26]
	v_fma_f64 v[27:28], -v[23:24], v[25:26], 1.0
	s_delay_alu instid0(VALU_DEP_1) | instskip(SKIP_1) | instid1(VALU_DEP_1)
	v_fma_f64 v[25:26], v[25:26], v[27:28], v[25:26]
	v_div_scale_f64 v[27:28], vcc_lo, 1.0, v[0:1], 1.0
	v_mul_f64 v[29:30], v[27:28], v[25:26]
	s_delay_alu instid0(VALU_DEP_1) | instskip(NEXT) | instid1(VALU_DEP_1)
	v_fma_f64 v[23:24], -v[23:24], v[29:30], v[27:28]
	v_div_fmas_f64 v[23:24], v[23:24], v[25:26], v[29:30]
	s_delay_alu instid0(VALU_DEP_1) | instskip(NEXT) | instid1(VALU_DEP_1)
	v_div_fixup_f64 v[0:1], v[23:24], v[0:1], 1.0
	v_mul_f64 v[0:1], v[17:18], v[0:1]
	v_mad_u64_u32 v[17:18], null, 0x75, s2, v[19:20]
	v_mov_b32_e32 v18, v2
	s_delay_alu instid0(VALU_DEP_1) | instskip(NEXT) | instid1(VALU_DEP_1)
	v_lshlrev_b64 v[18:19], 3, v[17:18]
	v_add_co_u32 v23, vcc_lo, s6, v18
	s_delay_alu instid0(VALU_DEP_2)
	v_add_co_ci_u32_e32 v24, vcc_lo, s7, v19, vcc_lo
	v_add_co_u32 v18, vcc_lo, s8, v18
	v_add_co_ci_u32_e32 v19, vcc_lo, s9, v19, vcc_lo
	global_load_b64 v[23:24], v[23:24], off
	v_min_f64 v[0:1], v[0:1], s[0:1]
	s_waitcnt vmcnt(0)
	s_delay_alu instid0(VALU_DEP_1) | instskip(SKIP_3) | instid1(VALU_DEP_2)
	v_mul_f64 v[0:1], v[23:24], v[0:1]
	global_store_b64 v[18:19], v[0:1], off
	v_mul_f64 v[0:1], v[5:6], v[15:16]
	v_mul_f64 v[5:6], v[9:10], v[5:6]
	v_div_scale_f64 v[15:16], null, v[0:1], v[0:1], 1.0
	s_delay_alu instid0(VALU_DEP_1) | instskip(SKIP_2) | instid1(VALU_DEP_1)
	v_rcp_f64_e32 v[18:19], v[15:16]
	s_waitcnt_depctr 0xfff
	v_fma_f64 v[23:24], -v[15:16], v[18:19], 1.0
	v_fma_f64 v[18:19], v[18:19], v[23:24], v[18:19]
	s_delay_alu instid0(VALU_DEP_1) | instskip(NEXT) | instid1(VALU_DEP_1)
	v_fma_f64 v[23:24], -v[15:16], v[18:19], 1.0
	v_fma_f64 v[18:19], v[18:19], v[23:24], v[18:19]
	v_div_scale_f64 v[23:24], vcc_lo, 1.0, v[0:1], 1.0
	s_delay_alu instid0(VALU_DEP_1) | instskip(NEXT) | instid1(VALU_DEP_1)
	v_mul_f64 v[25:26], v[23:24], v[18:19]
	v_fma_f64 v[15:16], -v[15:16], v[25:26], v[23:24]
	s_delay_alu instid0(VALU_DEP_1) | instskip(NEXT) | instid1(VALU_DEP_1)
	v_div_fmas_f64 v[15:16], v[15:16], v[18:19], v[25:26]
	v_div_fixup_f64 v[0:1], v[15:16], v[0:1], 1.0
	s_delay_alu instid0(VALU_DEP_1) | instskip(SKIP_1) | instid1(VALU_DEP_1)
	v_mul_f64 v[15:16], v[11:12], v[0:1]
	v_add_nc_u32_e32 v1, s2, v17
	v_lshlrev_b64 v[17:18], 3, v[1:2]
	v_add_nc_u32_e32 v1, s3, v1
	s_delay_alu instid0(VALU_DEP_2) | instskip(NEXT) | instid1(VALU_DEP_3)
	v_add_co_u32 v19, vcc_lo, s6, v17
	v_add_co_ci_u32_e32 v20, vcc_lo, s7, v18, vcc_lo
	s_delay_alu instid0(VALU_DEP_3)
	v_lshlrev_b64 v[11:12], 3, v[1:2]
	v_add_co_u32 v17, vcc_lo, s8, v17
	global_load_b64 v[19:20], v[19:20], off
	v_add_co_ci_u32_e32 v18, vcc_lo, s9, v18, vcc_lo
	v_add_co_u32 v11, vcc_lo, s10, v11
	v_add_co_ci_u32_e32 v12, vcc_lo, s11, v12, vcc_lo
	global_load_b64 v[11:12], v[11:12], off
	v_min_f64 v[15:16], v[15:16], s[0:1]
	s_waitcnt vmcnt(1)
	s_delay_alu instid0(VALU_DEP_1) | instskip(SKIP_3) | instid1(VALU_DEP_1)
	v_mul_f64 v[15:16], v[15:16], v[19:20]
	global_store_b64 v[17:18], v[15:16], off
	s_waitcnt vmcnt(0)
	v_div_scale_f64 v[15:16], null, v[11:12], v[11:12], 1.0
	v_rcp_f64_e32 v[17:18], v[15:16]
	s_waitcnt_depctr 0xfff
	v_fma_f64 v[19:20], -v[15:16], v[17:18], 1.0
	s_delay_alu instid0(VALU_DEP_1) | instskip(NEXT) | instid1(VALU_DEP_1)
	v_fma_f64 v[17:18], v[17:18], v[19:20], v[17:18]
	v_fma_f64 v[19:20], -v[15:16], v[17:18], 1.0
	s_delay_alu instid0(VALU_DEP_1) | instskip(SKIP_1) | instid1(VALU_DEP_1)
	v_fma_f64 v[17:18], v[17:18], v[19:20], v[17:18]
	v_div_scale_f64 v[19:20], vcc_lo, 1.0, v[11:12], 1.0
	v_mul_f64 v[23:24], v[19:20], v[17:18]
	s_delay_alu instid0(VALU_DEP_1) | instskip(NEXT) | instid1(VALU_DEP_1)
	v_fma_f64 v[15:16], -v[15:16], v[23:24], v[19:20]
	v_div_fmas_f64 v[15:16], v[15:16], v[17:18], v[23:24]
	s_delay_alu instid0(VALU_DEP_1) | instskip(NEXT) | instid1(VALU_DEP_1)
	v_div_fixup_f64 v[11:12], v[15:16], v[11:12], 1.0
	v_mul_f64 v[5:6], v[5:6], v[11:12]
	v_mad_u64_u32 v[11:12], null, 0x78, s2, v[1:2]
	v_mov_b32_e32 v12, v2
	s_delay_alu instid0(VALU_DEP_1) | instskip(NEXT) | instid1(VALU_DEP_1)
	v_lshlrev_b64 v[0:1], 3, v[11:12]
	v_add_co_u32 v15, vcc_lo, s6, v0
	s_delay_alu instid0(VALU_DEP_2)
	v_add_co_ci_u32_e32 v16, vcc_lo, s7, v1, vcc_lo
	v_add_co_u32 v0, vcc_lo, s8, v0
	v_add_co_ci_u32_e32 v1, vcc_lo, s9, v1, vcc_lo
	global_load_b64 v[15:16], v[15:16], off
	v_min_f64 v[5:6], v[5:6], s[0:1]
	s_waitcnt vmcnt(0)
	s_delay_alu instid0(VALU_DEP_1) | instskip(SKIP_2) | instid1(VALU_DEP_1)
	v_mul_f64 v[5:6], v[15:16], v[5:6]
	global_store_b64 v[0:1], v[5:6], off
	v_mul_f64 v[0:1], v[13:14], v[21:22]
	v_div_scale_f64 v[5:6], null, v[0:1], v[0:1], 1.0
	s_delay_alu instid0(VALU_DEP_1) | instskip(SKIP_2) | instid1(VALU_DEP_1)
	v_rcp_f64_e32 v[12:13], v[5:6]
	s_waitcnt_depctr 0xfff
	v_fma_f64 v[14:15], -v[5:6], v[12:13], 1.0
	v_fma_f64 v[12:13], v[12:13], v[14:15], v[12:13]
	s_delay_alu instid0(VALU_DEP_1) | instskip(NEXT) | instid1(VALU_DEP_1)
	v_fma_f64 v[14:15], -v[5:6], v[12:13], 1.0
	v_fma_f64 v[12:13], v[12:13], v[14:15], v[12:13]
	v_div_scale_f64 v[14:15], vcc_lo, 1.0, v[0:1], 1.0
	s_delay_alu instid0(VALU_DEP_1) | instskip(NEXT) | instid1(VALU_DEP_1)
	v_mul_f64 v[16:17], v[14:15], v[12:13]
	v_fma_f64 v[5:6], -v[5:6], v[16:17], v[14:15]
	s_delay_alu instid0(VALU_DEP_1) | instskip(NEXT) | instid1(VALU_DEP_1)
	v_div_fmas_f64 v[5:6], v[5:6], v[12:13], v[16:17]
	v_div_fixup_f64 v[0:1], v[5:6], v[0:1], 1.0
	s_delay_alu instid0(VALU_DEP_1) | instskip(SKIP_1) | instid1(VALU_DEP_1)
	v_mul_f64 v[5:6], v[9:10], v[0:1]
	v_add_nc_u32_e32 v1, s2, v11
	v_lshlrev_b64 v[11:12], 3, v[1:2]
	v_add_nc_u32_e32 v1, s2, v1
	s_delay_alu instid0(VALU_DEP_2) | instskip(NEXT) | instid1(VALU_DEP_3)
	v_add_co_u32 v13, vcc_lo, s6, v11
	v_add_co_ci_u32_e32 v14, vcc_lo, s7, v12, vcc_lo
	v_add_co_u32 v11, vcc_lo, s8, v11
	v_add_co_ci_u32_e32 v12, vcc_lo, s9, v12, vcc_lo
	global_load_b64 v[13:14], v[13:14], off
	v_lshlrev_b64 v[0:1], 3, v[1:2]
	v_min_f64 v[5:6], v[5:6], s[0:1]
	s_waitcnt vmcnt(0)
	s_delay_alu instid0(VALU_DEP_1) | instskip(SKIP_2) | instid1(VALU_DEP_1)
	v_mul_f64 v[5:6], v[5:6], v[13:14]
	global_store_b64 v[11:12], v[5:6], off
	v_div_scale_f64 v[5:6], null, v[3:4], v[3:4], 1.0
	v_rcp_f64_e32 v[7:8], v[5:6]
	s_waitcnt_depctr 0xfff
	v_fma_f64 v[11:12], -v[5:6], v[7:8], 1.0
	s_delay_alu instid0(VALU_DEP_1) | instskip(NEXT) | instid1(VALU_DEP_1)
	v_fma_f64 v[7:8], v[7:8], v[11:12], v[7:8]
	v_fma_f64 v[11:12], -v[5:6], v[7:8], 1.0
	s_delay_alu instid0(VALU_DEP_1) | instskip(SKIP_1) | instid1(VALU_DEP_1)
	v_fma_f64 v[7:8], v[7:8], v[11:12], v[7:8]
	v_div_scale_f64 v[11:12], vcc_lo, 1.0, v[3:4], 1.0
	v_mul_f64 v[13:14], v[11:12], v[7:8]
	s_delay_alu instid0(VALU_DEP_1) | instskip(NEXT) | instid1(VALU_DEP_1)
	v_fma_f64 v[5:6], -v[5:6], v[13:14], v[11:12]
	v_div_fmas_f64 v[5:6], v[5:6], v[7:8], v[13:14]
	s_delay_alu instid0(VALU_DEP_1)
	v_div_fixup_f64 v[3:4], v[5:6], v[3:4], 1.0
	v_add_co_u32 v5, vcc_lo, s6, v0
	v_add_co_ci_u32_e32 v6, vcc_lo, s7, v1, vcc_lo
	v_add_co_u32 v0, vcc_lo, s8, v0
	v_add_co_ci_u32_e32 v1, vcc_lo, s9, v1, vcc_lo
	global_load_b64 v[5:6], v[5:6], off
	v_mul_f64 v[3:4], v[9:10], v[3:4]
	s_delay_alu instid0(VALU_DEP_1) | instskip(SKIP_1) | instid1(VALU_DEP_1)
	v_min_f64 v[2:3], v[3:4], s[0:1]
	s_waitcnt vmcnt(0)
	v_mul_f64 v[2:3], v[2:3], v[5:6]
	global_store_b64 v[0:1], v[2:3], off
	s_nop 0
	s_sendmsg sendmsg(MSG_DEALLOC_VGPRS)
	s_endpgm
	.section	.rodata,"a",@progbits
	.p2align	6, 0x0
	.amdhsa_kernel _Z12ratt7_kernelIdEvPKT_S2_PS0_S2_S0_
		.amdhsa_group_segment_fixed_size 0
		.amdhsa_private_segment_fixed_size 0
		.amdhsa_kernarg_size 296
		.amdhsa_user_sgpr_count 15
		.amdhsa_user_sgpr_dispatch_ptr 0
		.amdhsa_user_sgpr_queue_ptr 0
		.amdhsa_user_sgpr_kernarg_segment_ptr 1
		.amdhsa_user_sgpr_dispatch_id 0
		.amdhsa_user_sgpr_private_segment_size 0
		.amdhsa_wavefront_size32 1
		.amdhsa_uses_dynamic_stack 0
		.amdhsa_enable_private_segment 0
		.amdhsa_system_sgpr_workgroup_id_x 1
		.amdhsa_system_sgpr_workgroup_id_y 0
		.amdhsa_system_sgpr_workgroup_id_z 0
		.amdhsa_system_sgpr_workgroup_info 0
		.amdhsa_system_vgpr_workitem_id 0
		.amdhsa_next_free_vgpr 47
		.amdhsa_next_free_sgpr 16
		.amdhsa_reserve_vcc 1
		.amdhsa_float_round_mode_32 0
		.amdhsa_float_round_mode_16_64 0
		.amdhsa_float_denorm_mode_32 3
		.amdhsa_float_denorm_mode_16_64 3
		.amdhsa_dx10_clamp 1
		.amdhsa_ieee_mode 1
		.amdhsa_fp16_overflow 0
		.amdhsa_workgroup_processor_mode 1
		.amdhsa_memory_ordered 1
		.amdhsa_forward_progress 0
		.amdhsa_shared_vgpr_count 0
		.amdhsa_exception_fp_ieee_invalid_op 0
		.amdhsa_exception_fp_denorm_src 0
		.amdhsa_exception_fp_ieee_div_zero 0
		.amdhsa_exception_fp_ieee_overflow 0
		.amdhsa_exception_fp_ieee_underflow 0
		.amdhsa_exception_fp_ieee_inexact 0
		.amdhsa_exception_int_div_zero 0
	.end_amdhsa_kernel
	.section	.text._Z12ratt7_kernelIdEvPKT_S2_PS0_S2_S0_,"axG",@progbits,_Z12ratt7_kernelIdEvPKT_S2_PS0_S2_S0_,comdat
.Lfunc_end35:
	.size	_Z12ratt7_kernelIdEvPKT_S2_PS0_S2_S0_, .Lfunc_end35-_Z12ratt7_kernelIdEvPKT_S2_PS0_S2_S0_
                                        ; -- End function
	.section	.AMDGPU.csdata,"",@progbits
; Kernel info:
; codeLenInByte = 6664
; NumSgprs: 18
; NumVgprs: 47
; ScratchSize: 0
; MemoryBound: 0
; FloatMode: 240
; IeeeMode: 1
; LDSByteSize: 0 bytes/workgroup (compile time only)
; SGPRBlocks: 2
; VGPRBlocks: 5
; NumSGPRsForWavesPerEU: 18
; NumVGPRsForWavesPerEU: 47
; Occupancy: 16
; WaveLimiterHint : 0
; COMPUTE_PGM_RSRC2:SCRATCH_EN: 0
; COMPUTE_PGM_RSRC2:USER_SGPR: 15
; COMPUTE_PGM_RSRC2:TRAP_HANDLER: 0
; COMPUTE_PGM_RSRC2:TGID_X_EN: 1
; COMPUTE_PGM_RSRC2:TGID_Y_EN: 0
; COMPUTE_PGM_RSRC2:TGID_Z_EN: 0
; COMPUTE_PGM_RSRC2:TIDIG_COMP_CNT: 0
	.section	.text._Z12ratt8_kernelIdEvPKT_S2_PS0_S2_S0_,"axG",@progbits,_Z12ratt8_kernelIdEvPKT_S2_PS0_S2_S0_,comdat
	.protected	_Z12ratt8_kernelIdEvPKT_S2_PS0_S2_S0_ ; -- Begin function _Z12ratt8_kernelIdEvPKT_S2_PS0_S2_S0_
	.globl	_Z12ratt8_kernelIdEvPKT_S2_PS0_S2_S0_
	.p2align	8
	.type	_Z12ratt8_kernelIdEvPKT_S2_PS0_S2_S0_,@function
_Z12ratt8_kernelIdEvPKT_S2_PS0_S2_S0_:  ; @_Z12ratt8_kernelIdEvPKT_S2_PS0_S2_S0_
; %bb.0:
	s_clause 0x3
	s_load_b256 s[4:11], s[0:1], 0x0
	s_load_b64 s[2:3], s[0:1], 0x20
	s_load_b32 s12, s[0:1], 0x28
	s_load_b32 s0, s[0:1], 0x34
	s_waitcnt lgkmcnt(0)
	s_and_b32 s13, s0, 0xffff
	s_brev_b32 s0, 12
	v_mad_u64_u32 v[1:2], null, s15, s13, v[0:1]
	v_mov_b32_e32 v2, 0
	s_mov_b32 s1, 0x4193d2c6
	s_delay_alu instid0(VALU_DEP_1) | instskip(NEXT) | instid1(VALU_DEP_1)
	v_lshlrev_b64 v[13:14], 3, v[1:2]
	v_add_co_u32 v3, vcc_lo, s4, v13
	s_delay_alu instid0(VALU_DEP_2) | instskip(SKIP_4) | instid1(SALU_CYCLE_1)
	v_add_co_ci_u32_e32 v4, vcc_lo, s5, v14, vcc_lo
	global_load_b64 v[3:4], v[3:4], off
	s_waitcnt vmcnt(0)
	v_mul_f64 v[3:4], v[3:4], s[2:3]
	s_mul_i32 s2, s12, s13
	s_lshl_b32 s5, s2, 1
	s_mul_i32 s13, s2, 21
	s_mul_i32 s3, s2, 0xffffff6f
	;; [unrolled: 1-line block ×5, first 2 shown]
	s_delay_alu instid0(VALU_DEP_1) | instskip(SKIP_2) | instid1(VALU_DEP_1)
	v_mul_f64 v[3:4], v[3:4], s[0:1]
	s_mov_b32 s0, 0x4357691b
	s_mov_b32 s1, 0x479e17b8
	v_div_scale_f64 v[5:6], null, v[3:4], v[3:4], 1.0
	s_delay_alu instid0(VALU_DEP_1) | instskip(SKIP_2) | instid1(VALU_DEP_1)
	v_rcp_f64_e32 v[7:8], v[5:6]
	s_waitcnt_depctr 0xfff
	v_fma_f64 v[9:10], -v[5:6], v[7:8], 1.0
	v_fma_f64 v[7:8], v[7:8], v[9:10], v[7:8]
	s_delay_alu instid0(VALU_DEP_1) | instskip(NEXT) | instid1(VALU_DEP_1)
	v_fma_f64 v[9:10], -v[5:6], v[7:8], 1.0
	v_fma_f64 v[7:8], v[7:8], v[9:10], v[7:8]
	v_div_scale_f64 v[9:10], vcc_lo, 1.0, v[3:4], 1.0
	s_delay_alu instid0(VALU_DEP_1) | instskip(NEXT) | instid1(VALU_DEP_1)
	v_mul_f64 v[11:12], v[9:10], v[7:8]
	v_fma_f64 v[5:6], -v[5:6], v[11:12], v[9:10]
	s_delay_alu instid0(VALU_DEP_1) | instskip(NEXT) | instid1(VALU_DEP_1)
	v_div_fmas_f64 v[5:6], v[5:6], v[7:8], v[11:12]
	v_div_fixup_f64 v[3:4], v[5:6], v[3:4], 1.0
	v_dual_mov_b32 v6, v2 :: v_dual_add_nc_u32 v5, s5, v1
	v_add_nc_u32_e32 v1, s2, v1
	s_delay_alu instid0(VALU_DEP_2) | instskip(SKIP_1) | instid1(VALU_DEP_1)
	v_mad_u64_u32 v[9:10], null, s2, 24, v[5:6]
	v_mov_b32_e32 v10, v2
	v_mad_u64_u32 v[15:16], null, 0xffffffea, s2, v[9:10]
	v_mov_b32_e32 v16, v2
	v_mul_f64 v[7:8], 0x412eec04, v[3:4]
	v_lshlrev_b64 v[3:4], 3, v[5:6]
	v_lshlrev_b64 v[5:6], 3, v[9:10]
	s_delay_alu instid0(VALU_DEP_4) | instskip(NEXT) | instid1(VALU_DEP_3)
	v_lshlrev_b64 v[9:10], 3, v[15:16]
	v_add_co_u32 v3, vcc_lo, s10, v3
	s_delay_alu instid0(VALU_DEP_4) | instskip(NEXT) | instid1(VALU_DEP_4)
	v_add_co_ci_u32_e32 v4, vcc_lo, s11, v4, vcc_lo
	v_add_co_u32 v5, vcc_lo, s10, v5
	v_add_co_ci_u32_e32 v6, vcc_lo, s11, v6, vcc_lo
	v_add_co_u32 v9, vcc_lo, s10, v9
	v_add_co_ci_u32_e32 v10, vcc_lo, s11, v10, vcc_lo
	s_clause 0x2
	global_load_b64 v[3:4], v[3:4], off
	global_load_b64 v[11:12], v[5:6], off
	;; [unrolled: 1-line block ×3, first 2 shown]
	v_dual_mov_b32 v10, v2 :: v_dual_add_nc_u32 v9, s13, v15
	s_delay_alu instid0(VALU_DEP_1) | instskip(NEXT) | instid1(VALU_DEP_1)
	v_lshlrev_b64 v[15:16], 3, v[9:10]
	v_add_co_u32 v15, vcc_lo, s10, v15
	s_delay_alu instid0(VALU_DEP_2)
	v_add_co_ci_u32_e32 v16, vcc_lo, s11, v16, vcc_lo
	global_load_b64 v[15:16], v[15:16], off
	s_waitcnt vmcnt(2)
	v_mul_f64 v[5:6], v[3:4], v[11:12]
	s_waitcnt vmcnt(0)
	v_mul_f64 v[17:18], v[21:22], v[15:16]
	s_delay_alu instid0(VALU_DEP_1) | instskip(NEXT) | instid1(VALU_DEP_1)
	v_div_scale_f64 v[19:20], null, v[17:18], v[17:18], 1.0
	v_rcp_f64_e32 v[23:24], v[19:20]
	s_waitcnt_depctr 0xfff
	v_fma_f64 v[25:26], -v[19:20], v[23:24], 1.0
	s_delay_alu instid0(VALU_DEP_1) | instskip(NEXT) | instid1(VALU_DEP_1)
	v_fma_f64 v[23:24], v[23:24], v[25:26], v[23:24]
	v_fma_f64 v[25:26], -v[19:20], v[23:24], 1.0
	s_delay_alu instid0(VALU_DEP_1) | instskip(SKIP_1) | instid1(VALU_DEP_1)
	v_fma_f64 v[23:24], v[23:24], v[25:26], v[23:24]
	v_div_scale_f64 v[25:26], vcc_lo, 1.0, v[17:18], 1.0
	v_mul_f64 v[27:28], v[25:26], v[23:24]
	s_delay_alu instid0(VALU_DEP_1) | instskip(NEXT) | instid1(VALU_DEP_1)
	v_fma_f64 v[19:20], -v[19:20], v[27:28], v[25:26]
	v_div_fmas_f64 v[19:20], v[19:20], v[23:24], v[27:28]
	s_delay_alu instid0(VALU_DEP_1) | instskip(NEXT) | instid1(VALU_DEP_1)
	v_div_fixup_f64 v[17:18], v[19:20], v[17:18], 1.0
	v_mul_f64 v[5:6], v[5:6], v[17:18]
	v_mad_u64_u32 v[17:18], null, 0x7d, s2, v[9:10]
	v_mov_b32_e32 v18, v2
	s_delay_alu instid0(VALU_DEP_1) | instskip(NEXT) | instid1(VALU_DEP_1)
	v_lshlrev_b64 v[9:10], 3, v[17:18]
	v_add_co_u32 v18, vcc_lo, s6, v9
	s_delay_alu instid0(VALU_DEP_2)
	v_add_co_ci_u32_e32 v19, vcc_lo, s7, v10, vcc_lo
	v_add_co_u32 v9, vcc_lo, s8, v9
	v_add_co_ci_u32_e32 v10, vcc_lo, s9, v10, vcc_lo
	global_load_b64 v[18:19], v[18:19], off
	v_min_f64 v[5:6], v[5:6], s[0:1]
	s_waitcnt vmcnt(0)
	s_delay_alu instid0(VALU_DEP_1) | instskip(SKIP_3) | instid1(VALU_DEP_2)
	v_mul_f64 v[5:6], v[18:19], v[5:6]
	global_store_b64 v[9:10], v[5:6], off
	v_dual_mov_b32 v10, v2 :: v_dual_add_nc_u32 v9, s3, v17
	v_mul_f64 v[5:6], v[11:12], v[21:22]
	v_lshlrev_b64 v[17:18], 3, v[9:10]
	v_add_nc_u32_e32 v9, s4, v9
	s_delay_alu instid0(VALU_DEP_2) | instskip(NEXT) | instid1(VALU_DEP_3)
	v_add_co_u32 v17, vcc_lo, s10, v17
	v_add_co_ci_u32_e32 v18, vcc_lo, s11, v18, vcc_lo
	global_load_b64 v[27:28], v[17:18], off
	s_waitcnt vmcnt(0)
	v_mul_f64 v[17:18], v[15:16], v[27:28]
	s_delay_alu instid0(VALU_DEP_1) | instskip(NEXT) | instid1(VALU_DEP_1)
	v_div_scale_f64 v[19:20], null, v[17:18], v[17:18], 1.0
	v_rcp_f64_e32 v[23:24], v[19:20]
	s_waitcnt_depctr 0xfff
	v_fma_f64 v[25:26], -v[19:20], v[23:24], 1.0
	s_delay_alu instid0(VALU_DEP_1) | instskip(NEXT) | instid1(VALU_DEP_1)
	v_fma_f64 v[23:24], v[23:24], v[25:26], v[23:24]
	v_fma_f64 v[25:26], -v[19:20], v[23:24], 1.0
	s_delay_alu instid0(VALU_DEP_1) | instskip(SKIP_1) | instid1(VALU_DEP_1)
	v_fma_f64 v[23:24], v[23:24], v[25:26], v[23:24]
	v_div_scale_f64 v[25:26], vcc_lo, 1.0, v[17:18], 1.0
	v_mul_f64 v[29:30], v[25:26], v[23:24]
	s_delay_alu instid0(VALU_DEP_1) | instskip(NEXT) | instid1(VALU_DEP_1)
	v_fma_f64 v[19:20], -v[19:20], v[29:30], v[25:26]
	v_div_fmas_f64 v[19:20], v[19:20], v[23:24], v[29:30]
	s_delay_alu instid0(VALU_DEP_1) | instskip(NEXT) | instid1(VALU_DEP_1)
	v_div_fixup_f64 v[17:18], v[19:20], v[17:18], 1.0
	v_mul_f64 v[5:6], v[5:6], v[17:18]
	v_lshlrev_b64 v[17:18], 3, v[9:10]
	s_delay_alu instid0(VALU_DEP_1) | instskip(NEXT) | instid1(VALU_DEP_2)
	v_add_co_u32 v19, vcc_lo, s6, v17
	v_add_co_ci_u32_e32 v20, vcc_lo, s7, v18, vcc_lo
	v_add_co_u32 v17, vcc_lo, s8, v17
	v_add_co_ci_u32_e32 v18, vcc_lo, s9, v18, vcc_lo
	global_load_b64 v[19:20], v[19:20], off
	v_min_f64 v[5:6], v[5:6], s[0:1]
	s_waitcnt vmcnt(0)
	s_delay_alu instid0(VALU_DEP_1) | instskip(SKIP_3) | instid1(VALU_DEP_1)
	v_mul_f64 v[5:6], v[19:20], v[5:6]
	global_store_b64 v[17:18], v[5:6], off
	v_mad_u64_u32 v[17:18], null, 0xffffff6c, s2, v[9:10]
	v_mov_b32_e32 v18, v2
	v_lshlrev_b64 v[5:6], 3, v[17:18]
	s_delay_alu instid0(VALU_DEP_1) | instskip(NEXT) | instid1(VALU_DEP_2)
	v_add_co_u32 v5, vcc_lo, s10, v5
	v_add_co_ci_u32_e32 v6, vcc_lo, s11, v6, vcc_lo
	global_load_b64 v[5:6], v[5:6], off
	s_waitcnt vmcnt(0)
	v_mul_f64 v[18:19], v[11:12], v[5:6]
	v_dual_mov_b32 v12, v2 :: v_dual_add_nc_u32 v11, s12, v17
	s_delay_alu instid0(VALU_DEP_1) | instskip(SKIP_1) | instid1(VALU_DEP_2)
	v_lshlrev_b64 v[9:10], 3, v[11:12]
	v_add_nc_u32_e32 v11, s4, v11
	v_add_co_u32 v9, vcc_lo, s10, v9
	s_delay_alu instid0(VALU_DEP_3) | instskip(SKIP_3) | instid1(VALU_DEP_1)
	v_add_co_ci_u32_e32 v10, vcc_lo, s11, v10, vcc_lo
	global_load_b64 v[9:10], v[9:10], off
	s_waitcnt vmcnt(0)
	v_mul_f64 v[15:16], v[15:16], v[9:10]
	v_div_scale_f64 v[23:24], null, v[15:16], v[15:16], 1.0
	s_delay_alu instid0(VALU_DEP_1) | instskip(SKIP_2) | instid1(VALU_DEP_1)
	v_rcp_f64_e32 v[25:26], v[23:24]
	s_waitcnt_depctr 0xfff
	v_fma_f64 v[29:30], -v[23:24], v[25:26], 1.0
	v_fma_f64 v[25:26], v[25:26], v[29:30], v[25:26]
	s_delay_alu instid0(VALU_DEP_1) | instskip(NEXT) | instid1(VALU_DEP_1)
	v_fma_f64 v[29:30], -v[23:24], v[25:26], 1.0
	v_fma_f64 v[25:26], v[25:26], v[29:30], v[25:26]
	v_div_scale_f64 v[29:30], vcc_lo, 1.0, v[15:16], 1.0
	s_delay_alu instid0(VALU_DEP_1) | instskip(NEXT) | instid1(VALU_DEP_1)
	v_mul_f64 v[31:32], v[29:30], v[25:26]
	v_fma_f64 v[23:24], -v[23:24], v[31:32], v[29:30]
	s_delay_alu instid0(VALU_DEP_1) | instskip(NEXT) | instid1(VALU_DEP_1)
	v_div_fmas_f64 v[23:24], v[23:24], v[25:26], v[31:32]
	v_div_fixup_f64 v[15:16], v[23:24], v[15:16], 1.0
	v_lshlrev_b64 v[23:24], 3, v[11:12]
	s_delay_alu instid0(VALU_DEP_1) | instskip(NEXT) | instid1(VALU_DEP_2)
	v_add_co_u32 v25, vcc_lo, s6, v23
	v_add_co_ci_u32_e32 v26, vcc_lo, s7, v24, vcc_lo
	v_add_co_u32 v23, vcc_lo, s8, v23
	v_add_co_ci_u32_e32 v24, vcc_lo, s9, v24, vcc_lo
	global_load_b64 v[25:26], v[25:26], off
	v_mul_f64 v[15:16], v[18:19], v[15:16]
	s_delay_alu instid0(VALU_DEP_1) | instskip(SKIP_1) | instid1(VALU_DEP_1)
	v_min_f64 v[15:16], v[15:16], s[0:1]
	s_waitcnt vmcnt(0)
	v_mul_f64 v[15:16], v[25:26], v[15:16]
	global_store_b64 v[23:24], v[15:16], off
	v_mad_u64_u32 v[15:16], null, 0xffffff75, s2, v[11:12]
	v_mov_b32_e32 v16, v2
	v_mov_b32_e32 v24, v2
	s_delay_alu instid0(VALU_DEP_2) | instskip(SKIP_2) | instid1(VALU_DEP_2)
	v_lshlrev_b64 v[11:12], 3, v[15:16]
	v_add_nc_u32_e32 v23, s12, v15
	s_mul_i32 s12, s2, 0x87
	v_add_co_u32 v11, vcc_lo, s10, v11
	s_delay_alu instid0(VALU_DEP_3) | instskip(SKIP_2) | instid1(VALU_DEP_1)
	v_add_co_ci_u32_e32 v12, vcc_lo, s11, v12, vcc_lo
	global_load_b64 v[25:26], v[11:12], off
	v_lshlrev_b64 v[11:12], 3, v[23:24]
	v_add_co_u32 v11, vcc_lo, s10, v11
	s_delay_alu instid0(VALU_DEP_2) | instskip(SKIP_4) | instid1(VALU_DEP_1)
	v_add_co_ci_u32_e32 v12, vcc_lo, s11, v12, vcc_lo
	global_load_b64 v[11:12], v[11:12], off
	s_waitcnt vmcnt(1)
	v_mul_f64 v[16:17], v[21:22], v[25:26]
	s_waitcnt vmcnt(0)
	v_mul_f64 v[15:16], v[16:17], v[11:12]
	s_delay_alu instid0(VALU_DEP_1) | instskip(NEXT) | instid1(VALU_DEP_1)
	v_mul_f64 v[15:16], v[7:8], v[15:16]
	v_div_scale_f64 v[29:30], null, v[15:16], v[15:16], 1.0
	s_delay_alu instid0(VALU_DEP_1) | instskip(SKIP_2) | instid1(VALU_DEP_1)
	v_rcp_f64_e32 v[31:32], v[29:30]
	s_waitcnt_depctr 0xfff
	v_fma_f64 v[33:34], -v[29:30], v[31:32], 1.0
	v_fma_f64 v[31:32], v[31:32], v[33:34], v[31:32]
	s_delay_alu instid0(VALU_DEP_1) | instskip(NEXT) | instid1(VALU_DEP_1)
	v_fma_f64 v[33:34], -v[29:30], v[31:32], 1.0
	v_fma_f64 v[31:32], v[31:32], v[33:34], v[31:32]
	v_div_scale_f64 v[33:34], vcc_lo, 1.0, v[15:16], 1.0
	s_delay_alu instid0(VALU_DEP_1) | instskip(NEXT) | instid1(VALU_DEP_1)
	v_mul_f64 v[35:36], v[33:34], v[31:32]
	v_fma_f64 v[29:30], -v[29:30], v[35:36], v[33:34]
	s_delay_alu instid0(VALU_DEP_1) | instskip(NEXT) | instid1(VALU_DEP_1)
	v_div_fmas_f64 v[29:30], v[29:30], v[31:32], v[35:36]
	v_div_fixup_f64 v[15:16], v[29:30], v[15:16], 1.0
	s_delay_alu instid0(VALU_DEP_1) | instskip(SKIP_2) | instid1(VALU_DEP_1)
	v_mul_f64 v[15:16], v[18:19], v[15:16]
	v_mad_u64_u32 v[17:18], null, 0x89, s2, v[23:24]
	v_mov_b32_e32 v18, v2
	v_lshlrev_b64 v[19:20], 3, v[17:18]
	s_delay_alu instid0(VALU_DEP_1) | instskip(NEXT) | instid1(VALU_DEP_2)
	v_add_co_u32 v23, vcc_lo, s6, v19
	v_add_co_ci_u32_e32 v24, vcc_lo, s7, v20, vcc_lo
	v_add_co_u32 v19, vcc_lo, s8, v19
	v_add_co_ci_u32_e32 v20, vcc_lo, s9, v20, vcc_lo
	global_load_b64 v[23:24], v[23:24], off
	v_min_f64 v[15:16], v[15:16], s[0:1]
	s_waitcnt vmcnt(0)
	s_delay_alu instid0(VALU_DEP_1) | instskip(SKIP_3) | instid1(VALU_DEP_1)
	v_mul_f64 v[15:16], v[23:24], v[15:16]
	global_store_b64 v[19:20], v[15:16], off
	v_mad_u64_u32 v[19:20], null, 0xffffff7c, s2, v[17:18]
	v_mov_b32_e32 v20, v2
	v_lshlrev_b64 v[15:16], 3, v[19:20]
	s_delay_alu instid0(VALU_DEP_1) | instskip(NEXT) | instid1(VALU_DEP_2)
	v_add_co_u32 v15, vcc_lo, s10, v15
	v_add_co_ci_u32_e32 v16, vcc_lo, s11, v16, vcc_lo
	v_add_co_u32 v13, vcc_lo, s10, v13
	v_add_co_ci_u32_e32 v14, vcc_lo, s11, v14, vcc_lo
	s_clause 0x1
	global_load_b64 v[15:16], v[15:16], off
	global_load_b64 v[17:18], v[13:14], off
	v_subrev_nc_u32_e32 v13, s5, v19
	v_mov_b32_e32 v14, v2
	s_delay_alu instid0(VALU_DEP_1) | instskip(SKIP_1) | instid1(VALU_DEP_2)
	v_lshlrev_b64 v[19:20], 3, v[13:14]
	v_add_nc_u32_e32 v13, s12, v13
	v_add_co_u32 v19, vcc_lo, s10, v19
	s_delay_alu instid0(VALU_DEP_3) | instskip(NEXT) | instid1(VALU_DEP_3)
	v_add_co_ci_u32_e32 v20, vcc_lo, s11, v20, vcc_lo
	v_lshlrev_b64 v[13:14], 3, v[13:14]
	global_load_b64 v[23:24], v[19:20], off
	s_waitcnt vmcnt(0)
	v_mul_f64 v[19:20], v[17:18], v[23:24]
	s_delay_alu instid0(VALU_DEP_1) | instskip(NEXT) | instid1(VALU_DEP_1)
	v_mul_f64 v[19:20], v[7:8], v[19:20]
	v_div_scale_f64 v[29:30], null, v[19:20], v[19:20], 1.0
	s_delay_alu instid0(VALU_DEP_1) | instskip(SKIP_2) | instid1(VALU_DEP_1)
	v_rcp_f64_e32 v[31:32], v[29:30]
	s_waitcnt_depctr 0xfff
	v_fma_f64 v[33:34], -v[29:30], v[31:32], 1.0
	v_fma_f64 v[31:32], v[31:32], v[33:34], v[31:32]
	s_delay_alu instid0(VALU_DEP_1) | instskip(NEXT) | instid1(VALU_DEP_1)
	v_fma_f64 v[33:34], -v[29:30], v[31:32], 1.0
	v_fma_f64 v[31:32], v[31:32], v[33:34], v[31:32]
	v_div_scale_f64 v[33:34], vcc_lo, 1.0, v[19:20], 1.0
	s_delay_alu instid0(VALU_DEP_1) | instskip(NEXT) | instid1(VALU_DEP_1)
	v_mul_f64 v[35:36], v[33:34], v[31:32]
	v_fma_f64 v[29:30], -v[29:30], v[35:36], v[33:34]
	s_delay_alu instid0(VALU_DEP_1) | instskip(NEXT) | instid1(VALU_DEP_1)
	v_div_fmas_f64 v[29:30], v[29:30], v[31:32], v[35:36]
	v_div_fixup_f64 v[19:20], v[29:30], v[19:20], 1.0
	v_add_co_u32 v29, vcc_lo, s6, v13
	v_add_co_ci_u32_e32 v30, vcc_lo, s7, v14, vcc_lo
	v_add_co_u32 v13, vcc_lo, s8, v13
	v_add_co_ci_u32_e32 v14, vcc_lo, s9, v14, vcc_lo
	global_load_b64 v[29:30], v[29:30], off
	v_mul_f64 v[19:20], v[15:16], v[19:20]
	s_delay_alu instid0(VALU_DEP_1) | instskip(SKIP_1) | instid1(VALU_DEP_1)
	v_min_f64 v[19:20], v[19:20], s[0:1]
	s_waitcnt vmcnt(0)
	v_mul_f64 v[19:20], v[29:30], v[19:20]
	global_store_b64 v[13:14], v[19:20], off
	v_lshlrev_b64 v[13:14], 3, v[1:2]
	v_add_nc_u32_e32 v1, s13, v1
	s_mul_i32 s13, s2, 0xffffff79
	s_delay_alu instid0(VALU_DEP_2) | instskip(NEXT) | instid1(VALU_DEP_3)
	v_add_co_u32 v13, vcc_lo, s10, v13
	v_add_co_ci_u32_e32 v14, vcc_lo, s11, v14, vcc_lo
	global_load_b64 v[19:20], v[13:14], off
	v_lshlrev_b64 v[13:14], 3, v[1:2]
	s_delay_alu instid0(VALU_DEP_1) | instskip(NEXT) | instid1(VALU_DEP_2)
	v_add_co_u32 v13, vcc_lo, s10, v13
	v_add_co_ci_u32_e32 v14, vcc_lo, s11, v14, vcc_lo
	global_load_b64 v[13:14], v[13:14], off
	s_waitcnt vmcnt(1)
	v_mul_f64 v[29:30], v[15:16], v[19:20]
	s_waitcnt vmcnt(0)
	v_div_scale_f64 v[33:34], null, v[13:14], v[13:14], 1.0
	v_mul_f64 v[25:26], v[25:26], v[13:14]
	s_delay_alu instid0(VALU_DEP_3) | instskip(NEXT) | instid1(VALU_DEP_3)
	v_mul_f64 v[31:32], v[7:8], v[29:30]
	v_rcp_f64_e32 v[35:36], v[33:34]
	s_waitcnt_depctr 0xfff
	v_fma_f64 v[37:38], -v[33:34], v[35:36], 1.0
	s_delay_alu instid0(VALU_DEP_1) | instskip(NEXT) | instid1(VALU_DEP_1)
	v_fma_f64 v[35:36], v[35:36], v[37:38], v[35:36]
	v_fma_f64 v[37:38], -v[33:34], v[35:36], 1.0
	s_delay_alu instid0(VALU_DEP_1) | instskip(SKIP_1) | instid1(VALU_DEP_1)
	v_fma_f64 v[35:36], v[35:36], v[37:38], v[35:36]
	v_div_scale_f64 v[37:38], vcc_lo, 1.0, v[13:14], 1.0
	v_mul_f64 v[39:40], v[37:38], v[35:36]
	s_delay_alu instid0(VALU_DEP_1) | instskip(NEXT) | instid1(VALU_DEP_1)
	v_fma_f64 v[33:34], -v[33:34], v[39:40], v[37:38]
	v_div_fmas_f64 v[33:34], v[33:34], v[35:36], v[39:40]
	s_delay_alu instid0(VALU_DEP_1) | instskip(NEXT) | instid1(VALU_DEP_1)
	v_div_fixup_f64 v[33:34], v[33:34], v[13:14], 1.0
	v_mul_f64 v[31:32], v[33:34], v[31:32]
	v_mad_u64_u32 v[33:34], null, 0x85, s2, v[1:2]
	v_mov_b32_e32 v34, v2
	s_delay_alu instid0(VALU_DEP_1) | instskip(NEXT) | instid1(VALU_DEP_1)
	v_lshlrev_b64 v[0:1], 3, v[33:34]
	v_add_co_u32 v34, vcc_lo, s6, v0
	s_delay_alu instid0(VALU_DEP_2)
	v_add_co_ci_u32_e32 v35, vcc_lo, s7, v1, vcc_lo
	v_add_co_u32 v0, vcc_lo, s8, v0
	v_add_co_ci_u32_e32 v1, vcc_lo, s9, v1, vcc_lo
	global_load_b64 v[34:35], v[34:35], off
	v_min_f64 v[31:32], v[31:32], s[0:1]
	s_waitcnt vmcnt(0)
	s_delay_alu instid0(VALU_DEP_1) | instskip(SKIP_2) | instid1(VALU_DEP_1)
	v_mul_f64 v[31:32], v[34:35], v[31:32]
	global_store_b64 v[0:1], v[31:32], off
	v_add_nc_u32_e32 v1, s13, v33
	v_lshlrev_b64 v[31:32], 3, v[1:2]
	v_add_nc_u32_e32 v1, s14, v1
	s_delay_alu instid0(VALU_DEP_2) | instskip(NEXT) | instid1(VALU_DEP_3)
	v_add_co_u32 v31, vcc_lo, s10, v31
	v_add_co_ci_u32_e32 v32, vcc_lo, s11, v32, vcc_lo
	global_load_b64 v[31:32], v[31:32], off
	s_waitcnt vmcnt(0)
	v_mul_f64 v[33:34], v[17:18], v[31:32]
	v_mul_f64 v[27:28], v[27:28], v[31:32]
	s_delay_alu instid0(VALU_DEP_2) | instskip(NEXT) | instid1(VALU_DEP_1)
	v_div_scale_f64 v[35:36], null, v[33:34], v[33:34], 1.0
	v_rcp_f64_e32 v[37:38], v[35:36]
	s_waitcnt_depctr 0xfff
	v_fma_f64 v[39:40], -v[35:36], v[37:38], 1.0
	s_delay_alu instid0(VALU_DEP_1) | instskip(NEXT) | instid1(VALU_DEP_1)
	v_fma_f64 v[37:38], v[37:38], v[39:40], v[37:38]
	v_fma_f64 v[39:40], -v[35:36], v[37:38], 1.0
	s_delay_alu instid0(VALU_DEP_1) | instskip(SKIP_1) | instid1(VALU_DEP_1)
	v_fma_f64 v[37:38], v[37:38], v[39:40], v[37:38]
	v_div_scale_f64 v[39:40], vcc_lo, 1.0, v[33:34], 1.0
	v_mul_f64 v[41:42], v[39:40], v[37:38]
	s_delay_alu instid0(VALU_DEP_1) | instskip(NEXT) | instid1(VALU_DEP_1)
	v_fma_f64 v[35:36], -v[35:36], v[41:42], v[39:40]
	v_div_fmas_f64 v[35:36], v[35:36], v[37:38], v[41:42]
	s_delay_alu instid0(VALU_DEP_1) | instskip(NEXT) | instid1(VALU_DEP_1)
	v_div_fixup_f64 v[33:34], v[35:36], v[33:34], 1.0
	v_mul_f64 v[29:30], v[29:30], v[33:34]
	v_lshlrev_b64 v[33:34], 3, v[1:2]
	v_add_nc_u32_e32 v1, s2, v1
	s_delay_alu instid0(VALU_DEP_2) | instskip(NEXT) | instid1(VALU_DEP_3)
	v_add_co_u32 v35, vcc_lo, s6, v33
	v_add_co_ci_u32_e32 v36, vcc_lo, s7, v34, vcc_lo
	v_add_co_u32 v33, vcc_lo, s8, v33
	v_add_co_ci_u32_e32 v34, vcc_lo, s9, v34, vcc_lo
	global_load_b64 v[35:36], v[35:36], off
	v_min_f64 v[29:30], v[29:30], s[0:1]
	s_waitcnt vmcnt(0)
	s_delay_alu instid0(VALU_DEP_1) | instskip(SKIP_4) | instid1(VALU_DEP_3)
	v_mul_f64 v[29:30], v[35:36], v[29:30]
	global_store_b64 v[33:34], v[29:30], off
	v_mul_f64 v[29:30], v[21:22], v[31:32]
	v_mul_f64 v[33:34], v[3:4], v[15:16]
	;; [unrolled: 1-line block ×3, first 2 shown]
	v_div_scale_f64 v[35:36], null, v[29:30], v[29:30], 1.0
	s_delay_alu instid0(VALU_DEP_1) | instskip(SKIP_2) | instid1(VALU_DEP_1)
	v_rcp_f64_e32 v[37:38], v[35:36]
	s_waitcnt_depctr 0xfff
	v_fma_f64 v[39:40], -v[35:36], v[37:38], 1.0
	v_fma_f64 v[37:38], v[37:38], v[39:40], v[37:38]
	s_delay_alu instid0(VALU_DEP_1) | instskip(NEXT) | instid1(VALU_DEP_1)
	v_fma_f64 v[39:40], -v[35:36], v[37:38], 1.0
	v_fma_f64 v[37:38], v[37:38], v[39:40], v[37:38]
	v_div_scale_f64 v[39:40], vcc_lo, 1.0, v[29:30], 1.0
	s_delay_alu instid0(VALU_DEP_1) | instskip(NEXT) | instid1(VALU_DEP_1)
	v_mul_f64 v[41:42], v[39:40], v[37:38]
	v_fma_f64 v[35:36], -v[35:36], v[41:42], v[39:40]
	s_delay_alu instid0(VALU_DEP_1) | instskip(NEXT) | instid1(VALU_DEP_1)
	v_div_fmas_f64 v[35:36], v[35:36], v[37:38], v[41:42]
	v_div_fixup_f64 v[29:30], v[35:36], v[29:30], 1.0
	v_lshlrev_b64 v[35:36], 3, v[1:2]
	s_delay_alu instid0(VALU_DEP_1) | instskip(NEXT) | instid1(VALU_DEP_2)
	v_add_co_u32 v37, vcc_lo, s6, v35
	v_add_co_ci_u32_e32 v38, vcc_lo, s7, v36, vcc_lo
	v_add_co_u32 v35, vcc_lo, s8, v35
	v_add_co_ci_u32_e32 v36, vcc_lo, s9, v36, vcc_lo
	global_load_b64 v[37:38], v[37:38], off
	v_mul_f64 v[29:30], v[33:34], v[29:30]
	s_delay_alu instid0(VALU_DEP_1) | instskip(SKIP_1) | instid1(VALU_DEP_1)
	v_min_f64 v[29:30], v[29:30], s[0:1]
	s_waitcnt vmcnt(0)
	v_mul_f64 v[29:30], v[37:38], v[29:30]
	global_store_b64 v[35:36], v[29:30], off
	v_mad_u64_u32 v[35:36], null, 0xffffff6e, s2, v[1:2]
	v_mov_b32_e32 v36, v2
	s_delay_alu instid0(VALU_DEP_1) | instskip(NEXT) | instid1(VALU_DEP_1)
	v_lshlrev_b64 v[0:1], 3, v[35:36]
	v_add_co_u32 v0, vcc_lo, s10, v0
	s_delay_alu instid0(VALU_DEP_2) | instskip(SKIP_2) | instid1(VALU_DEP_1)
	v_add_co_ci_u32_e32 v1, vcc_lo, s11, v1, vcc_lo
	global_load_b64 v[29:30], v[0:1], off
	v_lshl_add_u32 v1, s2, 2, v35
	v_lshlrev_b64 v[35:36], 3, v[1:2]
	s_delay_alu instid0(VALU_DEP_1) | instskip(NEXT) | instid1(VALU_DEP_2)
	v_add_co_u32 v35, vcc_lo, s10, v35
	v_add_co_ci_u32_e32 v36, vcc_lo, s11, v36, vcc_lo
	global_load_b64 v[35:36], v[35:36], off
	s_waitcnt vmcnt(0)
	v_mul_f64 v[37:38], v[29:30], v[35:36]
	s_delay_alu instid0(VALU_DEP_1) | instskip(NEXT) | instid1(VALU_DEP_1)
	v_div_scale_f64 v[39:40], null, v[37:38], v[37:38], 1.0
	v_rcp_f64_e32 v[41:42], v[39:40]
	s_waitcnt_depctr 0xfff
	v_fma_f64 v[43:44], -v[39:40], v[41:42], 1.0
	s_delay_alu instid0(VALU_DEP_1) | instskip(NEXT) | instid1(VALU_DEP_1)
	v_fma_f64 v[41:42], v[41:42], v[43:44], v[41:42]
	v_fma_f64 v[43:44], -v[39:40], v[41:42], 1.0
	s_delay_alu instid0(VALU_DEP_1) | instskip(SKIP_1) | instid1(VALU_DEP_1)
	v_fma_f64 v[41:42], v[41:42], v[43:44], v[41:42]
	v_div_scale_f64 v[43:44], vcc_lo, 1.0, v[37:38], 1.0
	v_mul_f64 v[45:46], v[43:44], v[41:42]
	s_delay_alu instid0(VALU_DEP_1) | instskip(NEXT) | instid1(VALU_DEP_1)
	v_fma_f64 v[39:40], -v[39:40], v[45:46], v[43:44]
	v_div_fmas_f64 v[39:40], v[39:40], v[41:42], v[45:46]
	s_delay_alu instid0(VALU_DEP_1) | instskip(SKIP_2) | instid1(VALU_DEP_1)
	v_div_fixup_f64 v[37:38], v[39:40], v[37:38], 1.0
	v_mad_u64_u32 v[39:40], null, 0x8f, s2, v[1:2]
	v_mov_b32_e32 v40, v2
	v_lshlrev_b64 v[0:1], 3, v[39:40]
	s_delay_alu instid0(VALU_DEP_1) | instskip(NEXT) | instid1(VALU_DEP_2)
	v_add_co_u32 v41, vcc_lo, s6, v0
	v_add_co_ci_u32_e32 v42, vcc_lo, s7, v1, vcc_lo
	v_add_co_u32 v0, vcc_lo, s8, v0
	v_add_co_ci_u32_e32 v1, vcc_lo, s9, v1, vcc_lo
	global_load_b64 v[41:42], v[41:42], off
	v_mul_f64 v[37:38], v[33:34], v[37:38]
	s_delay_alu instid0(VALU_DEP_1) | instskip(SKIP_1) | instid1(VALU_DEP_1)
	v_min_f64 v[37:38], v[37:38], s[0:1]
	s_waitcnt vmcnt(0)
	v_mul_f64 v[37:38], v[41:42], v[37:38]
	global_store_b64 v[0:1], v[37:38], off
	v_mad_u64_u32 v[0:1], null, 0xffffff6b, s2, v[39:40]
	v_mov_b32_e32 v1, v2
	s_delay_alu instid0(VALU_DEP_1) | instskip(NEXT) | instid1(VALU_DEP_1)
	v_lshlrev_b64 v[37:38], 3, v[0:1]
	v_add_co_u32 v37, vcc_lo, s10, v37
	s_delay_alu instid0(VALU_DEP_2) | instskip(SKIP_3) | instid1(VALU_DEP_1)
	v_add_co_ci_u32_e32 v38, vcc_lo, s11, v38, vcc_lo
	global_load_b64 v[37:38], v[37:38], off
	s_waitcnt vmcnt(0)
	v_mul_f64 v[39:40], v[11:12], v[37:38]
	v_div_scale_f64 v[41:42], null, v[39:40], v[39:40], 1.0
	s_delay_alu instid0(VALU_DEP_1) | instskip(SKIP_2) | instid1(VALU_DEP_1)
	v_rcp_f64_e32 v[43:44], v[41:42]
	s_waitcnt_depctr 0xfff
	v_fma_f64 v[45:46], -v[41:42], v[43:44], 1.0
	v_fma_f64 v[43:44], v[43:44], v[45:46], v[43:44]
	s_delay_alu instid0(VALU_DEP_1) | instskip(NEXT) | instid1(VALU_DEP_1)
	v_fma_f64 v[45:46], -v[41:42], v[43:44], 1.0
	v_fma_f64 v[43:44], v[43:44], v[45:46], v[43:44]
	v_div_scale_f64 v[45:46], vcc_lo, 1.0, v[39:40], 1.0
	s_delay_alu instid0(VALU_DEP_1) | instskip(NEXT) | instid1(VALU_DEP_1)
	v_mul_f64 v[47:48], v[45:46], v[43:44]
	v_fma_f64 v[41:42], -v[41:42], v[47:48], v[45:46]
	s_delay_alu instid0(VALU_DEP_1) | instskip(NEXT) | instid1(VALU_DEP_1)
	v_div_fmas_f64 v[41:42], v[41:42], v[43:44], v[47:48]
	v_div_fixup_f64 v[39:40], v[41:42], v[39:40], 1.0
	s_delay_alu instid0(VALU_DEP_1) | instskip(SKIP_2) | instid1(VALU_DEP_1)
	v_mul_f64 v[33:34], v[33:34], v[39:40]
	v_mad_u64_u32 v[39:40], null, 0x96, s2, v[0:1]
	v_mov_b32_e32 v40, v2
	v_lshlrev_b64 v[0:1], 3, v[39:40]
	s_delay_alu instid0(VALU_DEP_1) | instskip(NEXT) | instid1(VALU_DEP_2)
	v_add_co_u32 v40, vcc_lo, s6, v0
	v_add_co_ci_u32_e32 v41, vcc_lo, s7, v1, vcc_lo
	v_add_co_u32 v0, vcc_lo, s8, v0
	v_add_co_ci_u32_e32 v1, vcc_lo, s9, v1, vcc_lo
	global_load_b64 v[40:41], v[40:41], off
	v_min_f64 v[33:34], v[33:34], s[0:1]
	s_waitcnt vmcnt(0)
	s_delay_alu instid0(VALU_DEP_1) | instskip(SKIP_3) | instid1(VALU_DEP_2)
	v_mul_f64 v[33:34], v[40:41], v[33:34]
	global_store_b64 v[0:1], v[33:34], off
	v_div_scale_f64 v[33:34], null, v[27:28], v[27:28], 1.0
	v_mul_f64 v[0:1], v[21:22], v[15:16]
	v_rcp_f64_e32 v[40:41], v[33:34]
	s_waitcnt_depctr 0xfff
	v_fma_f64 v[42:43], -v[33:34], v[40:41], 1.0
	s_delay_alu instid0(VALU_DEP_1) | instskip(NEXT) | instid1(VALU_DEP_1)
	v_fma_f64 v[40:41], v[40:41], v[42:43], v[40:41]
	v_fma_f64 v[42:43], -v[33:34], v[40:41], 1.0
	s_delay_alu instid0(VALU_DEP_1) | instskip(SKIP_1) | instid1(VALU_DEP_1)
	v_fma_f64 v[40:41], v[40:41], v[42:43], v[40:41]
	v_div_scale_f64 v[42:43], vcc_lo, 1.0, v[27:28], 1.0
	v_mul_f64 v[44:45], v[42:43], v[40:41]
	s_delay_alu instid0(VALU_DEP_1) | instskip(NEXT) | instid1(VALU_DEP_1)
	v_fma_f64 v[33:34], -v[33:34], v[44:45], v[42:43]
	v_div_fmas_f64 v[33:34], v[33:34], v[40:41], v[44:45]
	s_delay_alu instid0(VALU_DEP_1) | instskip(NEXT) | instid1(VALU_DEP_1)
	v_div_fixup_f64 v[27:28], v[33:34], v[27:28], 1.0
	v_mul_f64 v[27:28], v[0:1], v[27:28]
	v_add_nc_u32_e32 v1, s2, v39
	s_delay_alu instid0(VALU_DEP_1) | instskip(SKIP_1) | instid1(VALU_DEP_2)
	v_lshlrev_b64 v[33:34], 3, v[1:2]
	v_add_nc_u32_e32 v1, s2, v1
	v_add_co_u32 v39, vcc_lo, s6, v33
	s_delay_alu instid0(VALU_DEP_3)
	v_add_co_ci_u32_e32 v40, vcc_lo, s7, v34, vcc_lo
	v_add_co_u32 v33, vcc_lo, s8, v33
	v_add_co_ci_u32_e32 v34, vcc_lo, s9, v34, vcc_lo
	global_load_b64 v[39:40], v[39:40], off
	v_min_f64 v[27:28], v[27:28], s[0:1]
	s_waitcnt vmcnt(0)
	s_delay_alu instid0(VALU_DEP_1) | instskip(SKIP_3) | instid1(VALU_DEP_2)
	v_mul_f64 v[27:28], v[27:28], v[39:40]
	global_store_b64 v[33:34], v[27:28], off
	v_mul_f64 v[33:34], v[9:10], v[31:32]
	v_mul_f64 v[27:28], v[5:6], v[15:16]
	v_div_scale_f64 v[39:40], null, v[33:34], v[33:34], 1.0
	s_delay_alu instid0(VALU_DEP_1) | instskip(SKIP_2) | instid1(VALU_DEP_1)
	v_rcp_f64_e32 v[41:42], v[39:40]
	s_waitcnt_depctr 0xfff
	v_fma_f64 v[43:44], -v[39:40], v[41:42], 1.0
	v_fma_f64 v[41:42], v[41:42], v[43:44], v[41:42]
	s_delay_alu instid0(VALU_DEP_1) | instskip(NEXT) | instid1(VALU_DEP_1)
	v_fma_f64 v[43:44], -v[39:40], v[41:42], 1.0
	v_fma_f64 v[41:42], v[41:42], v[43:44], v[41:42]
	v_div_scale_f64 v[43:44], vcc_lo, 1.0, v[33:34], 1.0
	s_delay_alu instid0(VALU_DEP_1) | instskip(NEXT) | instid1(VALU_DEP_1)
	v_mul_f64 v[45:46], v[43:44], v[41:42]
	v_fma_f64 v[39:40], -v[39:40], v[45:46], v[43:44]
	s_delay_alu instid0(VALU_DEP_1) | instskip(NEXT) | instid1(VALU_DEP_1)
	v_div_fmas_f64 v[39:40], v[39:40], v[41:42], v[45:46]
	v_div_fixup_f64 v[33:34], v[39:40], v[33:34], 1.0
	s_delay_alu instid0(VALU_DEP_1) | instskip(SKIP_1) | instid1(VALU_DEP_1)
	v_mul_f64 v[27:28], v[27:28], v[33:34]
	v_lshlrev_b64 v[33:34], 3, v[1:2]
	v_add_co_u32 v39, vcc_lo, s6, v33
	s_delay_alu instid0(VALU_DEP_2)
	v_add_co_ci_u32_e32 v40, vcc_lo, s7, v34, vcc_lo
	v_add_co_u32 v33, vcc_lo, s8, v33
	v_add_co_ci_u32_e32 v34, vcc_lo, s9, v34, vcc_lo
	global_load_b64 v[39:40], v[39:40], off
	v_min_f64 v[27:28], v[27:28], s[0:1]
	s_waitcnt vmcnt(0)
	s_delay_alu instid0(VALU_DEP_1) | instskip(SKIP_2) | instid1(VALU_DEP_1)
	v_mul_f64 v[27:28], v[27:28], v[39:40]
	v_mad_u64_u32 v[39:40], null, 0xffffff7a, s2, v[1:2]
	v_mov_b32_e32 v40, v2
	v_lshlrev_b64 v[0:1], 3, v[39:40]
	s_delay_alu instid0(VALU_DEP_1) | instskip(NEXT) | instid1(VALU_DEP_2)
	v_add_co_u32 v0, vcc_lo, s10, v0
	v_add_co_ci_u32_e32 v1, vcc_lo, s11, v1, vcc_lo
	global_store_b64 v[33:34], v[27:28], off
	global_load_b64 v[33:34], v[0:1], off
	v_mul_f64 v[27:28], v[9:10], v[15:16]
	s_waitcnt vmcnt(0)
	v_mul_f64 v[0:1], v[21:22], v[33:34]
	s_delay_alu instid0(VALU_DEP_1) | instskip(NEXT) | instid1(VALU_DEP_1)
	v_div_scale_f64 v[21:22], null, v[0:1], v[0:1], 1.0
	v_rcp_f64_e32 v[40:41], v[21:22]
	s_waitcnt_depctr 0xfff
	v_fma_f64 v[42:43], -v[21:22], v[40:41], 1.0
	s_delay_alu instid0(VALU_DEP_1) | instskip(NEXT) | instid1(VALU_DEP_1)
	v_fma_f64 v[40:41], v[40:41], v[42:43], v[40:41]
	v_fma_f64 v[42:43], -v[21:22], v[40:41], 1.0
	s_delay_alu instid0(VALU_DEP_1) | instskip(SKIP_1) | instid1(VALU_DEP_1)
	v_fma_f64 v[40:41], v[40:41], v[42:43], v[40:41]
	v_div_scale_f64 v[42:43], vcc_lo, 1.0, v[0:1], 1.0
	v_mul_f64 v[44:45], v[42:43], v[40:41]
	s_delay_alu instid0(VALU_DEP_1) | instskip(NEXT) | instid1(VALU_DEP_1)
	v_fma_f64 v[21:22], -v[21:22], v[44:45], v[42:43]
	v_div_fmas_f64 v[21:22], v[21:22], v[40:41], v[44:45]
	s_delay_alu instid0(VALU_DEP_1) | instskip(NEXT) | instid1(VALU_DEP_1)
	v_div_fixup_f64 v[0:1], v[21:22], v[0:1], 1.0
	v_mul_f64 v[21:22], v[27:28], v[0:1]
	v_add_nc_u32_e32 v1, s12, v39
	s_delay_alu instid0(VALU_DEP_1) | instskip(SKIP_1) | instid1(VALU_DEP_2)
	v_lshlrev_b64 v[39:40], 3, v[1:2]
	v_add_nc_u32_e32 v1, s2, v1
	v_add_co_u32 v41, vcc_lo, s6, v39
	s_delay_alu instid0(VALU_DEP_3)
	v_add_co_ci_u32_e32 v42, vcc_lo, s7, v40, vcc_lo
	v_add_co_u32 v39, vcc_lo, s8, v39
	v_add_co_ci_u32_e32 v40, vcc_lo, s9, v40, vcc_lo
	global_load_b64 v[41:42], v[41:42], off
	v_min_f64 v[21:22], v[21:22], s[0:1]
	s_waitcnt vmcnt(0)
	s_delay_alu instid0(VALU_DEP_1) | instskip(SKIP_3) | instid1(VALU_DEP_1)
	v_mul_f64 v[21:22], v[41:42], v[21:22]
	global_store_b64 v[39:40], v[21:22], off
	v_mul_f64 v[21:22], v[15:16], v[35:36]
	v_div_scale_f64 v[35:36], null, v[25:26], v[25:26], 1.0
	v_rcp_f64_e32 v[39:40], v[35:36]
	s_waitcnt_depctr 0xfff
	v_fma_f64 v[41:42], -v[35:36], v[39:40], 1.0
	s_delay_alu instid0(VALU_DEP_1) | instskip(NEXT) | instid1(VALU_DEP_1)
	v_fma_f64 v[39:40], v[39:40], v[41:42], v[39:40]
	v_fma_f64 v[41:42], -v[35:36], v[39:40], 1.0
	s_delay_alu instid0(VALU_DEP_1) | instskip(SKIP_1) | instid1(VALU_DEP_1)
	v_fma_f64 v[39:40], v[39:40], v[41:42], v[39:40]
	v_div_scale_f64 v[41:42], vcc_lo, 1.0, v[25:26], 1.0
	v_mul_f64 v[43:44], v[41:42], v[39:40]
	s_delay_alu instid0(VALU_DEP_1) | instskip(NEXT) | instid1(VALU_DEP_1)
	v_fma_f64 v[35:36], -v[35:36], v[43:44], v[41:42]
	v_div_fmas_f64 v[35:36], v[35:36], v[39:40], v[43:44]
	s_delay_alu instid0(VALU_DEP_1) | instskip(NEXT) | instid1(VALU_DEP_1)
	v_div_fixup_f64 v[25:26], v[35:36], v[25:26], 1.0
	v_mul_f64 v[21:22], v[25:26], v[21:22]
	v_lshlrev_b64 v[25:26], 3, v[1:2]
	v_add_nc_u32_e32 v1, s13, v1
	s_delay_alu instid0(VALU_DEP_2) | instskip(NEXT) | instid1(VALU_DEP_3)
	v_add_co_u32 v35, vcc_lo, s6, v25
	v_add_co_ci_u32_e32 v36, vcc_lo, s7, v26, vcc_lo
	v_add_co_u32 v25, vcc_lo, s8, v25
	v_add_co_ci_u32_e32 v26, vcc_lo, s9, v26, vcc_lo
	global_load_b64 v[35:36], v[35:36], off
	v_min_f64 v[21:22], v[21:22], s[0:1]
	s_waitcnt vmcnt(0)
	s_delay_alu instid0(VALU_DEP_1) | instskip(SKIP_4) | instid1(VALU_DEP_3)
	v_mul_f64 v[21:22], v[21:22], v[35:36]
	global_store_b64 v[25:26], v[21:22], off
	v_lshlrev_b64 v[25:26], 3, v[1:2]
	v_add_nc_u32_e32 v1, s14, v1
	v_mul_f64 v[21:22], v[15:16], v[37:38]
	v_add_co_u32 v25, vcc_lo, s10, v25
	s_delay_alu instid0(VALU_DEP_4) | instskip(SKIP_3) | instid1(VALU_DEP_1)
	v_add_co_ci_u32_e32 v26, vcc_lo, s11, v26, vcc_lo
	global_load_b64 v[25:26], v[25:26], off
	s_waitcnt vmcnt(0)
	v_mul_f64 v[25:26], v[19:20], v[25:26]
	v_div_scale_f64 v[35:36], null, v[25:26], v[25:26], 1.0
	s_delay_alu instid0(VALU_DEP_1) | instskip(SKIP_2) | instid1(VALU_DEP_1)
	v_rcp_f64_e32 v[37:38], v[35:36]
	s_waitcnt_depctr 0xfff
	v_fma_f64 v[39:40], -v[35:36], v[37:38], 1.0
	v_fma_f64 v[37:38], v[37:38], v[39:40], v[37:38]
	s_delay_alu instid0(VALU_DEP_1) | instskip(NEXT) | instid1(VALU_DEP_1)
	v_fma_f64 v[39:40], -v[35:36], v[37:38], 1.0
	v_fma_f64 v[37:38], v[37:38], v[39:40], v[37:38]
	v_div_scale_f64 v[39:40], vcc_lo, 1.0, v[25:26], 1.0
	s_delay_alu instid0(VALU_DEP_1) | instskip(NEXT) | instid1(VALU_DEP_1)
	v_mul_f64 v[41:42], v[39:40], v[37:38]
	v_fma_f64 v[35:36], -v[35:36], v[41:42], v[39:40]
	s_delay_alu instid0(VALU_DEP_1) | instskip(NEXT) | instid1(VALU_DEP_1)
	v_div_fmas_f64 v[35:36], v[35:36], v[37:38], v[41:42]
	v_div_fixup_f64 v[25:26], v[35:36], v[25:26], 1.0
	v_lshlrev_b64 v[35:36], 3, v[1:2]
	s_delay_alu instid0(VALU_DEP_1) | instskip(NEXT) | instid1(VALU_DEP_2)
	v_add_co_u32 v37, vcc_lo, s6, v35
	v_add_co_ci_u32_e32 v38, vcc_lo, s7, v36, vcc_lo
	v_add_co_u32 v35, vcc_lo, s8, v35
	v_add_co_ci_u32_e32 v36, vcc_lo, s9, v36, vcc_lo
	global_load_b64 v[37:38], v[37:38], off
	v_mul_f64 v[21:22], v[21:22], v[25:26]
	s_delay_alu instid0(VALU_DEP_1) | instskip(SKIP_1) | instid1(VALU_DEP_1)
	v_min_f64 v[21:22], v[21:22], s[0:1]
	s_waitcnt vmcnt(0)
	v_mul_f64 v[21:22], v[37:38], v[21:22]
	global_store_b64 v[35:36], v[21:22], off
	v_mad_u64_u32 v[21:22], null, 0xffffff66, s2, v[1:2]
	v_mov_b32_e32 v22, v2
	s_delay_alu instid0(VALU_DEP_1) | instskip(NEXT) | instid1(VALU_DEP_1)
	v_lshlrev_b64 v[0:1], 3, v[21:22]
	v_add_co_u32 v0, vcc_lo, s10, v0
	s_delay_alu instid0(VALU_DEP_2) | instskip(SKIP_4) | instid1(VALU_DEP_1)
	v_add_co_ci_u32_e32 v1, vcc_lo, s11, v1, vcc_lo
	global_load_b64 v[0:1], v[0:1], off
	s_waitcnt vmcnt(0)
	v_mul_f64 v[35:36], v[15:16], v[0:1]
	v_add_nc_u32_e32 v1, s5, v21
	v_lshlrev_b64 v[21:22], 3, v[1:2]
	s_delay_alu instid0(VALU_DEP_1) | instskip(NEXT) | instid1(VALU_DEP_2)
	v_add_co_u32 v21, vcc_lo, s10, v21
	v_add_co_ci_u32_e32 v22, vcc_lo, s11, v22, vcc_lo
	global_load_b64 v[21:22], v[21:22], off
	s_waitcnt vmcnt(0)
	v_mul_f64 v[23:24], v[23:24], v[21:22]
	v_mul_f64 v[21:22], v[31:32], v[21:22]
	s_delay_alu instid0(VALU_DEP_2) | instskip(NEXT) | instid1(VALU_DEP_1)
	v_div_scale_f64 v[37:38], null, v[23:24], v[23:24], 1.0
	v_rcp_f64_e32 v[39:40], v[37:38]
	s_waitcnt_depctr 0xfff
	v_fma_f64 v[41:42], -v[37:38], v[39:40], 1.0
	s_delay_alu instid0(VALU_DEP_1) | instskip(NEXT) | instid1(VALU_DEP_1)
	v_fma_f64 v[39:40], v[39:40], v[41:42], v[39:40]
	v_fma_f64 v[41:42], -v[37:38], v[39:40], 1.0
	s_delay_alu instid0(VALU_DEP_1) | instskip(SKIP_1) | instid1(VALU_DEP_1)
	v_fma_f64 v[39:40], v[39:40], v[41:42], v[39:40]
	v_div_scale_f64 v[41:42], vcc_lo, 1.0, v[23:24], 1.0
	v_mul_f64 v[43:44], v[41:42], v[39:40]
	s_delay_alu instid0(VALU_DEP_1) | instskip(NEXT) | instid1(VALU_DEP_1)
	v_fma_f64 v[37:38], -v[37:38], v[43:44], v[41:42]
	v_div_fmas_f64 v[37:38], v[37:38], v[39:40], v[43:44]
	s_delay_alu instid0(VALU_DEP_1) | instskip(SKIP_2) | instid1(VALU_DEP_1)
	v_div_fixup_f64 v[23:24], v[37:38], v[23:24], 1.0
	v_mad_u64_u32 v[37:38], null, 0x99, s2, v[1:2]
	v_mov_b32_e32 v38, v2
	v_lshlrev_b64 v[0:1], 3, v[37:38]
	s_delay_alu instid0(VALU_DEP_1) | instskip(NEXT) | instid1(VALU_DEP_2)
	v_add_co_u32 v38, vcc_lo, s6, v0
	v_add_co_ci_u32_e32 v39, vcc_lo, s7, v1, vcc_lo
	v_add_co_u32 v0, vcc_lo, s8, v0
	v_add_co_ci_u32_e32 v1, vcc_lo, s9, v1, vcc_lo
	global_load_b64 v[38:39], v[38:39], off
	v_mul_f64 v[23:24], v[35:36], v[23:24]
	s_delay_alu instid0(VALU_DEP_1) | instskip(SKIP_1) | instid1(VALU_DEP_1)
	v_min_f64 v[23:24], v[23:24], s[0:1]
	s_waitcnt vmcnt(0)
	v_mul_f64 v[23:24], v[38:39], v[23:24]
	global_store_b64 v[0:1], v[23:24], off
	v_add_nc_u32_e32 v1, s2, v37
	v_mul_f64 v[23:24], v[25:26], v[35:36]
	s_delay_alu instid0(VALU_DEP_2) | instskip(SKIP_1) | instid1(VALU_DEP_2)
	v_lshlrev_b64 v[25:26], 3, v[1:2]
	v_add_nc_u32_e32 v1, s2, v1
	v_add_co_u32 v35, vcc_lo, s6, v25
	s_delay_alu instid0(VALU_DEP_3)
	v_add_co_ci_u32_e32 v36, vcc_lo, s7, v26, vcc_lo
	v_add_co_u32 v25, vcc_lo, s8, v25
	v_add_co_ci_u32_e32 v26, vcc_lo, s9, v26, vcc_lo
	global_load_b64 v[35:36], v[35:36], off
	v_min_f64 v[23:24], v[23:24], s[0:1]
	s_waitcnt vmcnt(0)
	s_delay_alu instid0(VALU_DEP_1) | instskip(SKIP_3) | instid1(VALU_DEP_2)
	v_mul_f64 v[23:24], v[23:24], v[35:36]
	global_store_b64 v[25:26], v[23:24], off
	v_div_scale_f64 v[25:26], null, v[21:22], v[21:22], 1.0
	v_mul_f64 v[23:24], v[15:16], v[29:30]
	v_rcp_f64_e32 v[31:32], v[25:26]
	s_waitcnt_depctr 0xfff
	v_fma_f64 v[35:36], -v[25:26], v[31:32], 1.0
	s_delay_alu instid0(VALU_DEP_1) | instskip(NEXT) | instid1(VALU_DEP_1)
	v_fma_f64 v[31:32], v[31:32], v[35:36], v[31:32]
	v_fma_f64 v[35:36], -v[25:26], v[31:32], 1.0
	s_delay_alu instid0(VALU_DEP_1) | instskip(SKIP_1) | instid1(VALU_DEP_1)
	v_fma_f64 v[31:32], v[31:32], v[35:36], v[31:32]
	v_div_scale_f64 v[35:36], vcc_lo, 1.0, v[21:22], 1.0
	v_mul_f64 v[37:38], v[35:36], v[31:32]
	s_delay_alu instid0(VALU_DEP_1) | instskip(NEXT) | instid1(VALU_DEP_1)
	v_fma_f64 v[25:26], -v[25:26], v[37:38], v[35:36]
	v_div_fmas_f64 v[25:26], v[25:26], v[31:32], v[37:38]
	s_delay_alu instid0(VALU_DEP_1) | instskip(SKIP_1) | instid1(VALU_DEP_1)
	v_div_fixup_f64 v[21:22], v[25:26], v[21:22], 1.0
	v_lshlrev_b64 v[25:26], 3, v[1:2]
	v_add_co_u32 v31, vcc_lo, s6, v25
	s_delay_alu instid0(VALU_DEP_2) | instskip(SKIP_4) | instid1(VALU_DEP_1)
	v_add_co_ci_u32_e32 v32, vcc_lo, s7, v26, vcc_lo
	v_add_co_u32 v25, vcc_lo, s8, v25
	v_add_co_ci_u32_e32 v26, vcc_lo, s9, v26, vcc_lo
	global_load_b64 v[31:32], v[31:32], off
	v_mul_f64 v[21:22], v[23:24], v[21:22]
	v_min_f64 v[21:22], v[21:22], s[0:1]
	s_waitcnt vmcnt(0)
	s_delay_alu instid0(VALU_DEP_1) | instskip(SKIP_4) | instid1(VALU_DEP_1)
	v_mul_f64 v[21:22], v[21:22], v[31:32]
	global_store_b64 v[25:26], v[21:22], off
	v_mul_f64 v[21:22], v[7:8], v[23:24]
	v_mad_u64_u32 v[23:24], null, 0xffffff77, s2, v[1:2]
	v_mov_b32_e32 v24, v2
	v_lshlrev_b64 v[0:1], 3, v[23:24]
	s_delay_alu instid0(VALU_DEP_1) | instskip(NEXT) | instid1(VALU_DEP_2)
	v_add_co_u32 v0, vcc_lo, s10, v0
	v_add_co_ci_u32_e32 v1, vcc_lo, s11, v1, vcc_lo
	global_load_b64 v[0:1], v[0:1], off
	s_waitcnt vmcnt(0)
	v_div_scale_f64 v[24:25], null, v[0:1], v[0:1], 1.0
	s_delay_alu instid0(VALU_DEP_1) | instskip(SKIP_2) | instid1(VALU_DEP_1)
	v_rcp_f64_e32 v[31:32], v[24:25]
	s_waitcnt_depctr 0xfff
	v_fma_f64 v[35:36], -v[24:25], v[31:32], 1.0
	v_fma_f64 v[31:32], v[31:32], v[35:36], v[31:32]
	s_delay_alu instid0(VALU_DEP_1) | instskip(NEXT) | instid1(VALU_DEP_1)
	v_fma_f64 v[35:36], -v[24:25], v[31:32], 1.0
	v_fma_f64 v[31:32], v[31:32], v[35:36], v[31:32]
	v_div_scale_f64 v[35:36], vcc_lo, 1.0, v[0:1], 1.0
	s_delay_alu instid0(VALU_DEP_1) | instskip(NEXT) | instid1(VALU_DEP_1)
	v_mul_f64 v[37:38], v[35:36], v[31:32]
	v_fma_f64 v[24:25], -v[24:25], v[37:38], v[35:36]
	s_delay_alu instid0(VALU_DEP_1) | instskip(NEXT) | instid1(VALU_DEP_1)
	v_div_fmas_f64 v[24:25], v[24:25], v[31:32], v[37:38]
	v_div_fixup_f64 v[0:1], v[24:25], v[0:1], 1.0
	s_delay_alu instid0(VALU_DEP_1) | instskip(SKIP_2) | instid1(VALU_DEP_1)
	v_mul_f64 v[0:1], v[21:22], v[0:1]
	v_mad_u64_u32 v[21:22], null, 0x8a, s2, v[23:24]
	v_mov_b32_e32 v22, v2
	v_lshlrev_b64 v[22:23], 3, v[21:22]
	s_delay_alu instid0(VALU_DEP_1) | instskip(NEXT) | instid1(VALU_DEP_2)
	v_add_co_u32 v24, vcc_lo, s6, v22
	v_add_co_ci_u32_e32 v25, vcc_lo, s7, v23, vcc_lo
	v_add_co_u32 v22, vcc_lo, s8, v22
	v_add_co_ci_u32_e32 v23, vcc_lo, s9, v23, vcc_lo
	global_load_b64 v[24:25], v[24:25], off
	v_min_f64 v[0:1], v[0:1], s[0:1]
	s_waitcnt vmcnt(0)
	s_delay_alu instid0(VALU_DEP_1) | instskip(SKIP_3) | instid1(VALU_DEP_2)
	v_mul_f64 v[0:1], v[24:25], v[0:1]
	global_store_b64 v[22:23], v[0:1], off
	v_add_nc_u32_e32 v1, s3, v21
	v_mul_f64 v[22:23], v[19:20], v[13:14]
	v_lshlrev_b64 v[24:25], 3, v[1:2]
	v_add_nc_u32_e32 v1, s4, v1
	s_delay_alu instid0(VALU_DEP_2) | instskip(NEXT) | instid1(VALU_DEP_3)
	v_add_co_u32 v24, vcc_lo, s10, v24
	v_add_co_ci_u32_e32 v25, vcc_lo, s11, v25, vcc_lo
	global_load_b64 v[24:25], v[24:25], off
	v_mul_f64 v[7:8], v[7:8], v[22:23]
	s_waitcnt vmcnt(0)
	v_div_scale_f64 v[31:32], null, v[24:25], v[24:25], 1.0
	s_delay_alu instid0(VALU_DEP_1) | instskip(SKIP_2) | instid1(VALU_DEP_1)
	v_rcp_f64_e32 v[35:36], v[31:32]
	s_waitcnt_depctr 0xfff
	v_fma_f64 v[37:38], -v[31:32], v[35:36], 1.0
	v_fma_f64 v[35:36], v[35:36], v[37:38], v[35:36]
	s_delay_alu instid0(VALU_DEP_1) | instskip(NEXT) | instid1(VALU_DEP_1)
	v_fma_f64 v[37:38], -v[31:32], v[35:36], 1.0
	v_fma_f64 v[35:36], v[35:36], v[37:38], v[35:36]
	v_div_scale_f64 v[37:38], vcc_lo, 1.0, v[24:25], 1.0
	s_delay_alu instid0(VALU_DEP_1) | instskip(NEXT) | instid1(VALU_DEP_1)
	v_mul_f64 v[39:40], v[37:38], v[35:36]
	v_fma_f64 v[31:32], -v[31:32], v[39:40], v[37:38]
	s_delay_alu instid0(VALU_DEP_1) | instskip(NEXT) | instid1(VALU_DEP_1)
	v_div_fmas_f64 v[31:32], v[31:32], v[35:36], v[39:40]
	v_div_fixup_f64 v[31:32], v[31:32], v[24:25], 1.0
	s_delay_alu instid0(VALU_DEP_1) | instskip(SKIP_2) | instid1(VALU_DEP_2)
	v_mul_f64 v[7:8], v[7:8], v[31:32]
	v_lshlrev_b64 v[31:32], 3, v[1:2]
	v_add_nc_u32_e32 v1, s2, v1
	v_add_co_u32 v35, vcc_lo, s6, v31
	s_delay_alu instid0(VALU_DEP_3)
	v_add_co_ci_u32_e32 v36, vcc_lo, s7, v32, vcc_lo
	v_add_co_u32 v31, vcc_lo, s8, v31
	v_add_co_ci_u32_e32 v32, vcc_lo, s9, v32, vcc_lo
	global_load_b64 v[35:36], v[35:36], off
	v_min_f64 v[7:8], v[7:8], s[0:1]
	s_waitcnt vmcnt(0)
	s_delay_alu instid0(VALU_DEP_1) | instskip(SKIP_2) | instid1(VALU_DEP_1)
	v_mul_f64 v[7:8], v[35:36], v[7:8]
	global_store_b64 v[31:32], v[7:8], off
	v_mul_f64 v[7:8], v[15:16], v[17:18]
	v_div_scale_f64 v[15:16], null, v[7:8], v[7:8], 1.0
	s_delay_alu instid0(VALU_DEP_1) | instskip(SKIP_2) | instid1(VALU_DEP_1)
	v_rcp_f64_e32 v[17:18], v[15:16]
	s_waitcnt_depctr 0xfff
	v_fma_f64 v[31:32], -v[15:16], v[17:18], 1.0
	v_fma_f64 v[17:18], v[17:18], v[31:32], v[17:18]
	s_delay_alu instid0(VALU_DEP_1) | instskip(NEXT) | instid1(VALU_DEP_1)
	v_fma_f64 v[31:32], -v[15:16], v[17:18], 1.0
	v_fma_f64 v[17:18], v[17:18], v[31:32], v[17:18]
	v_div_scale_f64 v[31:32], vcc_lo, 1.0, v[7:8], 1.0
	s_delay_alu instid0(VALU_DEP_1) | instskip(NEXT) | instid1(VALU_DEP_1)
	v_mul_f64 v[35:36], v[31:32], v[17:18]
	v_fma_f64 v[15:16], -v[15:16], v[35:36], v[31:32]
	s_delay_alu instid0(VALU_DEP_1) | instskip(NEXT) | instid1(VALU_DEP_1)
	v_div_fmas_f64 v[15:16], v[15:16], v[17:18], v[35:36]
	v_div_fixup_f64 v[7:8], v[15:16], v[7:8], 1.0
	v_lshlrev_b64 v[15:16], 3, v[1:2]
	v_add_nc_u32_e32 v1, s2, v1
	s_delay_alu instid0(VALU_DEP_2) | instskip(NEXT) | instid1(VALU_DEP_3)
	v_add_co_u32 v17, vcc_lo, s6, v15
	v_add_co_ci_u32_e32 v18, vcc_lo, s7, v16, vcc_lo
	v_add_co_u32 v15, vcc_lo, s8, v15
	v_add_co_ci_u32_e32 v16, vcc_lo, s9, v16, vcc_lo
	global_load_b64 v[17:18], v[17:18], off
	v_mul_f64 v[7:8], v[7:8], v[22:23]
	s_delay_alu instid0(VALU_DEP_1) | instskip(SKIP_1) | instid1(VALU_DEP_1)
	v_min_f64 v[7:8], v[7:8], s[0:1]
	s_waitcnt vmcnt(0)
	v_mul_f64 v[7:8], v[7:8], v[17:18]
	global_store_b64 v[15:16], v[7:8], off
	v_mul_f64 v[7:8], v[11:12], v[29:30]
	s_delay_alu instid0(VALU_DEP_1) | instskip(NEXT) | instid1(VALU_DEP_1)
	v_div_scale_f64 v[11:12], null, v[7:8], v[7:8], 1.0
	v_rcp_f64_e32 v[15:16], v[11:12]
	s_waitcnt_depctr 0xfff
	v_fma_f64 v[17:18], -v[11:12], v[15:16], 1.0
	s_delay_alu instid0(VALU_DEP_1) | instskip(NEXT) | instid1(VALU_DEP_1)
	v_fma_f64 v[15:16], v[15:16], v[17:18], v[15:16]
	v_fma_f64 v[17:18], -v[11:12], v[15:16], 1.0
	s_delay_alu instid0(VALU_DEP_1) | instskip(SKIP_1) | instid1(VALU_DEP_1)
	v_fma_f64 v[15:16], v[15:16], v[17:18], v[15:16]
	v_div_scale_f64 v[17:18], vcc_lo, 1.0, v[7:8], 1.0
	v_mul_f64 v[21:22], v[17:18], v[15:16]
	s_delay_alu instid0(VALU_DEP_1) | instskip(NEXT) | instid1(VALU_DEP_1)
	v_fma_f64 v[11:12], -v[11:12], v[21:22], v[17:18]
	v_div_fmas_f64 v[11:12], v[11:12], v[15:16], v[21:22]
	s_delay_alu instid0(VALU_DEP_1) | instskip(SKIP_2) | instid1(VALU_DEP_2)
	v_div_fixup_f64 v[7:8], v[11:12], v[7:8], 1.0
	v_lshlrev_b64 v[11:12], 3, v[1:2]
	v_add_nc_u32_e32 v1, s2, v1
	v_add_co_u32 v15, vcc_lo, s6, v11
	s_delay_alu instid0(VALU_DEP_3) | instskip(SKIP_4) | instid1(VALU_DEP_1)
	v_add_co_ci_u32_e32 v16, vcc_lo, s7, v12, vcc_lo
	v_add_co_u32 v11, vcc_lo, s8, v11
	v_add_co_ci_u32_e32 v12, vcc_lo, s9, v12, vcc_lo
	global_load_b64 v[15:16], v[15:16], off
	v_mul_f64 v[7:8], v[3:4], v[7:8]
	v_min_f64 v[7:8], v[7:8], s[0:1]
	s_waitcnt vmcnt(0)
	s_delay_alu instid0(VALU_DEP_1) | instskip(SKIP_2) | instid1(VALU_DEP_1)
	v_mul_f64 v[7:8], v[7:8], v[15:16]
	global_store_b64 v[11:12], v[7:8], off
	v_mul_f64 v[7:8], v[19:20], v[33:34]
	v_div_scale_f64 v[11:12], null, v[7:8], v[7:8], 1.0
	s_delay_alu instid0(VALU_DEP_1) | instskip(SKIP_2) | instid1(VALU_DEP_1)
	v_rcp_f64_e32 v[15:16], v[11:12]
	s_waitcnt_depctr 0xfff
	v_fma_f64 v[17:18], -v[11:12], v[15:16], 1.0
	v_fma_f64 v[15:16], v[15:16], v[17:18], v[15:16]
	s_delay_alu instid0(VALU_DEP_1) | instskip(NEXT) | instid1(VALU_DEP_1)
	v_fma_f64 v[17:18], -v[11:12], v[15:16], 1.0
	v_fma_f64 v[15:16], v[15:16], v[17:18], v[15:16]
	v_div_scale_f64 v[17:18], vcc_lo, 1.0, v[7:8], 1.0
	s_delay_alu instid0(VALU_DEP_1) | instskip(NEXT) | instid1(VALU_DEP_1)
	v_mul_f64 v[19:20], v[17:18], v[15:16]
	v_fma_f64 v[11:12], -v[11:12], v[19:20], v[17:18]
	s_delay_alu instid0(VALU_DEP_1) | instskip(NEXT) | instid1(VALU_DEP_1)
	v_div_fmas_f64 v[11:12], v[11:12], v[15:16], v[19:20]
	v_div_fixup_f64 v[7:8], v[11:12], v[7:8], 1.0
	s_delay_alu instid0(VALU_DEP_1) | instskip(SKIP_2) | instid1(VALU_DEP_2)
	v_mul_f64 v[3:4], v[3:4], v[7:8]
	v_lshlrev_b64 v[7:8], 3, v[1:2]
	v_add_nc_u32_e32 v1, s2, v1
	v_add_co_u32 v11, vcc_lo, s6, v7
	s_delay_alu instid0(VALU_DEP_3)
	v_add_co_ci_u32_e32 v12, vcc_lo, s7, v8, vcc_lo
	v_add_co_u32 v7, vcc_lo, s8, v7
	v_add_co_ci_u32_e32 v8, vcc_lo, s9, v8, vcc_lo
	global_load_b64 v[11:12], v[11:12], off
	v_min_f64 v[3:4], v[3:4], s[0:1]
	s_waitcnt vmcnt(0)
	s_delay_alu instid0(VALU_DEP_1) | instskip(SKIP_4) | instid1(VALU_DEP_3)
	v_mul_f64 v[3:4], v[3:4], v[11:12]
	global_store_b64 v[7:8], v[3:4], off
	v_div_scale_f64 v[7:8], null, v[27:28], v[27:28], 1.0
	v_mul_f64 v[3:4], v[5:6], v[13:14]
	v_mul_f64 v[5:6], v[5:6], v[24:25]
	v_rcp_f64_e32 v[11:12], v[7:8]
	s_waitcnt_depctr 0xfff
	v_fma_f64 v[15:16], -v[7:8], v[11:12], 1.0
	s_delay_alu instid0(VALU_DEP_1) | instskip(NEXT) | instid1(VALU_DEP_1)
	v_fma_f64 v[11:12], v[11:12], v[15:16], v[11:12]
	v_fma_f64 v[15:16], -v[7:8], v[11:12], 1.0
	s_delay_alu instid0(VALU_DEP_1) | instskip(SKIP_1) | instid1(VALU_DEP_1)
	v_fma_f64 v[11:12], v[11:12], v[15:16], v[11:12]
	v_div_scale_f64 v[15:16], vcc_lo, 1.0, v[27:28], 1.0
	v_mul_f64 v[17:18], v[15:16], v[11:12]
	s_delay_alu instid0(VALU_DEP_1) | instskip(NEXT) | instid1(VALU_DEP_1)
	v_fma_f64 v[7:8], -v[7:8], v[17:18], v[15:16]
	v_div_fmas_f64 v[7:8], v[7:8], v[11:12], v[17:18]
	s_delay_alu instid0(VALU_DEP_1) | instskip(NEXT) | instid1(VALU_DEP_1)
	v_div_fixup_f64 v[7:8], v[7:8], v[27:28], 1.0
	v_mul_f64 v[3:4], v[7:8], v[3:4]
	v_lshlrev_b64 v[7:8], 3, v[1:2]
	v_add_nc_u32_e32 v1, s2, v1
	s_delay_alu instid0(VALU_DEP_2) | instskip(NEXT) | instid1(VALU_DEP_3)
	v_add_co_u32 v11, vcc_lo, s6, v7
	v_add_co_ci_u32_e32 v12, vcc_lo, s7, v8, vcc_lo
	v_add_co_u32 v7, vcc_lo, s8, v7
	v_add_co_ci_u32_e32 v8, vcc_lo, s9, v8, vcc_lo
	global_load_b64 v[11:12], v[11:12], off
	v_lshlrev_b64 v[0:1], 3, v[1:2]
	v_min_f64 v[3:4], v[3:4], s[0:1]
	s_waitcnt vmcnt(0)
	s_delay_alu instid0(VALU_DEP_1) | instskip(SKIP_3) | instid1(VALU_DEP_2)
	v_mul_f64 v[3:4], v[3:4], v[11:12]
	global_store_b64 v[7:8], v[3:4], off
	v_div_scale_f64 v[7:8], null, v[5:6], v[5:6], 1.0
	v_mul_f64 v[3:4], v[9:10], v[13:14]
	v_rcp_f64_e32 v[9:10], v[7:8]
	s_waitcnt_depctr 0xfff
	v_fma_f64 v[11:12], -v[7:8], v[9:10], 1.0
	s_delay_alu instid0(VALU_DEP_1) | instskip(NEXT) | instid1(VALU_DEP_1)
	v_fma_f64 v[9:10], v[9:10], v[11:12], v[9:10]
	v_fma_f64 v[11:12], -v[7:8], v[9:10], 1.0
	s_delay_alu instid0(VALU_DEP_1) | instskip(SKIP_1) | instid1(VALU_DEP_1)
	v_fma_f64 v[9:10], v[9:10], v[11:12], v[9:10]
	v_div_scale_f64 v[11:12], vcc_lo, 1.0, v[5:6], 1.0
	v_mul_f64 v[13:14], v[11:12], v[9:10]
	s_delay_alu instid0(VALU_DEP_1) | instskip(NEXT) | instid1(VALU_DEP_1)
	v_fma_f64 v[7:8], -v[7:8], v[13:14], v[11:12]
	v_div_fmas_f64 v[7:8], v[7:8], v[9:10], v[13:14]
	s_delay_alu instid0(VALU_DEP_1) | instskip(NEXT) | instid1(VALU_DEP_1)
	v_div_fixup_f64 v[5:6], v[7:8], v[5:6], 1.0
	v_mul_f64 v[3:4], v[3:4], v[5:6]
	v_add_co_u32 v5, vcc_lo, s6, v0
	v_add_co_ci_u32_e32 v6, vcc_lo, s7, v1, vcc_lo
	v_add_co_u32 v0, vcc_lo, s8, v0
	v_add_co_ci_u32_e32 v1, vcc_lo, s9, v1, vcc_lo
	global_load_b64 v[5:6], v[5:6], off
	v_min_f64 v[2:3], v[3:4], s[0:1]
	s_waitcnt vmcnt(0)
	s_delay_alu instid0(VALU_DEP_1)
	v_mul_f64 v[2:3], v[2:3], v[5:6]
	global_store_b64 v[0:1], v[2:3], off
	s_nop 0
	s_sendmsg sendmsg(MSG_DEALLOC_VGPRS)
	s_endpgm
	.section	.rodata,"a",@progbits
	.p2align	6, 0x0
	.amdhsa_kernel _Z12ratt8_kernelIdEvPKT_S2_PS0_S2_S0_
		.amdhsa_group_segment_fixed_size 0
		.amdhsa_private_segment_fixed_size 0
		.amdhsa_kernarg_size 296
		.amdhsa_user_sgpr_count 15
		.amdhsa_user_sgpr_dispatch_ptr 0
		.amdhsa_user_sgpr_queue_ptr 0
		.amdhsa_user_sgpr_kernarg_segment_ptr 1
		.amdhsa_user_sgpr_dispatch_id 0
		.amdhsa_user_sgpr_private_segment_size 0
		.amdhsa_wavefront_size32 1
		.amdhsa_uses_dynamic_stack 0
		.amdhsa_enable_private_segment 0
		.amdhsa_system_sgpr_workgroup_id_x 1
		.amdhsa_system_sgpr_workgroup_id_y 0
		.amdhsa_system_sgpr_workgroup_id_z 0
		.amdhsa_system_sgpr_workgroup_info 0
		.amdhsa_system_vgpr_workitem_id 0
		.amdhsa_next_free_vgpr 49
		.amdhsa_next_free_sgpr 16
		.amdhsa_reserve_vcc 1
		.amdhsa_float_round_mode_32 0
		.amdhsa_float_round_mode_16_64 0
		.amdhsa_float_denorm_mode_32 3
		.amdhsa_float_denorm_mode_16_64 3
		.amdhsa_dx10_clamp 1
		.amdhsa_ieee_mode 1
		.amdhsa_fp16_overflow 0
		.amdhsa_workgroup_processor_mode 1
		.amdhsa_memory_ordered 1
		.amdhsa_forward_progress 0
		.amdhsa_shared_vgpr_count 0
		.amdhsa_exception_fp_ieee_invalid_op 0
		.amdhsa_exception_fp_denorm_src 0
		.amdhsa_exception_fp_ieee_div_zero 0
		.amdhsa_exception_fp_ieee_overflow 0
		.amdhsa_exception_fp_ieee_underflow 0
		.amdhsa_exception_fp_ieee_inexact 0
		.amdhsa_exception_int_div_zero 0
	.end_amdhsa_kernel
	.section	.text._Z12ratt8_kernelIdEvPKT_S2_PS0_S2_S0_,"axG",@progbits,_Z12ratt8_kernelIdEvPKT_S2_PS0_S2_S0_,comdat
.Lfunc_end36:
	.size	_Z12ratt8_kernelIdEvPKT_S2_PS0_S2_S0_, .Lfunc_end36-_Z12ratt8_kernelIdEvPKT_S2_PS0_S2_S0_
                                        ; -- End function
	.section	.AMDGPU.csdata,"",@progbits
; Kernel info:
; codeLenInByte = 6628
; NumSgprs: 18
; NumVgprs: 49
; ScratchSize: 0
; MemoryBound: 0
; FloatMode: 240
; IeeeMode: 1
; LDSByteSize: 0 bytes/workgroup (compile time only)
; SGPRBlocks: 2
; VGPRBlocks: 6
; NumSGPRsForWavesPerEU: 18
; NumVGPRsForWavesPerEU: 49
; Occupancy: 16
; WaveLimiterHint : 0
; COMPUTE_PGM_RSRC2:SCRATCH_EN: 0
; COMPUTE_PGM_RSRC2:USER_SGPR: 15
; COMPUTE_PGM_RSRC2:TRAP_HANDLER: 0
; COMPUTE_PGM_RSRC2:TGID_X_EN: 1
; COMPUTE_PGM_RSRC2:TGID_Y_EN: 0
; COMPUTE_PGM_RSRC2:TGID_Z_EN: 0
; COMPUTE_PGM_RSRC2:TIDIG_COMP_CNT: 0
	.section	.text._Z12ratt9_kernelIdEvPKT_S2_PS0_S2_S0_,"axG",@progbits,_Z12ratt9_kernelIdEvPKT_S2_PS0_S2_S0_,comdat
	.protected	_Z12ratt9_kernelIdEvPKT_S2_PS0_S2_S0_ ; -- Begin function _Z12ratt9_kernelIdEvPKT_S2_PS0_S2_S0_
	.globl	_Z12ratt9_kernelIdEvPKT_S2_PS0_S2_S0_
	.p2align	8
	.type	_Z12ratt9_kernelIdEvPKT_S2_PS0_S2_S0_,@function
_Z12ratt9_kernelIdEvPKT_S2_PS0_S2_S0_:  ; @_Z12ratt9_kernelIdEvPKT_S2_PS0_S2_S0_
; %bb.0:
	s_clause 0x3
	s_load_b256 s[4:11], s[0:1], 0x0
	s_load_b64 s[2:3], s[0:1], 0x20
	s_load_b32 s12, s[0:1], 0x28
	s_load_b32 s0, s[0:1], 0x34
	s_waitcnt lgkmcnt(0)
	s_and_b32 s13, s0, 0xffff
	s_brev_b32 s0, 12
	v_mad_u64_u32 v[1:2], null, s15, s13, v[0:1]
	v_mov_b32_e32 v2, 0
	s_mov_b32 s1, 0x4193d2c6
	s_delay_alu instid0(VALU_DEP_1) | instskip(NEXT) | instid1(VALU_DEP_1)
	v_lshlrev_b64 v[19:20], 3, v[1:2]
	v_add_co_u32 v3, vcc_lo, s4, v19
	s_delay_alu instid0(VALU_DEP_2) | instskip(SKIP_4) | instid1(SALU_CYCLE_1)
	v_add_co_ci_u32_e32 v4, vcc_lo, s5, v20, vcc_lo
	global_load_b64 v[3:4], v[3:4], off
	s_waitcnt vmcnt(0)
	v_mul_f64 v[3:4], v[3:4], s[2:3]
	s_mul_i32 s2, s12, s13
	s_mul_i32 s4, s2, 0x9a
	;; [unrolled: 1-line block ×3, first 2 shown]
	s_delay_alu instid0(VALU_DEP_1) | instskip(SKIP_2) | instid1(VALU_DEP_1)
	v_mul_f64 v[3:4], v[3:4], s[0:1]
	s_mov_b32 s0, 0x4357691b
	s_mov_b32 s1, 0x479e17b8
	v_div_scale_f64 v[5:6], null, v[3:4], v[3:4], 1.0
	s_delay_alu instid0(VALU_DEP_1) | instskip(SKIP_2) | instid1(VALU_DEP_1)
	v_rcp_f64_e32 v[7:8], v[5:6]
	s_waitcnt_depctr 0xfff
	v_fma_f64 v[9:10], -v[5:6], v[7:8], 1.0
	v_fma_f64 v[7:8], v[7:8], v[9:10], v[7:8]
	s_delay_alu instid0(VALU_DEP_1) | instskip(NEXT) | instid1(VALU_DEP_1)
	v_fma_f64 v[9:10], -v[5:6], v[7:8], 1.0
	v_fma_f64 v[7:8], v[7:8], v[9:10], v[7:8]
	v_div_scale_f64 v[9:10], vcc_lo, 1.0, v[3:4], 1.0
	s_delay_alu instid0(VALU_DEP_1) | instskip(NEXT) | instid1(VALU_DEP_1)
	v_mul_f64 v[11:12], v[9:10], v[7:8]
	v_fma_f64 v[5:6], -v[5:6], v[11:12], v[9:10]
	v_mov_b32_e32 v10, v2
	s_delay_alu instid0(VALU_DEP_2) | instskip(NEXT) | instid1(VALU_DEP_1)
	v_div_fmas_f64 v[5:6], v[5:6], v[7:8], v[11:12]
	v_div_fixup_f64 v[3:4], v[5:6], v[3:4], 1.0
	s_delay_alu instid0(VALU_DEP_1) | instskip(SKIP_2) | instid1(VALU_DEP_2)
	v_mul_f64 v[5:6], 0x412eec04, v[3:4]
	v_mad_u64_u32 v[3:4], null, s2, 6, v[1:2]
	v_dual_mov_b32 v4, v2 :: v_dual_add_nc_u32 v1, s2, v1
	v_lshl_add_u32 v9, s2, 4, v3
	s_delay_alu instid0(VALU_DEP_2) | instskip(NEXT) | instid1(VALU_DEP_2)
	v_lshlrev_b64 v[7:8], 3, v[3:4]
	v_mad_u64_u32 v[11:12], null, s2, -15, v[9:10]
	v_mov_b32_e32 v12, v2
	v_lshlrev_b64 v[3:4], 3, v[9:10]
	s_delay_alu instid0(VALU_DEP_4) | instskip(SKIP_1) | instid1(VALU_DEP_4)
	v_add_co_u32 v7, vcc_lo, s10, v7
	v_add_co_ci_u32_e32 v8, vcc_lo, s11, v8, vcc_lo
	v_lshlrev_b64 v[9:10], 3, v[11:12]
	s_delay_alu instid0(VALU_DEP_4)
	v_add_co_u32 v3, vcc_lo, s10, v3
	v_add_co_ci_u32_e32 v4, vcc_lo, s11, v4, vcc_lo
	global_load_b64 v[7:8], v[7:8], off
	v_add_co_u32 v9, vcc_lo, s10, v9
	v_add_co_ci_u32_e32 v10, vcc_lo, s11, v10, vcc_lo
	global_load_b64 v[15:16], v[9:10], off
	v_mad_u64_u32 v[9:10], null, s2, 14, v[11:12]
	v_mov_b32_e32 v10, v2
	global_load_b64 v[3:4], v[3:4], off
	v_lshlrev_b64 v[10:11], 3, v[9:10]
	s_delay_alu instid0(VALU_DEP_1) | instskip(NEXT) | instid1(VALU_DEP_2)
	v_add_co_u32 v10, vcc_lo, s10, v10
	v_add_co_ci_u32_e32 v11, vcc_lo, s11, v11, vcc_lo
	global_load_b64 v[25:26], v[10:11], off
	s_waitcnt vmcnt(1)
	v_mul_f64 v[17:18], v[7:8], v[3:4]
	s_waitcnt vmcnt(0)
	v_mul_f64 v[10:11], v[15:16], v[25:26]
	s_delay_alu instid0(VALU_DEP_1) | instskip(NEXT) | instid1(VALU_DEP_1)
	v_div_scale_f64 v[12:13], null, v[10:11], v[10:11], 1.0
	v_rcp_f64_e32 v[21:22], v[12:13]
	s_waitcnt_depctr 0xfff
	v_fma_f64 v[23:24], -v[12:13], v[21:22], 1.0
	s_delay_alu instid0(VALU_DEP_1) | instskip(NEXT) | instid1(VALU_DEP_1)
	v_fma_f64 v[21:22], v[21:22], v[23:24], v[21:22]
	v_fma_f64 v[23:24], -v[12:13], v[21:22], 1.0
	s_delay_alu instid0(VALU_DEP_1) | instskip(SKIP_1) | instid1(VALU_DEP_1)
	v_fma_f64 v[21:22], v[21:22], v[23:24], v[21:22]
	v_div_scale_f64 v[23:24], vcc_lo, 1.0, v[10:11], 1.0
	v_mul_f64 v[27:28], v[23:24], v[21:22]
	s_delay_alu instid0(VALU_DEP_1) | instskip(NEXT) | instid1(VALU_DEP_1)
	v_fma_f64 v[12:13], -v[12:13], v[27:28], v[23:24]
	v_div_fmas_f64 v[12:13], v[12:13], v[21:22], v[27:28]
	s_delay_alu instid0(VALU_DEP_1) | instskip(SKIP_1) | instid1(VALU_DEP_1)
	v_div_fixup_f64 v[10:11], v[12:13], v[10:11], 1.0
	v_dual_mov_b32 v13, v2 :: v_dual_add_nc_u32 v12, s4, v9
	v_lshlrev_b64 v[13:14], 3, v[12:13]
	s_delay_alu instid0(VALU_DEP_1) | instskip(NEXT) | instid1(VALU_DEP_2)
	v_add_co_u32 v21, vcc_lo, s6, v13
	v_add_co_ci_u32_e32 v22, vcc_lo, s7, v14, vcc_lo
	v_add_co_u32 v13, vcc_lo, s8, v13
	v_add_co_ci_u32_e32 v14, vcc_lo, s9, v14, vcc_lo
	global_load_b64 v[21:22], v[21:22], off
	v_mul_f64 v[10:11], v[17:18], v[10:11]
	s_delay_alu instid0(VALU_DEP_1) | instskip(SKIP_1) | instid1(VALU_DEP_1)
	v_min_f64 v[9:10], v[10:11], s[0:1]
	s_waitcnt vmcnt(0)
	v_mul_f64 v[9:10], v[21:22], v[9:10]
	global_store_b64 v[13:14], v[9:10], off
	v_dual_mov_b32 v10, v2 :: v_dual_add_nc_u32 v9, s3, v12
	s_delay_alu instid0(VALU_DEP_1) | instskip(SKIP_2) | instid1(VALU_DEP_2)
	v_mad_u64_u32 v[13:14], null, s2, 7, v[9:10]
	v_mov_b32_e32 v14, v2
	v_lshlrev_b64 v[11:12], 3, v[9:10]
	v_mad_u64_u32 v[23:24], null, s2, 5, v[13:14]
	v_mov_b32_e32 v24, v2
	v_lshlrev_b64 v[9:10], 3, v[13:14]
	s_delay_alu instid0(VALU_DEP_4) | instskip(SKIP_1) | instid1(VALU_DEP_4)
	v_add_co_u32 v11, vcc_lo, s10, v11
	v_add_co_ci_u32_e32 v12, vcc_lo, s11, v12, vcc_lo
	v_lshlrev_b64 v[13:14], 3, v[23:24]
	s_delay_alu instid0(VALU_DEP_4)
	v_add_co_u32 v9, vcc_lo, s10, v9
	v_add_co_ci_u32_e32 v10, vcc_lo, s11, v10, vcc_lo
	global_load_b64 v[11:12], v[11:12], off
	v_add_co_u32 v13, vcc_lo, s10, v13
	v_add_co_ci_u32_e32 v14, vcc_lo, s11, v14, vcc_lo
	s_clause 0x1
	global_load_b64 v[13:14], v[13:14], off
	global_load_b64 v[9:10], v[9:10], off
	s_waitcnt vmcnt(0)
	v_mul_f64 v[21:22], v[11:12], v[9:10]
	s_delay_alu instid0(VALU_DEP_1) | instskip(NEXT) | instid1(VALU_DEP_1)
	v_mul_f64 v[21:22], v[21:22], v[13:14]
	v_mul_f64 v[21:22], v[5:6], v[21:22]
	s_delay_alu instid0(VALU_DEP_1) | instskip(NEXT) | instid1(VALU_DEP_1)
	v_div_scale_f64 v[27:28], null, v[21:22], v[21:22], 1.0
	v_rcp_f64_e32 v[29:30], v[27:28]
	s_waitcnt_depctr 0xfff
	v_fma_f64 v[31:32], -v[27:28], v[29:30], 1.0
	s_delay_alu instid0(VALU_DEP_1) | instskip(NEXT) | instid1(VALU_DEP_1)
	v_fma_f64 v[29:30], v[29:30], v[31:32], v[29:30]
	v_fma_f64 v[31:32], -v[27:28], v[29:30], 1.0
	s_delay_alu instid0(VALU_DEP_1) | instskip(SKIP_1) | instid1(VALU_DEP_1)
	v_fma_f64 v[29:30], v[29:30], v[31:32], v[29:30]
	v_div_scale_f64 v[31:32], vcc_lo, 1.0, v[21:22], 1.0
	v_mul_f64 v[33:34], v[31:32], v[29:30]
	s_delay_alu instid0(VALU_DEP_1) | instskip(NEXT) | instid1(VALU_DEP_1)
	v_fma_f64 v[27:28], -v[27:28], v[33:34], v[31:32]
	v_div_fmas_f64 v[27:28], v[27:28], v[29:30], v[33:34]
	s_delay_alu instid0(VALU_DEP_1) | instskip(NEXT) | instid1(VALU_DEP_1)
	v_div_fixup_f64 v[21:22], v[27:28], v[21:22], 1.0
	v_mul_f64 v[17:18], v[17:18], v[21:22]
	v_mad_u64_u32 v[21:22], null, 0xa0, s2, v[23:24]
	v_mov_b32_e32 v22, v2
	s_delay_alu instid0(VALU_DEP_1) | instskip(NEXT) | instid1(VALU_DEP_1)
	v_lshlrev_b64 v[23:24], 3, v[21:22]
	v_add_co_u32 v27, vcc_lo, s6, v23
	s_delay_alu instid0(VALU_DEP_2)
	v_add_co_ci_u32_e32 v28, vcc_lo, s7, v24, vcc_lo
	v_add_co_u32 v23, vcc_lo, s8, v23
	v_add_co_ci_u32_e32 v24, vcc_lo, s9, v24, vcc_lo
	global_load_b64 v[27:28], v[27:28], off
	v_min_f64 v[17:18], v[17:18], s[0:1]
	s_waitcnt vmcnt(0)
	s_delay_alu instid0(VALU_DEP_1) | instskip(SKIP_4) | instid1(VALU_DEP_2)
	v_mul_f64 v[17:18], v[27:28], v[17:18]
	global_store_b64 v[23:24], v[17:18], off
	v_mad_u64_u32 v[23:24], null, 0xffffff67, s2, v[21:22]
	v_mov_b32_e32 v24, v2
	v_mul_f64 v[17:18], v[3:4], v[15:16]
	v_lshlrev_b64 v[21:22], 3, v[23:24]
	s_delay_alu instid0(VALU_DEP_1) | instskip(NEXT) | instid1(VALU_DEP_2)
	v_add_co_u32 v21, vcc_lo, s10, v21
	v_add_co_ci_u32_e32 v22, vcc_lo, s11, v22, vcc_lo
	global_load_b64 v[27:28], v[21:22], off
	s_waitcnt vmcnt(0)
	v_mul_f64 v[21:22], v[7:8], v[27:28]
	s_delay_alu instid0(VALU_DEP_1) | instskip(NEXT) | instid1(VALU_DEP_1)
	v_div_scale_f64 v[29:30], null, v[21:22], v[21:22], 1.0
	v_rcp_f64_e32 v[31:32], v[29:30]
	s_waitcnt_depctr 0xfff
	v_fma_f64 v[33:34], -v[29:30], v[31:32], 1.0
	s_delay_alu instid0(VALU_DEP_1) | instskip(NEXT) | instid1(VALU_DEP_1)
	v_fma_f64 v[31:32], v[31:32], v[33:34], v[31:32]
	v_fma_f64 v[33:34], -v[29:30], v[31:32], 1.0
	s_delay_alu instid0(VALU_DEP_1) | instskip(SKIP_1) | instid1(VALU_DEP_1)
	v_fma_f64 v[31:32], v[31:32], v[33:34], v[31:32]
	v_div_scale_f64 v[33:34], vcc_lo, 1.0, v[21:22], 1.0
	v_mul_f64 v[35:36], v[33:34], v[31:32]
	s_delay_alu instid0(VALU_DEP_1) | instskip(NEXT) | instid1(VALU_DEP_1)
	v_fma_f64 v[29:30], -v[29:30], v[35:36], v[33:34]
	v_div_fmas_f64 v[29:30], v[29:30], v[31:32], v[35:36]
	s_delay_alu instid0(VALU_DEP_1) | instskip(NEXT) | instid1(VALU_DEP_1)
	v_div_fixup_f64 v[21:22], v[29:30], v[21:22], 1.0
	v_mul_f64 v[17:18], v[17:18], v[21:22]
	v_dual_mov_b32 v22, v2 :: v_dual_add_nc_u32 v21, s4, v23
	s_lshl_b32 s4, s2, 1
	s_delay_alu instid0(VALU_DEP_1) | instskip(NEXT) | instid1(VALU_DEP_1)
	v_lshlrev_b64 v[23:24], 3, v[21:22]
	v_add_co_u32 v29, vcc_lo, s6, v23
	s_delay_alu instid0(VALU_DEP_2)
	v_add_co_ci_u32_e32 v30, vcc_lo, s7, v24, vcc_lo
	v_add_co_u32 v23, vcc_lo, s8, v23
	v_add_co_ci_u32_e32 v24, vcc_lo, s9, v24, vcc_lo
	global_load_b64 v[29:30], v[29:30], off
	v_min_f64 v[17:18], v[17:18], s[0:1]
	s_waitcnt vmcnt(0)
	s_delay_alu instid0(VALU_DEP_1) | instskip(SKIP_3) | instid1(VALU_DEP_1)
	v_mul_f64 v[17:18], v[29:30], v[17:18]
	global_store_b64 v[23:24], v[17:18], off
	v_mad_u64_u32 v[17:18], null, 0xffffff5e, s2, v[21:22]
	v_mov_b32_e32 v18, v2
	v_lshlrev_b64 v[21:22], 3, v[17:18]
	v_subrev_nc_u32_e32 v17, s4, v17
	s_mul_i32 s4, s2, 0xb2
	s_delay_alu instid0(VALU_DEP_2) | instskip(NEXT) | instid1(VALU_DEP_3)
	v_add_co_u32 v21, vcc_lo, s10, v21
	v_add_co_ci_u32_e32 v22, vcc_lo, s11, v22, vcc_lo
	global_load_b64 v[41:42], v[21:22], off
	v_lshlrev_b64 v[21:22], 3, v[17:18]
	s_delay_alu instid0(VALU_DEP_1) | instskip(NEXT) | instid1(VALU_DEP_2)
	v_add_co_u32 v21, vcc_lo, s10, v21
	v_add_co_ci_u32_e32 v22, vcc_lo, s11, v22, vcc_lo
	global_load_b64 v[45:46], v[21:22], off
	s_waitcnt vmcnt(1)
	v_mul_f64 v[29:30], v[3:4], v[41:42]
	s_waitcnt vmcnt(0)
	v_mul_f64 v[21:22], v[27:28], v[45:46]
	s_delay_alu instid0(VALU_DEP_1) | instskip(NEXT) | instid1(VALU_DEP_1)
	v_div_scale_f64 v[23:24], null, v[21:22], v[21:22], 1.0
	v_rcp_f64_e32 v[31:32], v[23:24]
	s_waitcnt_depctr 0xfff
	v_fma_f64 v[33:34], -v[23:24], v[31:32], 1.0
	s_delay_alu instid0(VALU_DEP_1) | instskip(NEXT) | instid1(VALU_DEP_1)
	v_fma_f64 v[31:32], v[31:32], v[33:34], v[31:32]
	v_fma_f64 v[33:34], -v[23:24], v[31:32], 1.0
	s_delay_alu instid0(VALU_DEP_1) | instskip(SKIP_1) | instid1(VALU_DEP_1)
	v_fma_f64 v[31:32], v[31:32], v[33:34], v[31:32]
	v_div_scale_f64 v[33:34], vcc_lo, 1.0, v[21:22], 1.0
	v_mul_f64 v[35:36], v[33:34], v[31:32]
	s_delay_alu instid0(VALU_DEP_1) | instskip(NEXT) | instid1(VALU_DEP_1)
	v_fma_f64 v[23:24], -v[23:24], v[35:36], v[33:34]
	v_div_fmas_f64 v[23:24], v[23:24], v[31:32], v[35:36]
	s_delay_alu instid0(VALU_DEP_1) | instskip(SKIP_2) | instid1(VALU_DEP_1)
	v_div_fixup_f64 v[21:22], v[23:24], v[21:22], 1.0
	v_mad_u64_u32 v[23:24], null, 0xa5, s2, v[17:18]
	v_mov_b32_e32 v24, v2
	v_lshlrev_b64 v[17:18], 3, v[23:24]
	s_delay_alu instid0(VALU_DEP_1) | instskip(NEXT) | instid1(VALU_DEP_2)
	v_add_co_u32 v23, vcc_lo, s6, v17
	v_add_co_ci_u32_e32 v24, vcc_lo, s7, v18, vcc_lo
	v_add_co_u32 v17, vcc_lo, s8, v17
	v_add_co_ci_u32_e32 v18, vcc_lo, s9, v18, vcc_lo
	global_load_b64 v[23:24], v[23:24], off
	v_mul_f64 v[21:22], v[29:30], v[21:22]
	s_delay_alu instid0(VALU_DEP_1) | instskip(SKIP_1) | instid1(VALU_DEP_1)
	v_min_f64 v[21:22], v[21:22], s[0:1]
	s_waitcnt vmcnt(0)
	v_mul_f64 v[21:22], v[23:24], v[21:22]
	global_store_b64 v[17:18], v[21:22], off
	v_lshlrev_b64 v[17:18], 3, v[1:2]
	v_add_nc_u32_e32 v1, s4, v1
	s_delay_alu instid0(VALU_DEP_2) | instskip(NEXT) | instid1(VALU_DEP_3)
	v_add_co_u32 v17, vcc_lo, s10, v17
	v_add_co_ci_u32_e32 v18, vcc_lo, s11, v18, vcc_lo
	v_add_co_u32 v19, vcc_lo, s10, v19
	v_add_co_ci_u32_e32 v20, vcc_lo, s11, v20, vcc_lo
	s_clause 0x1
	global_load_b64 v[17:18], v[17:18], off
	global_load_b64 v[19:20], v[19:20], off
	s_waitcnt vmcnt(1)
	v_mul_f64 v[21:22], v[27:28], v[17:18]
	s_waitcnt vmcnt(0)
	v_mul_f64 v[23:24], v[3:4], v[19:20]
	s_delay_alu instid0(VALU_DEP_1) | instskip(NEXT) | instid1(VALU_DEP_1)
	v_div_scale_f64 v[31:32], null, v[23:24], v[23:24], 1.0
	v_rcp_f64_e32 v[33:34], v[31:32]
	s_waitcnt_depctr 0xfff
	v_fma_f64 v[35:36], -v[31:32], v[33:34], 1.0
	s_delay_alu instid0(VALU_DEP_1) | instskip(NEXT) | instid1(VALU_DEP_1)
	v_fma_f64 v[33:34], v[33:34], v[35:36], v[33:34]
	v_fma_f64 v[35:36], -v[31:32], v[33:34], 1.0
	s_delay_alu instid0(VALU_DEP_1) | instskip(SKIP_1) | instid1(VALU_DEP_1)
	v_fma_f64 v[33:34], v[33:34], v[35:36], v[33:34]
	v_div_scale_f64 v[35:36], vcc_lo, 1.0, v[23:24], 1.0
	v_mul_f64 v[37:38], v[35:36], v[33:34]
	s_delay_alu instid0(VALU_DEP_1) | instskip(NEXT) | instid1(VALU_DEP_1)
	v_fma_f64 v[31:32], -v[31:32], v[37:38], v[35:36]
	v_div_fmas_f64 v[31:32], v[31:32], v[33:34], v[37:38]
	s_delay_alu instid0(VALU_DEP_1) | instskip(NEXT) | instid1(VALU_DEP_1)
	v_div_fixup_f64 v[23:24], v[31:32], v[23:24], 1.0
	v_mul_f64 v[21:22], v[21:22], v[23:24]
	v_lshlrev_b64 v[23:24], 3, v[1:2]
	s_delay_alu instid0(VALU_DEP_1) | instskip(NEXT) | instid1(VALU_DEP_2)
	v_add_co_u32 v31, vcc_lo, s6, v23
	v_add_co_ci_u32_e32 v32, vcc_lo, s7, v24, vcc_lo
	v_add_co_u32 v23, vcc_lo, s8, v23
	v_add_co_ci_u32_e32 v24, vcc_lo, s9, v24, vcc_lo
	global_load_b64 v[31:32], v[31:32], off
	v_min_f64 v[21:22], v[21:22], s[0:1]
	s_waitcnt vmcnt(0)
	s_delay_alu instid0(VALU_DEP_1)
	v_mul_f64 v[21:22], v[31:32], v[21:22]
	v_mul_f64 v[31:32], v[3:4], v[11:12]
	global_store_b64 v[23:24], v[21:22], off
	v_div_scale_f64 v[33:34], null, v[31:32], v[31:32], 1.0
	v_mad_u64_u32 v[23:24], null, 0xffffff4f, s2, v[1:2]
	v_mov_b32_e32 v24, v2
	s_delay_alu instid0(VALU_DEP_1) | instskip(NEXT) | instid1(VALU_DEP_1)
	v_lshlrev_b64 v[0:1], 3, v[23:24]
	v_add_co_u32 v0, vcc_lo, s10, v0
	s_delay_alu instid0(VALU_DEP_2) | instskip(SKIP_4) | instid1(VALU_DEP_1)
	v_add_co_ci_u32_e32 v1, vcc_lo, s11, v1, vcc_lo
	global_load_b64 v[21:22], v[0:1], off
	v_rcp_f64_e32 v[35:36], v[33:34]
	s_waitcnt_depctr 0xfff
	v_fma_f64 v[37:38], -v[33:34], v[35:36], 1.0
	v_fma_f64 v[35:36], v[35:36], v[37:38], v[35:36]
	s_delay_alu instid0(VALU_DEP_1) | instskip(NEXT) | instid1(VALU_DEP_1)
	v_fma_f64 v[37:38], -v[33:34], v[35:36], 1.0
	v_fma_f64 v[35:36], v[35:36], v[37:38], v[35:36]
	v_div_scale_f64 v[37:38], vcc_lo, 1.0, v[31:32], 1.0
	s_delay_alu instid0(VALU_DEP_1) | instskip(NEXT) | instid1(VALU_DEP_1)
	v_mul_f64 v[39:40], v[37:38], v[35:36]
	v_fma_f64 v[33:34], -v[33:34], v[39:40], v[37:38]
	s_delay_alu instid0(VALU_DEP_1) | instskip(SKIP_2) | instid1(VALU_DEP_2)
	v_div_fmas_f64 v[33:34], v[33:34], v[35:36], v[39:40]
	s_waitcnt vmcnt(0)
	v_mul_f64 v[0:1], v[27:28], v[21:22]
	v_div_fixup_f64 v[31:32], v[33:34], v[31:32], 1.0
	s_delay_alu instid0(VALU_DEP_1) | instskip(SKIP_2) | instid1(VALU_DEP_1)
	v_mul_f64 v[31:32], v[31:32], v[0:1]
	v_add_nc_u32_e32 v1, s4, v23
	s_mul_i32 s4, s2, 0xffffff5a
	v_lshlrev_b64 v[23:24], 3, v[1:2]
	s_delay_alu instid0(VALU_DEP_1) | instskip(NEXT) | instid1(VALU_DEP_2)
	v_add_co_u32 v33, vcc_lo, s6, v23
	v_add_co_ci_u32_e32 v34, vcc_lo, s7, v24, vcc_lo
	v_add_co_u32 v23, vcc_lo, s8, v23
	v_add_co_ci_u32_e32 v24, vcc_lo, s9, v24, vcc_lo
	global_load_b64 v[33:34], v[33:34], off
	v_min_f64 v[31:32], v[31:32], s[0:1]
	s_waitcnt vmcnt(0)
	s_delay_alu instid0(VALU_DEP_1) | instskip(SKIP_2) | instid1(VALU_DEP_1)
	v_mul_f64 v[31:32], v[33:34], v[31:32]
	v_mad_u64_u32 v[33:34], null, 0xffffff51, s2, v[1:2]
	v_mov_b32_e32 v34, v2
	v_lshlrev_b64 v[0:1], 3, v[33:34]
	s_delay_alu instid0(VALU_DEP_1) | instskip(NEXT) | instid1(VALU_DEP_2)
	v_add_co_u32 v0, vcc_lo, s10, v0
	v_add_co_ci_u32_e32 v1, vcc_lo, s11, v1, vcc_lo
	global_store_b64 v[23:24], v[31:32], off
	global_load_b64 v[23:24], v[0:1], off
	v_mul_f64 v[31:32], v[11:12], v[27:28]
	s_waitcnt vmcnt(0)
	v_mul_f64 v[0:1], v[3:4], v[23:24]
	s_delay_alu instid0(VALU_DEP_1) | instskip(NEXT) | instid1(VALU_DEP_1)
	v_div_scale_f64 v[34:35], null, v[0:1], v[0:1], 1.0
	v_rcp_f64_e32 v[36:37], v[34:35]
	s_waitcnt_depctr 0xfff
	v_fma_f64 v[38:39], -v[34:35], v[36:37], 1.0
	s_delay_alu instid0(VALU_DEP_1) | instskip(NEXT) | instid1(VALU_DEP_1)
	v_fma_f64 v[36:37], v[36:37], v[38:39], v[36:37]
	v_fma_f64 v[38:39], -v[34:35], v[36:37], 1.0
	s_delay_alu instid0(VALU_DEP_1) | instskip(SKIP_1) | instid1(VALU_DEP_1)
	v_fma_f64 v[36:37], v[36:37], v[38:39], v[36:37]
	v_div_scale_f64 v[38:39], vcc_lo, 1.0, v[0:1], 1.0
	v_mul_f64 v[43:44], v[38:39], v[36:37]
	s_delay_alu instid0(VALU_DEP_1) | instskip(NEXT) | instid1(VALU_DEP_1)
	v_fma_f64 v[34:35], -v[34:35], v[43:44], v[38:39]
	v_div_fmas_f64 v[34:35], v[34:35], v[36:37], v[43:44]
	s_delay_alu instid0(VALU_DEP_1) | instskip(NEXT) | instid1(VALU_DEP_1)
	v_div_fixup_f64 v[0:1], v[34:35], v[0:1], 1.0
	v_mul_f64 v[0:1], v[31:32], v[0:1]
	v_mad_u64_u32 v[31:32], null, 0xb0, s2, v[33:34]
	v_mov_b32_e32 v32, v2
	s_delay_alu instid0(VALU_DEP_1) | instskip(NEXT) | instid1(VALU_DEP_1)
	v_lshlrev_b64 v[32:33], 3, v[31:32]
	v_add_co_u32 v34, vcc_lo, s6, v32
	s_delay_alu instid0(VALU_DEP_2)
	v_add_co_ci_u32_e32 v35, vcc_lo, s7, v33, vcc_lo
	v_add_co_u32 v32, vcc_lo, s8, v32
	v_add_co_ci_u32_e32 v33, vcc_lo, s9, v33, vcc_lo
	global_load_b64 v[34:35], v[34:35], off
	v_min_f64 v[0:1], v[0:1], s[0:1]
	s_waitcnt vmcnt(0)
	s_delay_alu instid0(VALU_DEP_1) | instskip(SKIP_4) | instid1(VALU_DEP_1)
	v_mul_f64 v[0:1], v[34:35], v[0:1]
	global_store_b64 v[32:33], v[0:1], off
	v_mul_f64 v[33:34], v[3:4], v[9:10]
	v_add_nc_u32_e32 v1, s3, v31
	s_mul_i32 s3, s2, 0xa7
	v_lshlrev_b64 v[31:32], 3, v[1:2]
	s_delay_alu instid0(VALU_DEP_1) | instskip(NEXT) | instid1(VALU_DEP_2)
	v_add_co_u32 v31, vcc_lo, s10, v31
	v_add_co_ci_u32_e32 v32, vcc_lo, s11, v32, vcc_lo
	global_load_b64 v[31:32], v[31:32], off
	v_div_scale_f64 v[35:36], null, v[33:34], v[33:34], 1.0
	s_delay_alu instid0(VALU_DEP_1) | instskip(SKIP_2) | instid1(VALU_DEP_1)
	v_rcp_f64_e32 v[37:38], v[35:36]
	s_waitcnt_depctr 0xfff
	v_fma_f64 v[39:40], -v[35:36], v[37:38], 1.0
	v_fma_f64 v[37:38], v[37:38], v[39:40], v[37:38]
	s_delay_alu instid0(VALU_DEP_1) | instskip(NEXT) | instid1(VALU_DEP_1)
	v_fma_f64 v[39:40], -v[35:36], v[37:38], 1.0
	v_fma_f64 v[37:38], v[37:38], v[39:40], v[37:38]
	v_div_scale_f64 v[39:40], vcc_lo, 1.0, v[33:34], 1.0
	s_delay_alu instid0(VALU_DEP_1) | instskip(NEXT) | instid1(VALU_DEP_1)
	v_mul_f64 v[43:44], v[39:40], v[37:38]
	v_fma_f64 v[35:36], -v[35:36], v[43:44], v[39:40]
	s_waitcnt vmcnt(0)
	v_mul_f64 v[31:32], v[27:28], v[31:32]
	s_delay_alu instid0(VALU_DEP_2) | instskip(NEXT) | instid1(VALU_DEP_1)
	v_div_fmas_f64 v[35:36], v[35:36], v[37:38], v[43:44]
	v_div_fixup_f64 v[35:36], v[35:36], v[33:34], 1.0
	v_mad_u64_u32 v[33:34], null, 0xac, s2, v[1:2]
	v_mov_b32_e32 v34, v2
	s_delay_alu instid0(VALU_DEP_1) | instskip(NEXT) | instid1(VALU_DEP_1)
	v_lshlrev_b64 v[0:1], 3, v[33:34]
	v_add_co_u32 v37, vcc_lo, s6, v0
	s_delay_alu instid0(VALU_DEP_2) | instskip(SKIP_4) | instid1(VALU_DEP_1)
	v_add_co_ci_u32_e32 v38, vcc_lo, s7, v1, vcc_lo
	v_add_co_u32 v0, vcc_lo, s8, v0
	v_add_co_ci_u32_e32 v1, vcc_lo, s9, v1, vcc_lo
	global_load_b64 v[37:38], v[37:38], off
	v_mul_f64 v[31:32], v[35:36], v[31:32]
	v_min_f64 v[31:32], v[31:32], s[0:1]
	s_waitcnt vmcnt(0)
	s_delay_alu instid0(VALU_DEP_1) | instskip(SKIP_4) | instid1(VALU_DEP_2)
	v_mul_f64 v[31:32], v[37:38], v[31:32]
	global_store_b64 v[0:1], v[31:32], off
	v_mad_u64_u32 v[31:32], null, 0xffffff56, s2, v[33:34]
	v_mov_b32_e32 v32, v2
	v_mul_f64 v[0:1], v[9:10], v[27:28]
	v_lshlrev_b64 v[27:28], 3, v[31:32]
	s_delay_alu instid0(VALU_DEP_1) | instskip(NEXT) | instid1(VALU_DEP_2)
	v_add_co_u32 v27, vcc_lo, s10, v27
	v_add_co_ci_u32_e32 v28, vcc_lo, s11, v28, vcc_lo
	global_load_b64 v[27:28], v[27:28], off
	s_waitcnt vmcnt(0)
	v_mul_f64 v[32:33], v[3:4], v[27:28]
	s_delay_alu instid0(VALU_DEP_1) | instskip(NEXT) | instid1(VALU_DEP_1)
	v_div_scale_f64 v[37:38], null, v[32:33], v[32:33], 1.0
	v_rcp_f64_e32 v[39:40], v[37:38]
	s_waitcnt_depctr 0xfff
	v_fma_f64 v[43:44], -v[37:38], v[39:40], 1.0
	s_delay_alu instid0(VALU_DEP_1) | instskip(NEXT) | instid1(VALU_DEP_1)
	v_fma_f64 v[39:40], v[39:40], v[43:44], v[39:40]
	v_fma_f64 v[43:44], -v[37:38], v[39:40], 1.0
	s_delay_alu instid0(VALU_DEP_1) | instskip(SKIP_1) | instid1(VALU_DEP_1)
	v_fma_f64 v[39:40], v[39:40], v[43:44], v[39:40]
	v_div_scale_f64 v[43:44], vcc_lo, 1.0, v[32:33], 1.0
	v_mul_f64 v[47:48], v[43:44], v[39:40]
	s_delay_alu instid0(VALU_DEP_1) | instskip(NEXT) | instid1(VALU_DEP_1)
	v_fma_f64 v[37:38], -v[37:38], v[47:48], v[43:44]
	v_div_fmas_f64 v[37:38], v[37:38], v[39:40], v[47:48]
	s_delay_alu instid0(VALU_DEP_1) | instskip(NEXT) | instid1(VALU_DEP_1)
	v_div_fixup_f64 v[32:33], v[37:38], v[32:33], 1.0
	v_mul_f64 v[0:1], v[0:1], v[32:33]
	v_mad_u64_u32 v[32:33], null, 0xab, s2, v[31:32]
	v_mov_b32_e32 v33, v2
	s_delay_alu instid0(VALU_DEP_1) | instskip(NEXT) | instid1(VALU_DEP_1)
	v_lshlrev_b64 v[37:38], 3, v[32:33]
	v_add_co_u32 v39, vcc_lo, s6, v37
	s_delay_alu instid0(VALU_DEP_2)
	v_add_co_ci_u32_e32 v40, vcc_lo, s7, v38, vcc_lo
	v_add_co_u32 v37, vcc_lo, s8, v37
	v_add_co_ci_u32_e32 v38, vcc_lo, s9, v38, vcc_lo
	global_load_b64 v[39:40], v[39:40], off
	v_min_f64 v[0:1], v[0:1], s[0:1]
	s_waitcnt vmcnt(0)
	s_delay_alu instid0(VALU_DEP_1) | instskip(SKIP_3) | instid1(VALU_DEP_1)
	v_mul_f64 v[0:1], v[39:40], v[0:1]
	global_store_b64 v[37:38], v[0:1], off
	v_mad_u64_u32 v[0:1], null, 0xffffff65, s2, v[32:33]
	v_mov_b32_e32 v1, v2
	v_lshlrev_b64 v[31:32], 3, v[0:1]
	v_add_nc_u32_e32 v1, s2, v0
	s_delay_alu instid0(VALU_DEP_1) | instskip(NEXT) | instid1(VALU_DEP_3)
	v_lshlrev_b64 v[33:34], 3, v[1:2]
	v_add_co_u32 v31, vcc_lo, s10, v31
	s_delay_alu instid0(VALU_DEP_4) | instskip(NEXT) | instid1(VALU_DEP_3)
	v_add_co_ci_u32_e32 v32, vcc_lo, s11, v32, vcc_lo
	v_add_co_u32 v33, vcc_lo, s10, v33
	s_delay_alu instid0(VALU_DEP_4)
	v_add_co_ci_u32_e32 v34, vcc_lo, s11, v34, vcc_lo
	s_clause 0x1
	global_load_b64 v[31:32], v[31:32], off
	global_load_b64 v[33:34], v[33:34], off
	s_waitcnt vmcnt(1)
	v_mul_f64 v[37:38], v[17:18], v[31:32]
	v_mul_f64 v[41:42], v[41:42], v[31:32]
	;; [unrolled: 1-line block ×3, first 2 shown]
	s_waitcnt vmcnt(0)
	v_div_scale_f64 v[43:44], null, v[33:34], v[33:34], 1.0
	v_mul_f64 v[45:46], v[45:46], v[33:34]
	v_mul_f64 v[39:40], v[5:6], v[37:38]
	s_delay_alu instid0(VALU_DEP_3) | instskip(SKIP_2) | instid1(VALU_DEP_1)
	v_rcp_f64_e32 v[47:48], v[43:44]
	s_waitcnt_depctr 0xfff
	v_fma_f64 v[49:50], -v[43:44], v[47:48], 1.0
	v_fma_f64 v[47:48], v[47:48], v[49:50], v[47:48]
	s_delay_alu instid0(VALU_DEP_1) | instskip(NEXT) | instid1(VALU_DEP_1)
	v_fma_f64 v[49:50], -v[43:44], v[47:48], 1.0
	v_fma_f64 v[47:48], v[47:48], v[49:50], v[47:48]
	v_div_scale_f64 v[49:50], vcc_lo, 1.0, v[33:34], 1.0
	s_delay_alu instid0(VALU_DEP_1) | instskip(NEXT) | instid1(VALU_DEP_1)
	v_mul_f64 v[51:52], v[49:50], v[47:48]
	v_fma_f64 v[43:44], -v[43:44], v[51:52], v[49:50]
	s_delay_alu instid0(VALU_DEP_1) | instskip(NEXT) | instid1(VALU_DEP_1)
	v_div_fmas_f64 v[43:44], v[43:44], v[47:48], v[51:52]
	v_div_fixup_f64 v[43:44], v[43:44], v[33:34], 1.0
	s_delay_alu instid0(VALU_DEP_1) | instskip(SKIP_2) | instid1(VALU_DEP_1)
	v_mul_f64 v[39:40], v[43:44], v[39:40]
	v_mad_u64_u32 v[43:44], null, 0x9b, s2, v[1:2]
	v_mov_b32_e32 v44, v2
	v_lshlrev_b64 v[0:1], 3, v[43:44]
	s_delay_alu instid0(VALU_DEP_1) | instskip(NEXT) | instid1(VALU_DEP_2)
	v_add_co_u32 v47, vcc_lo, s6, v0
	v_add_co_ci_u32_e32 v48, vcc_lo, s7, v1, vcc_lo
	v_add_co_u32 v0, vcc_lo, s8, v0
	v_add_co_ci_u32_e32 v1, vcc_lo, s9, v1, vcc_lo
	global_load_b64 v[47:48], v[47:48], off
	v_min_f64 v[39:40], v[39:40], s[0:1]
	s_waitcnt vmcnt(0)
	s_delay_alu instid0(VALU_DEP_1) | instskip(SKIP_3) | instid1(VALU_DEP_1)
	v_mul_f64 v[39:40], v[47:48], v[39:40]
	global_store_b64 v[0:1], v[39:40], off
	v_mad_u64_u32 v[0:1], null, 0xffffff5b, s2, v[43:44]
	v_mov_b32_e32 v1, v2
	v_lshlrev_b64 v[39:40], 3, v[0:1]
	s_delay_alu instid0(VALU_DEP_1) | instskip(NEXT) | instid1(VALU_DEP_2)
	v_add_co_u32 v39, vcc_lo, s10, v39
	v_add_co_ci_u32_e32 v40, vcc_lo, s11, v40, vcc_lo
	global_load_b64 v[39:40], v[39:40], off
	s_waitcnt vmcnt(0)
	v_mul_f64 v[39:40], v[27:28], v[39:40]
	s_delay_alu instid0(VALU_DEP_1) | instskip(NEXT) | instid1(VALU_DEP_1)
	v_div_scale_f64 v[43:44], null, v[39:40], v[39:40], 1.0
	v_rcp_f64_e32 v[47:48], v[43:44]
	s_waitcnt_depctr 0xfff
	v_fma_f64 v[49:50], -v[43:44], v[47:48], 1.0
	s_delay_alu instid0(VALU_DEP_1) | instskip(NEXT) | instid1(VALU_DEP_1)
	v_fma_f64 v[47:48], v[47:48], v[49:50], v[47:48]
	v_fma_f64 v[49:50], -v[43:44], v[47:48], 1.0
	s_delay_alu instid0(VALU_DEP_1) | instskip(SKIP_1) | instid1(VALU_DEP_1)
	v_fma_f64 v[47:48], v[47:48], v[49:50], v[47:48]
	v_div_scale_f64 v[49:50], vcc_lo, 1.0, v[39:40], 1.0
	v_mul_f64 v[51:52], v[49:50], v[47:48]
	s_delay_alu instid0(VALU_DEP_1) | instskip(NEXT) | instid1(VALU_DEP_1)
	v_fma_f64 v[43:44], -v[43:44], v[51:52], v[49:50]
	v_div_fmas_f64 v[43:44], v[43:44], v[47:48], v[51:52]
	v_mul_f64 v[47:48], v[7:8], v[31:32]
	s_delay_alu instid0(VALU_DEP_2) | instskip(NEXT) | instid1(VALU_DEP_1)
	v_div_fixup_f64 v[39:40], v[43:44], v[39:40], 1.0
	v_mul_f64 v[37:38], v[37:38], v[39:40]
	v_mad_u64_u32 v[39:40], null, 0xa6, s2, v[0:1]
	v_mov_b32_e32 v40, v2
	s_delay_alu instid0(VALU_DEP_1) | instskip(NEXT) | instid1(VALU_DEP_1)
	v_lshlrev_b64 v[0:1], 3, v[39:40]
	v_add_co_u32 v43, vcc_lo, s6, v0
	s_delay_alu instid0(VALU_DEP_2)
	v_add_co_ci_u32_e32 v44, vcc_lo, s7, v1, vcc_lo
	v_add_co_u32 v0, vcc_lo, s8, v0
	v_add_co_ci_u32_e32 v1, vcc_lo, s9, v1, vcc_lo
	global_load_b64 v[43:44], v[43:44], off
	v_min_f64 v[37:38], v[37:38], s[0:1]
	s_waitcnt vmcnt(0)
	s_delay_alu instid0(VALU_DEP_1) | instskip(SKIP_3) | instid1(VALU_DEP_1)
	v_mul_f64 v[37:38], v[43:44], v[37:38]
	global_store_b64 v[0:1], v[37:38], off
	v_mad_u64_u32 v[0:1], null, 0xffffff4a, s2, v[39:40]
	v_mov_b32_e32 v1, v2
	v_lshlrev_b64 v[37:38], 3, v[0:1]
	s_delay_alu instid0(VALU_DEP_1) | instskip(NEXT) | instid1(VALU_DEP_2)
	v_add_co_u32 v37, vcc_lo, s10, v37
	v_add_co_ci_u32_e32 v38, vcc_lo, s11, v38, vcc_lo
	global_load_b64 v[43:44], v[37:38], off
	s_waitcnt vmcnt(0)
	v_mul_f64 v[37:38], v[33:34], v[43:44]
	s_delay_alu instid0(VALU_DEP_1) | instskip(NEXT) | instid1(VALU_DEP_1)
	v_div_scale_f64 v[39:40], null, v[37:38], v[37:38], 1.0
	v_rcp_f64_e32 v[49:50], v[39:40]
	s_waitcnt_depctr 0xfff
	v_fma_f64 v[51:52], -v[39:40], v[49:50], 1.0
	s_delay_alu instid0(VALU_DEP_1) | instskip(NEXT) | instid1(VALU_DEP_1)
	v_fma_f64 v[49:50], v[49:50], v[51:52], v[49:50]
	v_fma_f64 v[51:52], -v[39:40], v[49:50], 1.0
	s_delay_alu instid0(VALU_DEP_1) | instskip(SKIP_1) | instid1(VALU_DEP_1)
	v_fma_f64 v[49:50], v[49:50], v[51:52], v[49:50]
	v_div_scale_f64 v[51:52], vcc_lo, 1.0, v[37:38], 1.0
	v_mul_f64 v[53:54], v[51:52], v[49:50]
	s_delay_alu instid0(VALU_DEP_1) | instskip(NEXT) | instid1(VALU_DEP_1)
	v_fma_f64 v[39:40], -v[39:40], v[53:54], v[51:52]
	v_div_fmas_f64 v[39:40], v[39:40], v[49:50], v[53:54]
	v_mad_u64_u32 v[49:50], null, 0xb7, s2, v[0:1]
	v_mov_b32_e32 v50, v2
	s_delay_alu instid0(VALU_DEP_1) | instskip(NEXT) | instid1(VALU_DEP_4)
	v_lshlrev_b64 v[0:1], 3, v[49:50]
	v_div_fixup_f64 v[37:38], v[39:40], v[37:38], 1.0
	s_delay_alu instid0(VALU_DEP_2) | instskip(NEXT) | instid1(VALU_DEP_3)
	v_add_co_u32 v39, vcc_lo, s6, v0
	v_add_co_ci_u32_e32 v40, vcc_lo, s7, v1, vcc_lo
	v_add_co_u32 v0, vcc_lo, s8, v0
	v_add_co_ci_u32_e32 v1, vcc_lo, s9, v1, vcc_lo
	global_load_b64 v[39:40], v[39:40], off
	v_mul_f64 v[37:38], v[47:48], v[37:38]
	s_delay_alu instid0(VALU_DEP_1) | instskip(SKIP_1) | instid1(VALU_DEP_1)
	v_min_f64 v[37:38], v[37:38], s[0:1]
	s_waitcnt vmcnt(0)
	v_mul_f64 v[37:38], v[39:40], v[37:38]
	v_mul_f64 v[39:40], v[11:12], v[13:14]
	;; [unrolled: 1-line block ×3, first 2 shown]
	global_store_b64 v[0:1], v[37:38], off
	v_add_nc_u32_e32 v1, s4, v49
	s_delay_alu instid0(VALU_DEP_1) | instskip(SKIP_1) | instid1(VALU_DEP_2)
	v_lshlrev_b64 v[37:38], 3, v[1:2]
	v_add_nc_u32_e32 v1, s3, v1
	v_add_co_u32 v37, vcc_lo, s10, v37
	s_delay_alu instid0(VALU_DEP_3) | instskip(SKIP_3) | instid1(VALU_DEP_1)
	v_add_co_ci_u32_e32 v38, vcc_lo, s11, v38, vcc_lo
	global_load_b64 v[37:38], v[37:38], off
	s_waitcnt vmcnt(0)
	v_mul_f64 v[49:50], v[39:40], v[37:38]
	v_mul_f64 v[49:50], v[5:6], v[49:50]
	s_delay_alu instid0(VALU_DEP_1) | instskip(NEXT) | instid1(VALU_DEP_1)
	v_div_scale_f64 v[51:52], null, v[49:50], v[49:50], 1.0
	v_rcp_f64_e32 v[53:54], v[51:52]
	s_waitcnt_depctr 0xfff
	v_fma_f64 v[55:56], -v[51:52], v[53:54], 1.0
	s_delay_alu instid0(VALU_DEP_1) | instskip(NEXT) | instid1(VALU_DEP_1)
	v_fma_f64 v[53:54], v[53:54], v[55:56], v[53:54]
	v_fma_f64 v[55:56], -v[51:52], v[53:54], 1.0
	s_delay_alu instid0(VALU_DEP_1) | instskip(SKIP_1) | instid1(VALU_DEP_1)
	v_fma_f64 v[53:54], v[53:54], v[55:56], v[53:54]
	v_div_scale_f64 v[55:56], vcc_lo, 1.0, v[49:50], 1.0
	v_mul_f64 v[57:58], v[55:56], v[53:54]
	s_delay_alu instid0(VALU_DEP_1) | instskip(NEXT) | instid1(VALU_DEP_1)
	v_fma_f64 v[51:52], -v[51:52], v[57:58], v[55:56]
	v_div_fmas_f64 v[51:52], v[51:52], v[53:54], v[57:58]
	s_delay_alu instid0(VALU_DEP_1) | instskip(NEXT) | instid1(VALU_DEP_1)
	v_div_fixup_f64 v[49:50], v[51:52], v[49:50], 1.0
	v_mul_f64 v[47:48], v[47:48], v[49:50]
	v_lshlrev_b64 v[49:50], 3, v[1:2]
	v_add_nc_u32_e32 v1, s2, v1
	s_delay_alu instid0(VALU_DEP_2) | instskip(NEXT) | instid1(VALU_DEP_3)
	v_add_co_u32 v51, vcc_lo, s6, v49
	v_add_co_ci_u32_e32 v52, vcc_lo, s7, v50, vcc_lo
	v_add_co_u32 v49, vcc_lo, s8, v49
	v_add_co_ci_u32_e32 v50, vcc_lo, s9, v50, vcc_lo
	global_load_b64 v[51:52], v[51:52], off
	v_min_f64 v[47:48], v[47:48], s[0:1]
	s_waitcnt vmcnt(0)
	s_delay_alu instid0(VALU_DEP_1) | instskip(SKIP_2) | instid1(VALU_DEP_1)
	v_mul_f64 v[47:48], v[51:52], v[47:48]
	global_store_b64 v[49:50], v[47:48], off
	v_div_scale_f64 v[47:48], null, v[45:46], v[45:46], 1.0
	v_rcp_f64_e32 v[49:50], v[47:48]
	s_waitcnt_depctr 0xfff
	v_fma_f64 v[51:52], -v[47:48], v[49:50], 1.0
	s_delay_alu instid0(VALU_DEP_1) | instskip(NEXT) | instid1(VALU_DEP_1)
	v_fma_f64 v[49:50], v[49:50], v[51:52], v[49:50]
	v_fma_f64 v[51:52], -v[47:48], v[49:50], 1.0
	s_delay_alu instid0(VALU_DEP_1) | instskip(SKIP_1) | instid1(VALU_DEP_1)
	v_fma_f64 v[49:50], v[49:50], v[51:52], v[49:50]
	v_div_scale_f64 v[51:52], vcc_lo, 1.0, v[45:46], 1.0
	v_mul_f64 v[53:54], v[51:52], v[49:50]
	s_delay_alu instid0(VALU_DEP_1) | instskip(NEXT) | instid1(VALU_DEP_1)
	v_fma_f64 v[47:48], -v[47:48], v[53:54], v[51:52]
	v_div_fmas_f64 v[47:48], v[47:48], v[49:50], v[53:54]
	v_mad_u64_u32 v[49:50], null, 0xffffff62, s2, v[1:2]
	v_mov_b32_e32 v50, v2
	s_delay_alu instid0(VALU_DEP_3) | instskip(NEXT) | instid1(VALU_DEP_1)
	v_div_fixup_f64 v[45:46], v[47:48], v[45:46], 1.0
	v_mul_f64 v[41:42], v[41:42], v[45:46]
	v_lshlrev_b64 v[45:46], 3, v[1:2]
	s_delay_alu instid0(VALU_DEP_4) | instskip(NEXT) | instid1(VALU_DEP_2)
	v_lshlrev_b64 v[0:1], 3, v[49:50]
	v_add_co_u32 v47, vcc_lo, s6, v45
	s_delay_alu instid0(VALU_DEP_3)
	v_add_co_ci_u32_e32 v48, vcc_lo, s7, v46, vcc_lo
	v_add_co_u32 v45, vcc_lo, s8, v45
	v_add_co_ci_u32_e32 v46, vcc_lo, s9, v46, vcc_lo
	global_load_b64 v[47:48], v[47:48], off
	v_add_co_u32 v0, vcc_lo, s10, v0
	v_add_co_ci_u32_e32 v1, vcc_lo, s11, v1, vcc_lo
	v_min_f64 v[41:42], v[41:42], s[0:1]
	s_waitcnt vmcnt(0)
	s_delay_alu instid0(VALU_DEP_1) | instskip(SKIP_3) | instid1(VALU_DEP_1)
	v_mul_f64 v[41:42], v[41:42], v[47:48]
	global_store_b64 v[45:46], v[41:42], off
	global_load_b64 v[41:42], v[0:1], off
	v_mul_f64 v[45:46], v[17:18], v[33:34]
	v_mul_f64 v[47:48], v[5:6], v[45:46]
	s_waitcnt vmcnt(0)
	v_div_scale_f64 v[0:1], null, v[41:42], v[41:42], 1.0
	s_delay_alu instid0(VALU_DEP_1) | instskip(SKIP_2) | instid1(VALU_DEP_1)
	v_rcp_f64_e32 v[50:51], v[0:1]
	s_waitcnt_depctr 0xfff
	v_fma_f64 v[52:53], -v[0:1], v[50:51], 1.0
	v_fma_f64 v[50:51], v[50:51], v[52:53], v[50:51]
	s_delay_alu instid0(VALU_DEP_1) | instskip(NEXT) | instid1(VALU_DEP_1)
	v_fma_f64 v[52:53], -v[0:1], v[50:51], 1.0
	v_fma_f64 v[50:51], v[50:51], v[52:53], v[50:51]
	v_div_scale_f64 v[52:53], vcc_lo, 1.0, v[41:42], 1.0
	s_delay_alu instid0(VALU_DEP_1) | instskip(NEXT) | instid1(VALU_DEP_1)
	v_mul_f64 v[54:55], v[52:53], v[50:51]
	v_fma_f64 v[0:1], -v[0:1], v[54:55], v[52:53]
	s_delay_alu instid0(VALU_DEP_1) | instskip(NEXT) | instid1(VALU_DEP_1)
	v_div_fmas_f64 v[0:1], v[0:1], v[50:51], v[54:55]
	v_div_fixup_f64 v[0:1], v[0:1], v[41:42], 1.0
	s_delay_alu instid0(VALU_DEP_1) | instskip(SKIP_2) | instid1(VALU_DEP_1)
	v_mul_f64 v[0:1], v[47:48], v[0:1]
	v_mad_u64_u32 v[47:48], null, 0x9f, s2, v[49:50]
	v_mov_b32_e32 v48, v2
	v_lshlrev_b64 v[48:49], 3, v[47:48]
	s_delay_alu instid0(VALU_DEP_1) | instskip(NEXT) | instid1(VALU_DEP_2)
	v_add_co_u32 v50, vcc_lo, s6, v48
	v_add_co_ci_u32_e32 v51, vcc_lo, s7, v49, vcc_lo
	v_add_co_u32 v48, vcc_lo, s8, v48
	v_add_co_ci_u32_e32 v49, vcc_lo, s9, v49, vcc_lo
	global_load_b64 v[50:51], v[50:51], off
	v_min_f64 v[0:1], v[0:1], s[0:1]
	s_waitcnt vmcnt(0)
	s_delay_alu instid0(VALU_DEP_1) | instskip(SKIP_2) | instid1(VALU_DEP_1)
	v_mul_f64 v[0:1], v[50:51], v[0:1]
	global_store_b64 v[48:49], v[0:1], off
	v_mul_f64 v[0:1], v[25:26], v[9:10]
	v_div_scale_f64 v[25:26], null, v[0:1], v[0:1], 1.0
	s_delay_alu instid0(VALU_DEP_1) | instskip(SKIP_2) | instid1(VALU_DEP_1)
	v_rcp_f64_e32 v[48:49], v[25:26]
	s_waitcnt_depctr 0xfff
	v_fma_f64 v[50:51], -v[25:26], v[48:49], 1.0
	v_fma_f64 v[48:49], v[48:49], v[50:51], v[48:49]
	s_delay_alu instid0(VALU_DEP_1) | instskip(NEXT) | instid1(VALU_DEP_1)
	v_fma_f64 v[50:51], -v[25:26], v[48:49], 1.0
	v_fma_f64 v[48:49], v[48:49], v[50:51], v[48:49]
	v_div_scale_f64 v[50:51], vcc_lo, 1.0, v[0:1], 1.0
	s_delay_alu instid0(VALU_DEP_1) | instskip(NEXT) | instid1(VALU_DEP_1)
	v_mul_f64 v[52:53], v[50:51], v[48:49]
	v_fma_f64 v[25:26], -v[25:26], v[52:53], v[50:51]
	s_delay_alu instid0(VALU_DEP_1) | instskip(NEXT) | instid1(VALU_DEP_1)
	v_div_fmas_f64 v[25:26], v[25:26], v[48:49], v[52:53]
	v_div_fixup_f64 v[0:1], v[25:26], v[0:1], 1.0
	s_delay_alu instid0(VALU_DEP_1) | instskip(SKIP_1) | instid1(VALU_DEP_1)
	v_mul_f64 v[25:26], v[0:1], v[45:46]
	v_add_nc_u32_e32 v1, s2, v47
	v_lshlrev_b64 v[47:48], 3, v[1:2]
	v_add_nc_u32_e32 v1, s2, v1
	s_delay_alu instid0(VALU_DEP_2) | instskip(NEXT) | instid1(VALU_DEP_3)
	v_add_co_u32 v49, vcc_lo, s6, v47
	v_add_co_ci_u32_e32 v50, vcc_lo, s7, v48, vcc_lo
	v_add_co_u32 v47, vcc_lo, s8, v47
	v_add_co_ci_u32_e32 v48, vcc_lo, s9, v48, vcc_lo
	global_load_b64 v[49:50], v[49:50], off
	v_min_f64 v[25:26], v[25:26], s[0:1]
	s_waitcnt vmcnt(0)
	s_delay_alu instid0(VALU_DEP_1) | instskip(SKIP_2) | instid1(VALU_DEP_1)
	v_mul_f64 v[25:26], v[25:26], v[49:50]
	global_store_b64 v[47:48], v[25:26], off
	v_mul_f64 v[25:26], v[19:20], v[31:32]
	v_div_scale_f64 v[47:48], null, v[25:26], v[25:26], 1.0
	s_delay_alu instid0(VALU_DEP_1) | instskip(SKIP_2) | instid1(VALU_DEP_1)
	v_rcp_f64_e32 v[49:50], v[47:48]
	s_waitcnt_depctr 0xfff
	v_fma_f64 v[51:52], -v[47:48], v[49:50], 1.0
	v_fma_f64 v[49:50], v[49:50], v[51:52], v[49:50]
	s_delay_alu instid0(VALU_DEP_1) | instskip(NEXT) | instid1(VALU_DEP_1)
	v_fma_f64 v[51:52], -v[47:48], v[49:50], 1.0
	v_fma_f64 v[49:50], v[49:50], v[51:52], v[49:50]
	v_div_scale_f64 v[51:52], vcc_lo, 1.0, v[25:26], 1.0
	s_delay_alu instid0(VALU_DEP_1) | instskip(NEXT) | instid1(VALU_DEP_1)
	v_mul_f64 v[53:54], v[51:52], v[49:50]
	v_fma_f64 v[47:48], -v[47:48], v[53:54], v[51:52]
	s_delay_alu instid0(VALU_DEP_1) | instskip(NEXT) | instid1(VALU_DEP_1)
	v_div_fmas_f64 v[47:48], v[47:48], v[49:50], v[53:54]
	v_div_fixup_f64 v[25:26], v[47:48], v[25:26], 1.0
	s_delay_alu instid0(VALU_DEP_1) | instskip(SKIP_2) | instid1(VALU_DEP_2)
	v_mul_f64 v[25:26], v[25:26], v[45:46]
	v_lshlrev_b64 v[45:46], 3, v[1:2]
	v_add_nc_u32_e32 v1, s4, v1
	v_add_co_u32 v47, vcc_lo, s6, v45
	s_delay_alu instid0(VALU_DEP_3)
	v_add_co_ci_u32_e32 v48, vcc_lo, s7, v46, vcc_lo
	v_add_co_u32 v45, vcc_lo, s8, v45
	v_add_co_ci_u32_e32 v46, vcc_lo, s9, v46, vcc_lo
	global_load_b64 v[47:48], v[47:48], off
	v_min_f64 v[25:26], v[25:26], s[0:1]
	s_waitcnt vmcnt(0)
	s_delay_alu instid0(VALU_DEP_1) | instskip(SKIP_2) | instid1(VALU_DEP_2)
	v_mul_f64 v[25:26], v[25:26], v[47:48]
	v_lshlrev_b64 v[47:48], 3, v[1:2]
	v_add_nc_u32_e32 v1, s3, v1
	v_add_co_u32 v47, vcc_lo, s10, v47
	s_delay_alu instid0(VALU_DEP_3)
	v_add_co_ci_u32_e32 v48, vcc_lo, s11, v48, vcc_lo
	global_load_b64 v[47:48], v[47:48], off
	global_store_b64 v[45:46], v[25:26], off
	v_mul_f64 v[45:46], v[9:10], v[17:18]
	v_mul_f64 v[25:26], v[21:22], v[33:34]
	s_waitcnt vmcnt(0)
	s_delay_alu instid0(VALU_DEP_2) | instskip(NEXT) | instid1(VALU_DEP_1)
	v_mul_f64 v[45:46], v[45:46], v[47:48]
	v_mul_f64 v[45:46], v[5:6], v[45:46]
	s_delay_alu instid0(VALU_DEP_1) | instskip(NEXT) | instid1(VALU_DEP_1)
	v_div_scale_f64 v[47:48], null, v[45:46], v[45:46], 1.0
	v_rcp_f64_e32 v[49:50], v[47:48]
	s_waitcnt_depctr 0xfff
	v_fma_f64 v[51:52], -v[47:48], v[49:50], 1.0
	s_delay_alu instid0(VALU_DEP_1) | instskip(NEXT) | instid1(VALU_DEP_1)
	v_fma_f64 v[49:50], v[49:50], v[51:52], v[49:50]
	v_fma_f64 v[51:52], -v[47:48], v[49:50], 1.0
	s_delay_alu instid0(VALU_DEP_1) | instskip(SKIP_1) | instid1(VALU_DEP_1)
	v_fma_f64 v[49:50], v[49:50], v[51:52], v[49:50]
	v_div_scale_f64 v[51:52], vcc_lo, 1.0, v[45:46], 1.0
	v_mul_f64 v[53:54], v[51:52], v[49:50]
	s_delay_alu instid0(VALU_DEP_1) | instskip(NEXT) | instid1(VALU_DEP_1)
	v_fma_f64 v[47:48], -v[47:48], v[53:54], v[51:52]
	v_div_fmas_f64 v[47:48], v[47:48], v[49:50], v[53:54]
	s_delay_alu instid0(VALU_DEP_1) | instskip(SKIP_2) | instid1(VALU_DEP_2)
	v_div_fixup_f64 v[45:46], v[47:48], v[45:46], 1.0
	v_lshlrev_b64 v[47:48], 3, v[1:2]
	v_add_nc_u32_e32 v1, s2, v1
	v_add_co_u32 v49, vcc_lo, s6, v47
	s_delay_alu instid0(VALU_DEP_3) | instskip(SKIP_4) | instid1(VALU_DEP_1)
	v_add_co_ci_u32_e32 v50, vcc_lo, s7, v48, vcc_lo
	v_add_co_u32 v47, vcc_lo, s8, v47
	v_add_co_ci_u32_e32 v48, vcc_lo, s9, v48, vcc_lo
	global_load_b64 v[49:50], v[49:50], off
	v_mul_f64 v[45:46], v[25:26], v[45:46]
	v_min_f64 v[45:46], v[45:46], s[0:1]
	s_waitcnt vmcnt(0)
	s_delay_alu instid0(VALU_DEP_1) | instskip(SKIP_2) | instid1(VALU_DEP_1)
	v_mul_f64 v[45:46], v[49:50], v[45:46]
	global_store_b64 v[47:48], v[45:46], off
	v_div_scale_f64 v[45:46], null, v[29:30], v[29:30], 1.0
	v_rcp_f64_e32 v[47:48], v[45:46]
	s_waitcnt_depctr 0xfff
	v_fma_f64 v[49:50], -v[45:46], v[47:48], 1.0
	s_delay_alu instid0(VALU_DEP_1) | instskip(NEXT) | instid1(VALU_DEP_1)
	v_fma_f64 v[47:48], v[47:48], v[49:50], v[47:48]
	v_fma_f64 v[49:50], -v[45:46], v[47:48], 1.0
	s_delay_alu instid0(VALU_DEP_1) | instskip(SKIP_1) | instid1(VALU_DEP_1)
	v_fma_f64 v[47:48], v[47:48], v[49:50], v[47:48]
	v_div_scale_f64 v[49:50], vcc_lo, 1.0, v[29:30], 1.0
	v_mul_f64 v[51:52], v[49:50], v[47:48]
	s_delay_alu instid0(VALU_DEP_1) | instskip(NEXT) | instid1(VALU_DEP_1)
	v_fma_f64 v[45:46], -v[45:46], v[51:52], v[49:50]
	v_div_fmas_f64 v[45:46], v[45:46], v[47:48], v[51:52]
	s_delay_alu instid0(VALU_DEP_1) | instskip(SKIP_2) | instid1(VALU_DEP_2)
	v_div_fixup_f64 v[29:30], v[45:46], v[29:30], 1.0
	v_lshlrev_b64 v[45:46], 3, v[1:2]
	v_add_nc_u32_e32 v1, s2, v1
	v_add_co_u32 v47, vcc_lo, s6, v45
	s_delay_alu instid0(VALU_DEP_3) | instskip(SKIP_4) | instid1(VALU_DEP_1)
	v_add_co_ci_u32_e32 v48, vcc_lo, s7, v46, vcc_lo
	v_add_co_u32 v45, vcc_lo, s8, v45
	v_add_co_ci_u32_e32 v46, vcc_lo, s9, v46, vcc_lo
	global_load_b64 v[47:48], v[47:48], off
	v_mul_f64 v[29:30], v[29:30], v[25:26]
	v_min_f64 v[29:30], v[29:30], s[0:1]
	s_waitcnt vmcnt(0)
	s_delay_alu instid0(VALU_DEP_1) | instskip(SKIP_2) | instid1(VALU_DEP_1)
	v_mul_f64 v[29:30], v[29:30], v[47:48]
	global_store_b64 v[45:46], v[29:30], off
	v_mul_f64 v[29:30], v[11:12], v[31:32]
	v_div_scale_f64 v[45:46], null, v[29:30], v[29:30], 1.0
	s_delay_alu instid0(VALU_DEP_1) | instskip(SKIP_2) | instid1(VALU_DEP_1)
	v_rcp_f64_e32 v[47:48], v[45:46]
	s_waitcnt_depctr 0xfff
	v_fma_f64 v[49:50], -v[45:46], v[47:48], 1.0
	v_fma_f64 v[47:48], v[47:48], v[49:50], v[47:48]
	s_delay_alu instid0(VALU_DEP_1) | instskip(NEXT) | instid1(VALU_DEP_1)
	v_fma_f64 v[49:50], -v[45:46], v[47:48], 1.0
	v_fma_f64 v[47:48], v[47:48], v[49:50], v[47:48]
	v_div_scale_f64 v[49:50], vcc_lo, 1.0, v[29:30], 1.0
	s_delay_alu instid0(VALU_DEP_1) | instskip(NEXT) | instid1(VALU_DEP_1)
	v_mul_f64 v[51:52], v[49:50], v[47:48]
	v_fma_f64 v[45:46], -v[45:46], v[51:52], v[49:50]
	s_delay_alu instid0(VALU_DEP_1) | instskip(NEXT) | instid1(VALU_DEP_1)
	v_div_fmas_f64 v[45:46], v[45:46], v[47:48], v[51:52]
	v_div_fixup_f64 v[29:30], v[45:46], v[29:30], 1.0
	s_delay_alu instid0(VALU_DEP_1) | instskip(SKIP_2) | instid1(VALU_DEP_2)
	v_mul_f64 v[25:26], v[29:30], v[25:26]
	v_lshlrev_b64 v[29:30], 3, v[1:2]
	v_add_nc_u32_e32 v1, s2, v1
	v_add_co_u32 v45, vcc_lo, s6, v29
	s_delay_alu instid0(VALU_DEP_3)
	v_add_co_ci_u32_e32 v46, vcc_lo, s7, v30, vcc_lo
	v_add_co_u32 v29, vcc_lo, s8, v29
	v_add_co_ci_u32_e32 v30, vcc_lo, s9, v30, vcc_lo
	global_load_b64 v[45:46], v[45:46], off
	v_min_f64 v[25:26], v[25:26], s[0:1]
	s_waitcnt vmcnt(0)
	s_delay_alu instid0(VALU_DEP_1) | instskip(SKIP_4) | instid1(VALU_DEP_3)
	v_mul_f64 v[25:26], v[25:26], v[45:46]
	global_store_b64 v[29:30], v[25:26], off
	v_mul_f64 v[29:30], v[23:24], v[31:32]
	v_mul_f64 v[25:26], v[11:12], v[33:34]
	;; [unrolled: 1-line block ×3, first 2 shown]
	v_div_scale_f64 v[45:46], null, v[29:30], v[29:30], 1.0
	s_delay_alu instid0(VALU_DEP_1) | instskip(SKIP_2) | instid1(VALU_DEP_1)
	v_rcp_f64_e32 v[47:48], v[45:46]
	s_waitcnt_depctr 0xfff
	v_fma_f64 v[49:50], -v[45:46], v[47:48], 1.0
	v_fma_f64 v[47:48], v[47:48], v[49:50], v[47:48]
	s_delay_alu instid0(VALU_DEP_1) | instskip(NEXT) | instid1(VALU_DEP_1)
	v_fma_f64 v[49:50], -v[45:46], v[47:48], 1.0
	v_fma_f64 v[47:48], v[47:48], v[49:50], v[47:48]
	v_div_scale_f64 v[49:50], vcc_lo, 1.0, v[29:30], 1.0
	s_delay_alu instid0(VALU_DEP_1) | instskip(NEXT) | instid1(VALU_DEP_1)
	v_mul_f64 v[51:52], v[49:50], v[47:48]
	v_fma_f64 v[45:46], -v[45:46], v[51:52], v[49:50]
	s_delay_alu instid0(VALU_DEP_1) | instskip(NEXT) | instid1(VALU_DEP_1)
	v_div_fmas_f64 v[45:46], v[45:46], v[47:48], v[51:52]
	v_div_fixup_f64 v[29:30], v[45:46], v[29:30], 1.0
	s_delay_alu instid0(VALU_DEP_1) | instskip(SKIP_2) | instid1(VALU_DEP_2)
	v_mul_f64 v[25:26], v[29:30], v[25:26]
	v_lshlrev_b64 v[29:30], 3, v[1:2]
	v_add_nc_u32_e32 v1, s2, v1
	v_add_co_u32 v45, vcc_lo, s6, v29
	s_delay_alu instid0(VALU_DEP_3)
	v_add_co_ci_u32_e32 v46, vcc_lo, s7, v30, vcc_lo
	v_add_co_u32 v29, vcc_lo, s8, v29
	v_add_co_ci_u32_e32 v30, vcc_lo, s9, v30, vcc_lo
	global_load_b64 v[45:46], v[45:46], off
	v_min_f64 v[25:26], v[25:26], s[0:1]
	s_waitcnt vmcnt(0)
	s_delay_alu instid0(VALU_DEP_1) | instskip(SKIP_4) | instid1(VALU_DEP_3)
	v_mul_f64 v[25:26], v[25:26], v[45:46]
	global_store_b64 v[29:30], v[25:26], off
	v_div_scale_f64 v[29:30], null, v[15:16], v[15:16], 1.0
	v_mul_f64 v[25:26], v[7:8], v[33:34]
	v_mul_f64 v[7:8], v[7:8], v[41:42]
	v_rcp_f64_e32 v[45:46], v[29:30]
	s_waitcnt_depctr 0xfff
	v_fma_f64 v[47:48], -v[29:30], v[45:46], 1.0
	s_delay_alu instid0(VALU_DEP_1) | instskip(NEXT) | instid1(VALU_DEP_1)
	v_fma_f64 v[45:46], v[45:46], v[47:48], v[45:46]
	v_fma_f64 v[47:48], -v[29:30], v[45:46], 1.0
	s_delay_alu instid0(VALU_DEP_1) | instskip(SKIP_1) | instid1(VALU_DEP_1)
	v_fma_f64 v[45:46], v[45:46], v[47:48], v[45:46]
	v_div_scale_f64 v[47:48], vcc_lo, 1.0, v[15:16], 1.0
	v_mul_f64 v[49:50], v[47:48], v[45:46]
	s_delay_alu instid0(VALU_DEP_1) | instskip(NEXT) | instid1(VALU_DEP_1)
	v_fma_f64 v[29:30], -v[29:30], v[49:50], v[47:48]
	v_div_fmas_f64 v[29:30], v[29:30], v[45:46], v[49:50]
	s_delay_alu instid0(VALU_DEP_1) | instskip(SKIP_2) | instid1(VALU_DEP_2)
	v_div_fixup_f64 v[15:16], v[29:30], v[15:16], 1.0
	v_lshlrev_b64 v[29:30], 3, v[1:2]
	v_add_nc_u32_e32 v1, s2, v1
	v_add_co_u32 v45, vcc_lo, s6, v29
	s_delay_alu instid0(VALU_DEP_3) | instskip(SKIP_4) | instid1(VALU_DEP_1)
	v_add_co_ci_u32_e32 v46, vcc_lo, s7, v30, vcc_lo
	v_add_co_u32 v29, vcc_lo, s8, v29
	v_add_co_ci_u32_e32 v30, vcc_lo, s9, v30, vcc_lo
	global_load_b64 v[45:46], v[45:46], off
	v_mul_f64 v[15:16], v[15:16], v[25:26]
	v_min_f64 v[15:16], v[15:16], s[0:1]
	s_waitcnt vmcnt(0)
	s_delay_alu instid0(VALU_DEP_1) | instskip(SKIP_3) | instid1(VALU_DEP_2)
	v_mul_f64 v[15:16], v[15:16], v[45:46]
	global_store_b64 v[29:30], v[15:16], off
	v_mul_f64 v[29:30], v[27:28], v[31:32]
	v_mul_f64 v[15:16], v[9:10], v[33:34]
	v_div_scale_f64 v[45:46], null, v[29:30], v[29:30], 1.0
	s_delay_alu instid0(VALU_DEP_1) | instskip(SKIP_2) | instid1(VALU_DEP_1)
	v_rcp_f64_e32 v[47:48], v[45:46]
	s_waitcnt_depctr 0xfff
	v_fma_f64 v[49:50], -v[45:46], v[47:48], 1.0
	v_fma_f64 v[47:48], v[47:48], v[49:50], v[47:48]
	s_delay_alu instid0(VALU_DEP_1) | instskip(NEXT) | instid1(VALU_DEP_1)
	v_fma_f64 v[49:50], -v[45:46], v[47:48], 1.0
	v_fma_f64 v[47:48], v[47:48], v[49:50], v[47:48]
	v_div_scale_f64 v[49:50], vcc_lo, 1.0, v[29:30], 1.0
	s_delay_alu instid0(VALU_DEP_1) | instskip(NEXT) | instid1(VALU_DEP_1)
	v_mul_f64 v[51:52], v[49:50], v[47:48]
	v_fma_f64 v[45:46], -v[45:46], v[51:52], v[49:50]
	s_delay_alu instid0(VALU_DEP_1) | instskip(NEXT) | instid1(VALU_DEP_1)
	v_div_fmas_f64 v[45:46], v[45:46], v[47:48], v[51:52]
	v_div_fixup_f64 v[29:30], v[45:46], v[29:30], 1.0
	s_delay_alu instid0(VALU_DEP_1) | instskip(SKIP_2) | instid1(VALU_DEP_2)
	v_mul_f64 v[15:16], v[29:30], v[15:16]
	v_lshlrev_b64 v[29:30], 3, v[1:2]
	v_add_nc_u32_e32 v1, s2, v1
	v_add_co_u32 v45, vcc_lo, s6, v29
	s_delay_alu instid0(VALU_DEP_3)
	v_add_co_ci_u32_e32 v46, vcc_lo, s7, v30, vcc_lo
	v_add_co_u32 v29, vcc_lo, s8, v29
	v_add_co_ci_u32_e32 v30, vcc_lo, s9, v30, vcc_lo
	global_load_b64 v[45:46], v[45:46], off
	v_min_f64 v[15:16], v[15:16], s[0:1]
	s_waitcnt vmcnt(0)
	s_delay_alu instid0(VALU_DEP_1) | instskip(SKIP_4) | instid1(VALU_DEP_3)
	v_mul_f64 v[15:16], v[15:16], v[45:46]
	global_store_b64 v[29:30], v[15:16], off
	v_mul_f64 v[15:16], v[17:18], v[41:42]
	v_lshlrev_b64 v[29:30], 3, v[1:2]
	v_add_nc_u32_e32 v1, s2, v1
	v_mul_f64 v[17:18], v[35:36], v[15:16]
	s_delay_alu instid0(VALU_DEP_3) | instskip(NEXT) | instid1(VALU_DEP_4)
	v_add_co_u32 v35, vcc_lo, s6, v29
	v_add_co_ci_u32_e32 v36, vcc_lo, s7, v30, vcc_lo
	v_add_co_u32 v29, vcc_lo, s8, v29
	v_add_co_ci_u32_e32 v30, vcc_lo, s9, v30, vcc_lo
	global_load_b64 v[35:36], v[35:36], off
	v_min_f64 v[17:18], v[17:18], s[0:1]
	s_waitcnt vmcnt(0)
	s_delay_alu instid0(VALU_DEP_1) | instskip(SKIP_2) | instid1(VALU_DEP_1)
	v_mul_f64 v[17:18], v[17:18], v[35:36]
	global_store_b64 v[29:30], v[17:18], off
	v_mul_f64 v[17:18], v[19:20], v[33:34]
	v_div_scale_f64 v[19:20], null, v[17:18], v[17:18], 1.0
	s_delay_alu instid0(VALU_DEP_1) | instskip(SKIP_2) | instid1(VALU_DEP_1)
	v_rcp_f64_e32 v[29:30], v[19:20]
	s_waitcnt_depctr 0xfff
	v_fma_f64 v[35:36], -v[19:20], v[29:30], 1.0
	v_fma_f64 v[29:30], v[29:30], v[35:36], v[29:30]
	s_delay_alu instid0(VALU_DEP_1) | instskip(NEXT) | instid1(VALU_DEP_1)
	v_fma_f64 v[35:36], -v[19:20], v[29:30], 1.0
	v_fma_f64 v[29:30], v[29:30], v[35:36], v[29:30]
	v_div_scale_f64 v[35:36], vcc_lo, 1.0, v[17:18], 1.0
	s_delay_alu instid0(VALU_DEP_1) | instskip(NEXT) | instid1(VALU_DEP_1)
	v_mul_f64 v[45:46], v[35:36], v[29:30]
	v_fma_f64 v[19:20], -v[19:20], v[45:46], v[35:36]
	s_delay_alu instid0(VALU_DEP_1) | instskip(NEXT) | instid1(VALU_DEP_1)
	v_div_fmas_f64 v[19:20], v[19:20], v[29:30], v[45:46]
	v_div_fixup_f64 v[17:18], v[19:20], v[17:18], 1.0
	s_delay_alu instid0(VALU_DEP_1) | instskip(SKIP_2) | instid1(VALU_DEP_2)
	v_mul_f64 v[15:16], v[17:18], v[15:16]
	v_lshlrev_b64 v[17:18], 3, v[1:2]
	v_add_nc_u32_e32 v1, s2, v1
	v_add_co_u32 v19, vcc_lo, s6, v17
	s_delay_alu instid0(VALU_DEP_3)
	v_add_co_ci_u32_e32 v20, vcc_lo, s7, v18, vcc_lo
	v_add_co_u32 v17, vcc_lo, s8, v17
	v_add_co_ci_u32_e32 v18, vcc_lo, s9, v18, vcc_lo
	global_load_b64 v[19:20], v[19:20], off
	v_min_f64 v[15:16], v[15:16], s[0:1]
	s_waitcnt vmcnt(0)
	s_delay_alu instid0(VALU_DEP_1) | instskip(SKIP_3) | instid1(VALU_DEP_2)
	v_mul_f64 v[15:16], v[15:16], v[19:20]
	global_store_b64 v[17:18], v[15:16], off
	v_div_scale_f64 v[17:18], null, v[13:14], v[13:14], 1.0
	v_mul_f64 v[15:16], v[21:22], v[41:42]
	v_rcp_f64_e32 v[19:20], v[17:18]
	s_waitcnt_depctr 0xfff
	v_fma_f64 v[21:22], -v[17:18], v[19:20], 1.0
	s_delay_alu instid0(VALU_DEP_1) | instskip(NEXT) | instid1(VALU_DEP_1)
	v_fma_f64 v[19:20], v[19:20], v[21:22], v[19:20]
	v_fma_f64 v[21:22], -v[17:18], v[19:20], 1.0
	s_delay_alu instid0(VALU_DEP_1) | instskip(SKIP_1) | instid1(VALU_DEP_1)
	v_fma_f64 v[19:20], v[19:20], v[21:22], v[19:20]
	v_div_scale_f64 v[21:22], vcc_lo, 1.0, v[13:14], 1.0
	v_mul_f64 v[29:30], v[21:22], v[19:20]
	s_delay_alu instid0(VALU_DEP_1) | instskip(NEXT) | instid1(VALU_DEP_1)
	v_fma_f64 v[17:18], -v[17:18], v[29:30], v[21:22]
	v_div_fmas_f64 v[17:18], v[17:18], v[19:20], v[29:30]
	s_delay_alu instid0(VALU_DEP_1) | instskip(NEXT) | instid1(VALU_DEP_1)
	v_div_fixup_f64 v[13:14], v[17:18], v[13:14], 1.0
	v_mul_f64 v[13:14], v[13:14], v[15:16]
	v_lshlrev_b64 v[15:16], 3, v[1:2]
	v_add_nc_u32_e32 v1, s2, v1
	s_delay_alu instid0(VALU_DEP_2) | instskip(NEXT) | instid1(VALU_DEP_3)
	v_add_co_u32 v17, vcc_lo, s6, v15
	v_add_co_ci_u32_e32 v18, vcc_lo, s7, v16, vcc_lo
	v_add_co_u32 v15, vcc_lo, s8, v15
	v_add_co_ci_u32_e32 v16, vcc_lo, s9, v16, vcc_lo
	global_load_b64 v[17:18], v[17:18], off
	v_min_f64 v[13:14], v[13:14], s[0:1]
	s_waitcnt vmcnt(0)
	s_delay_alu instid0(VALU_DEP_1) | instskip(SKIP_2) | instid1(VALU_DEP_1)
	v_mul_f64 v[13:14], v[13:14], v[17:18]
	global_store_b64 v[15:16], v[13:14], off
	v_mul_f64 v[13:14], v[23:24], v[33:34]
	v_div_scale_f64 v[15:16], null, v[13:14], v[13:14], 1.0
	s_delay_alu instid0(VALU_DEP_1) | instskip(SKIP_2) | instid1(VALU_DEP_1)
	v_rcp_f64_e32 v[17:18], v[15:16]
	s_waitcnt_depctr 0xfff
	v_fma_f64 v[19:20], -v[15:16], v[17:18], 1.0
	v_fma_f64 v[17:18], v[17:18], v[19:20], v[17:18]
	s_delay_alu instid0(VALU_DEP_1) | instskip(NEXT) | instid1(VALU_DEP_1)
	v_fma_f64 v[19:20], -v[15:16], v[17:18], 1.0
	v_fma_f64 v[17:18], v[17:18], v[19:20], v[17:18]
	v_div_scale_f64 v[19:20], vcc_lo, 1.0, v[13:14], 1.0
	s_delay_alu instid0(VALU_DEP_1) | instskip(NEXT) | instid1(VALU_DEP_1)
	v_mul_f64 v[21:22], v[19:20], v[17:18]
	v_fma_f64 v[15:16], -v[15:16], v[21:22], v[19:20]
	s_delay_alu instid0(VALU_DEP_1) | instskip(NEXT) | instid1(VALU_DEP_1)
	v_div_fmas_f64 v[15:16], v[15:16], v[17:18], v[21:22]
	v_div_fixup_f64 v[13:14], v[15:16], v[13:14], 1.0
	s_delay_alu instid0(VALU_DEP_1) | instskip(SKIP_2) | instid1(VALU_DEP_2)
	v_mul_f64 v[11:12], v[13:14], v[11:12]
	v_lshlrev_b64 v[13:14], 3, v[1:2]
	v_add_nc_u32_e32 v1, s2, v1
	v_add_co_u32 v15, vcc_lo, s6, v13
	s_delay_alu instid0(VALU_DEP_3)
	v_add_co_ci_u32_e32 v16, vcc_lo, s7, v14, vcc_lo
	v_add_co_u32 v13, vcc_lo, s8, v13
	v_add_co_ci_u32_e32 v14, vcc_lo, s9, v14, vcc_lo
	global_load_b64 v[15:16], v[15:16], off
	v_min_f64 v[11:12], v[11:12], s[0:1]
	s_waitcnt vmcnt(0)
	s_delay_alu instid0(VALU_DEP_1) | instskip(SKIP_3) | instid1(VALU_DEP_2)
	v_mul_f64 v[11:12], v[11:12], v[15:16]
	global_store_b64 v[13:14], v[11:12], off
	v_div_scale_f64 v[13:14], null, v[25:26], v[25:26], 1.0
	v_mul_f64 v[11:12], v[43:44], v[41:42]
	v_rcp_f64_e32 v[15:16], v[13:14]
	s_waitcnt_depctr 0xfff
	v_fma_f64 v[17:18], -v[13:14], v[15:16], 1.0
	s_delay_alu instid0(VALU_DEP_1) | instskip(NEXT) | instid1(VALU_DEP_1)
	v_fma_f64 v[15:16], v[15:16], v[17:18], v[15:16]
	v_fma_f64 v[17:18], -v[13:14], v[15:16], 1.0
	s_delay_alu instid0(VALU_DEP_1) | instskip(SKIP_1) | instid1(VALU_DEP_1)
	v_fma_f64 v[15:16], v[15:16], v[17:18], v[15:16]
	v_div_scale_f64 v[17:18], vcc_lo, 1.0, v[25:26], 1.0
	v_mul_f64 v[19:20], v[17:18], v[15:16]
	s_delay_alu instid0(VALU_DEP_1) | instskip(NEXT) | instid1(VALU_DEP_1)
	v_fma_f64 v[13:14], -v[13:14], v[19:20], v[17:18]
	v_div_fmas_f64 v[13:14], v[13:14], v[15:16], v[19:20]
	s_delay_alu instid0(VALU_DEP_1) | instskip(NEXT) | instid1(VALU_DEP_1)
	v_div_fixup_f64 v[13:14], v[13:14], v[25:26], 1.0
	v_mul_f64 v[11:12], v[13:14], v[11:12]
	v_lshlrev_b64 v[13:14], 3, v[1:2]
	v_add_nc_u32_e32 v1, s2, v1
	s_delay_alu instid0(VALU_DEP_2) | instskip(NEXT) | instid1(VALU_DEP_3)
	v_add_co_u32 v15, vcc_lo, s6, v13
	v_add_co_ci_u32_e32 v16, vcc_lo, s7, v14, vcc_lo
	v_add_co_u32 v13, vcc_lo, s8, v13
	v_add_co_ci_u32_e32 v14, vcc_lo, s9, v14, vcc_lo
	global_load_b64 v[15:16], v[15:16], off
	v_min_f64 v[11:12], v[11:12], s[0:1]
	s_waitcnt vmcnt(0)
	s_delay_alu instid0(VALU_DEP_1) | instskip(SKIP_3) | instid1(VALU_DEP_2)
	v_mul_f64 v[11:12], v[11:12], v[15:16]
	global_store_b64 v[13:14], v[11:12], off
	v_mul_f64 v[11:12], v[3:4], v[39:40]
	v_mul_f64 v[3:4], v[3:4], v[37:38]
	;; [unrolled: 1-line block ×3, first 2 shown]
	s_delay_alu instid0(VALU_DEP_1) | instskip(NEXT) | instid1(VALU_DEP_1)
	v_div_scale_f64 v[11:12], null, v[5:6], v[5:6], 1.0
	v_rcp_f64_e32 v[13:14], v[11:12]
	s_waitcnt_depctr 0xfff
	v_fma_f64 v[15:16], -v[11:12], v[13:14], 1.0
	s_delay_alu instid0(VALU_DEP_1) | instskip(NEXT) | instid1(VALU_DEP_1)
	v_fma_f64 v[13:14], v[13:14], v[15:16], v[13:14]
	v_fma_f64 v[15:16], -v[11:12], v[13:14], 1.0
	s_delay_alu instid0(VALU_DEP_1) | instskip(SKIP_1) | instid1(VALU_DEP_1)
	v_fma_f64 v[13:14], v[13:14], v[15:16], v[13:14]
	v_div_scale_f64 v[15:16], vcc_lo, 1.0, v[5:6], 1.0
	v_mul_f64 v[17:18], v[15:16], v[13:14]
	s_delay_alu instid0(VALU_DEP_1) | instskip(NEXT) | instid1(VALU_DEP_1)
	v_fma_f64 v[11:12], -v[11:12], v[17:18], v[15:16]
	v_div_fmas_f64 v[11:12], v[11:12], v[13:14], v[17:18]
	s_delay_alu instid0(VALU_DEP_1) | instskip(NEXT) | instid1(VALU_DEP_1)
	v_div_fixup_f64 v[5:6], v[11:12], v[5:6], 1.0
	v_mul_f64 v[5:6], v[5:6], v[7:8]
	v_lshlrev_b64 v[7:8], 3, v[1:2]
	v_add_nc_u32_e32 v1, s2, v1
	s_delay_alu instid0(VALU_DEP_2) | instskip(NEXT) | instid1(VALU_DEP_3)
	v_add_co_u32 v11, vcc_lo, s6, v7
	v_add_co_ci_u32_e32 v12, vcc_lo, s7, v8, vcc_lo
	v_add_co_u32 v7, vcc_lo, s8, v7
	v_add_co_ci_u32_e32 v8, vcc_lo, s9, v8, vcc_lo
	global_load_b64 v[11:12], v[11:12], off
	v_min_f64 v[5:6], v[5:6], s[0:1]
	s_waitcnt vmcnt(0)
	s_delay_alu instid0(VALU_DEP_1) | instskip(SKIP_3) | instid1(VALU_DEP_2)
	v_mul_f64 v[5:6], v[5:6], v[11:12]
	global_store_b64 v[7:8], v[5:6], off
	v_mul_f64 v[7:8], v[27:28], v[33:34]
	v_mul_f64 v[5:6], v[9:10], v[41:42]
	v_div_scale_f64 v[11:12], null, v[7:8], v[7:8], 1.0
	s_delay_alu instid0(VALU_DEP_1) | instskip(SKIP_2) | instid1(VALU_DEP_1)
	v_rcp_f64_e32 v[13:14], v[11:12]
	s_waitcnt_depctr 0xfff
	v_fma_f64 v[15:16], -v[11:12], v[13:14], 1.0
	v_fma_f64 v[13:14], v[13:14], v[15:16], v[13:14]
	s_delay_alu instid0(VALU_DEP_1) | instskip(NEXT) | instid1(VALU_DEP_1)
	v_fma_f64 v[15:16], -v[11:12], v[13:14], 1.0
	v_fma_f64 v[13:14], v[13:14], v[15:16], v[13:14]
	v_div_scale_f64 v[15:16], vcc_lo, 1.0, v[7:8], 1.0
	s_delay_alu instid0(VALU_DEP_1) | instskip(NEXT) | instid1(VALU_DEP_1)
	v_mul_f64 v[17:18], v[15:16], v[13:14]
	v_fma_f64 v[11:12], -v[11:12], v[17:18], v[15:16]
	s_delay_alu instid0(VALU_DEP_1) | instskip(NEXT) | instid1(VALU_DEP_1)
	v_div_fmas_f64 v[11:12], v[11:12], v[13:14], v[17:18]
	v_div_fixup_f64 v[7:8], v[11:12], v[7:8], 1.0
	s_delay_alu instid0(VALU_DEP_1) | instskip(SKIP_2) | instid1(VALU_DEP_2)
	v_mul_f64 v[5:6], v[7:8], v[5:6]
	v_lshlrev_b64 v[7:8], 3, v[1:2]
	v_add_nc_u32_e32 v1, s2, v1
	v_add_co_u32 v11, vcc_lo, s6, v7
	s_delay_alu instid0(VALU_DEP_3)
	v_add_co_ci_u32_e32 v12, vcc_lo, s7, v8, vcc_lo
	v_add_co_u32 v7, vcc_lo, s8, v7
	v_add_co_ci_u32_e32 v8, vcc_lo, s9, v8, vcc_lo
	global_load_b64 v[11:12], v[11:12], off
	v_lshlrev_b64 v[0:1], 3, v[1:2]
	v_min_f64 v[5:6], v[5:6], s[0:1]
	s_waitcnt vmcnt(0)
	s_delay_alu instid0(VALU_DEP_1) | instskip(SKIP_2) | instid1(VALU_DEP_1)
	v_mul_f64 v[5:6], v[5:6], v[11:12]
	global_store_b64 v[7:8], v[5:6], off
	v_mul_f64 v[5:6], v[9:10], v[31:32]
	v_div_scale_f64 v[7:8], null, v[5:6], v[5:6], 1.0
	s_delay_alu instid0(VALU_DEP_1) | instskip(SKIP_2) | instid1(VALU_DEP_1)
	v_rcp_f64_e32 v[9:10], v[7:8]
	s_waitcnt_depctr 0xfff
	v_fma_f64 v[11:12], -v[7:8], v[9:10], 1.0
	v_fma_f64 v[9:10], v[9:10], v[11:12], v[9:10]
	s_delay_alu instid0(VALU_DEP_1) | instskip(NEXT) | instid1(VALU_DEP_1)
	v_fma_f64 v[11:12], -v[7:8], v[9:10], 1.0
	v_fma_f64 v[9:10], v[9:10], v[11:12], v[9:10]
	v_div_scale_f64 v[11:12], vcc_lo, 1.0, v[5:6], 1.0
	s_delay_alu instid0(VALU_DEP_1) | instskip(NEXT) | instid1(VALU_DEP_1)
	v_mul_f64 v[13:14], v[11:12], v[9:10]
	v_fma_f64 v[7:8], -v[7:8], v[13:14], v[11:12]
	s_delay_alu instid0(VALU_DEP_1) | instskip(NEXT) | instid1(VALU_DEP_1)
	v_div_fmas_f64 v[7:8], v[7:8], v[9:10], v[13:14]
	v_div_fixup_f64 v[5:6], v[7:8], v[5:6], 1.0
	s_delay_alu instid0(VALU_DEP_1)
	v_mul_f64 v[3:4], v[5:6], v[3:4]
	v_add_co_u32 v5, vcc_lo, s6, v0
	v_add_co_ci_u32_e32 v6, vcc_lo, s7, v1, vcc_lo
	v_add_co_u32 v0, vcc_lo, s8, v0
	v_add_co_ci_u32_e32 v1, vcc_lo, s9, v1, vcc_lo
	global_load_b64 v[5:6], v[5:6], off
	v_min_f64 v[2:3], v[3:4], s[0:1]
	s_waitcnt vmcnt(0)
	s_delay_alu instid0(VALU_DEP_1)
	v_mul_f64 v[2:3], v[2:3], v[5:6]
	global_store_b64 v[0:1], v[2:3], off
	s_nop 0
	s_sendmsg sendmsg(MSG_DEALLOC_VGPRS)
	s_endpgm
	.section	.rodata,"a",@progbits
	.p2align	6, 0x0
	.amdhsa_kernel _Z12ratt9_kernelIdEvPKT_S2_PS0_S2_S0_
		.amdhsa_group_segment_fixed_size 0
		.amdhsa_private_segment_fixed_size 0
		.amdhsa_kernarg_size 296
		.amdhsa_user_sgpr_count 15
		.amdhsa_user_sgpr_dispatch_ptr 0
		.amdhsa_user_sgpr_queue_ptr 0
		.amdhsa_user_sgpr_kernarg_segment_ptr 1
		.amdhsa_user_sgpr_dispatch_id 0
		.amdhsa_user_sgpr_private_segment_size 0
		.amdhsa_wavefront_size32 1
		.amdhsa_uses_dynamic_stack 0
		.amdhsa_enable_private_segment 0
		.amdhsa_system_sgpr_workgroup_id_x 1
		.amdhsa_system_sgpr_workgroup_id_y 0
		.amdhsa_system_sgpr_workgroup_id_z 0
		.amdhsa_system_sgpr_workgroup_info 0
		.amdhsa_system_vgpr_workitem_id 0
		.amdhsa_next_free_vgpr 59
		.amdhsa_next_free_sgpr 16
		.amdhsa_reserve_vcc 1
		.amdhsa_float_round_mode_32 0
		.amdhsa_float_round_mode_16_64 0
		.amdhsa_float_denorm_mode_32 3
		.amdhsa_float_denorm_mode_16_64 3
		.amdhsa_dx10_clamp 1
		.amdhsa_ieee_mode 1
		.amdhsa_fp16_overflow 0
		.amdhsa_workgroup_processor_mode 1
		.amdhsa_memory_ordered 1
		.amdhsa_forward_progress 0
		.amdhsa_shared_vgpr_count 0
		.amdhsa_exception_fp_ieee_invalid_op 0
		.amdhsa_exception_fp_denorm_src 0
		.amdhsa_exception_fp_ieee_div_zero 0
		.amdhsa_exception_fp_ieee_overflow 0
		.amdhsa_exception_fp_ieee_underflow 0
		.amdhsa_exception_fp_ieee_inexact 0
		.amdhsa_exception_int_div_zero 0
	.end_amdhsa_kernel
	.section	.text._Z12ratt9_kernelIdEvPKT_S2_PS0_S2_S0_,"axG",@progbits,_Z12ratt9_kernelIdEvPKT_S2_PS0_S2_S0_,comdat
.Lfunc_end37:
	.size	_Z12ratt9_kernelIdEvPKT_S2_PS0_S2_S0_, .Lfunc_end37-_Z12ratt9_kernelIdEvPKT_S2_PS0_S2_S0_
                                        ; -- End function
	.section	.AMDGPU.csdata,"",@progbits
; Kernel info:
; codeLenInByte = 7948
; NumSgprs: 18
; NumVgprs: 59
; ScratchSize: 0
; MemoryBound: 0
; FloatMode: 240
; IeeeMode: 1
; LDSByteSize: 0 bytes/workgroup (compile time only)
; SGPRBlocks: 2
; VGPRBlocks: 7
; NumSGPRsForWavesPerEU: 18
; NumVGPRsForWavesPerEU: 59
; Occupancy: 16
; WaveLimiterHint : 0
; COMPUTE_PGM_RSRC2:SCRATCH_EN: 0
; COMPUTE_PGM_RSRC2:USER_SGPR: 15
; COMPUTE_PGM_RSRC2:TRAP_HANDLER: 0
; COMPUTE_PGM_RSRC2:TGID_X_EN: 1
; COMPUTE_PGM_RSRC2:TGID_Y_EN: 0
; COMPUTE_PGM_RSRC2:TGID_Z_EN: 0
; COMPUTE_PGM_RSRC2:TIDIG_COMP_CNT: 0
	.section	.text._Z13ratt10_kernelIdEvPKT_PS0_S0_,"axG",@progbits,_Z13ratt10_kernelIdEvPKT_PS0_S0_,comdat
	.protected	_Z13ratt10_kernelIdEvPKT_PS0_S0_ ; -- Begin function _Z13ratt10_kernelIdEvPKT_PS0_S0_
	.globl	_Z13ratt10_kernelIdEvPKT_PS0_S0_
	.p2align	8
	.type	_Z13ratt10_kernelIdEvPKT_PS0_S0_,@function
_Z13ratt10_kernelIdEvPKT_PS0_S0_:       ; @_Z13ratt10_kernelIdEvPKT_PS0_S0_
; %bb.0:
	s_clause 0x3
	s_load_b128 s[4:7], s[0:1], 0x0
	s_load_b64 s[2:3], s[0:1], 0x10
	s_load_b32 s30, s[0:1], 0x18
	s_load_b32 s0, s[0:1], 0x24
	s_mov_b32 s8, 0xbf559e2b
	s_mov_b32 s9, 0x3fc3ab76
	;; [unrolled: 1-line block ×19, first 2 shown]
	s_waitcnt lgkmcnt(0)
	s_and_b32 s1, s0, 0xffff
	s_mov_b32 s29, 0x3fe00000
	v_mad_u64_u32 v[1:2], null, s15, s1, v[0:1]
	v_mov_b32_e32 v2, 0
	s_mov_b32 s14, 0x623fde64
	s_mov_b32 s15, 0x3ec71dee
	;; [unrolled: 1-line block ×5, first 2 shown]
	s_delay_alu instid0(VALU_DEP_2)
	v_lshlrev_b64 v[7:8], 3, v[1:2]
	s_mov_b32 s37, 0xc00b5c28
	s_mul_i32 s1, s30, s1
	s_mov_b32 s30, 0x28d78f9e
	v_add_nc_u32_e32 v1, s1, v1
	s_mov_b32 s31, 0x40505d90
	v_add_co_u32 v3, vcc_lo, s4, v7
	v_add_co_ci_u32_e32 v4, vcc_lo, s5, v8, vcc_lo
	s_mov_b32 s4, 0x6b47b09a
	s_mov_b32 s5, 0x3fc38538
	;; [unrolled: 1-line block ×3, first 2 shown]
	global_load_b64 v[3:4], v[3:4], off
	s_mov_b32 s39, 0xc01470a3
	s_mov_b32 s40, 0x70a3d70a
	;; [unrolled: 1-line block ×3, first 2 shown]
	s_waitcnt vmcnt(0)
	v_mul_f64 v[5:6], v[3:4], s[2:3]
	s_mov_b32 s3, 0x3fe55555
	s_mov_b32 s2, 0x55555555
	s_delay_alu instid0(VALU_DEP_1) | instskip(SKIP_1) | instid1(VALU_DEP_2)
	v_frexp_mant_f64_e32 v[3:4], v[5:6]
	v_frexp_exp_i32_f64_e32 v0, v[5:6]
	v_cmp_gt_f64_e32 vcc_lo, s[2:3], v[3:4]
	s_mov_b32 s2, 0x55555780
	v_cndmask_b32_e64 v10, 0x3ff00000, 2.0, vcc_lo
	s_delay_alu instid0(VALU_DEP_3) | instskip(SKIP_2) | instid1(VALU_DEP_1)
	v_subrev_co_ci_u32_e32 v0, vcc_lo, 0, v0, vcc_lo
	v_cmp_class_f64_e64 vcc_lo, v[5:6], 0x204
	v_mov_b32_e32 v9, v2
	v_mul_f64 v[3:4], v[3:4], v[9:10]
	s_delay_alu instid0(VALU_DEP_1) | instskip(SKIP_1) | instid1(VALU_DEP_2)
	v_add_f64 v[11:12], v[3:4], 1.0
	v_add_f64 v[9:10], v[3:4], -1.0
	v_add_f64 v[13:14], v[11:12], -1.0
	s_delay_alu instid0(VALU_DEP_1) | instskip(SKIP_3) | instid1(VALU_DEP_1)
	v_add_f64 v[3:4], v[3:4], -v[13:14]
	v_rcp_f64_e32 v[13:14], v[11:12]
	s_waitcnt_depctr 0xfff
	v_fma_f64 v[15:16], -v[11:12], v[13:14], 1.0
	v_fma_f64 v[13:14], v[15:16], v[13:14], v[13:14]
	s_delay_alu instid0(VALU_DEP_1) | instskip(NEXT) | instid1(VALU_DEP_1)
	v_fma_f64 v[15:16], -v[11:12], v[13:14], 1.0
	v_fma_f64 v[13:14], v[15:16], v[13:14], v[13:14]
	s_delay_alu instid0(VALU_DEP_1) | instskip(NEXT) | instid1(VALU_DEP_1)
	v_mul_f64 v[15:16], v[9:10], v[13:14]
	v_mul_f64 v[17:18], v[11:12], v[15:16]
	s_delay_alu instid0(VALU_DEP_1) | instskip(NEXT) | instid1(VALU_DEP_1)
	v_fma_f64 v[11:12], v[15:16], v[11:12], -v[17:18]
	v_fma_f64 v[3:4], v[15:16], v[3:4], v[11:12]
	s_delay_alu instid0(VALU_DEP_1) | instskip(NEXT) | instid1(VALU_DEP_1)
	v_add_f64 v[11:12], v[17:18], v[3:4]
	v_add_f64 v[19:20], v[9:10], -v[11:12]
	v_add_f64 v[17:18], v[11:12], -v[17:18]
	s_delay_alu instid0(VALU_DEP_2) | instskip(NEXT) | instid1(VALU_DEP_2)
	v_add_f64 v[9:10], v[9:10], -v[19:20]
	v_add_f64 v[3:4], v[17:18], -v[3:4]
	s_delay_alu instid0(VALU_DEP_2) | instskip(NEXT) | instid1(VALU_DEP_1)
	v_add_f64 v[9:10], v[9:10], -v[11:12]
	v_add_f64 v[3:4], v[3:4], v[9:10]
	s_delay_alu instid0(VALU_DEP_1) | instskip(NEXT) | instid1(VALU_DEP_1)
	v_add_f64 v[3:4], v[19:20], v[3:4]
	v_mul_f64 v[3:4], v[13:14], v[3:4]
	s_delay_alu instid0(VALU_DEP_1) | instskip(NEXT) | instid1(VALU_DEP_1)
	v_add_f64 v[9:10], v[15:16], v[3:4]
	v_add_f64 v[11:12], v[9:10], -v[15:16]
	v_ldexp_f64 v[15:16], v[9:10], 1
	s_delay_alu instid0(VALU_DEP_2) | instskip(SKIP_1) | instid1(VALU_DEP_2)
	v_add_f64 v[3:4], v[3:4], -v[11:12]
	v_mul_f64 v[11:12], v[9:10], v[9:10]
	v_ldexp_f64 v[3:4], v[3:4], 1
	s_delay_alu instid0(VALU_DEP_2)
	v_fma_f64 v[13:14], v[11:12], s[8:9], s[4:5]
	s_mov_b32 s4, 0xd7f4df2e
	s_mov_b32 s5, 0x3fc7474d
	v_mul_f64 v[9:10], v[9:10], v[11:12]
	s_mov_b32 s8, 0xb7549584
	s_mov_b32 s9, 0x404523c4
	s_delay_alu instid0(VALU_DEP_2)
	v_fma_f64 v[13:14], v[11:12], v[13:14], s[4:5]
	s_mov_b32 s4, 0x16291751
	s_mov_b32 s5, 0x3fcc71c0
	s_delay_alu instid0(VALU_DEP_1) | instid1(SALU_CYCLE_1)
	v_fma_f64 v[13:14], v[11:12], v[13:14], s[4:5]
	s_mov_b32 s4, 0x9b27acf1
	s_mov_b32 s5, 0x3fd24924
	s_delay_alu instid0(VALU_DEP_1) | instid1(SALU_CYCLE_1)
	;; [unrolled: 4-line block ×3, first 2 shown]
	v_fma_f64 v[13:14], v[11:12], v[13:14], s[4:5]
	s_mov_b32 s5, 0x3c7abc9e
	s_mov_b32 s4, 0x3b39803f
	s_delay_alu instid0(VALU_DEP_1) | instskip(SKIP_2) | instid1(VALU_DEP_1)
	v_fma_f64 v[13:14], v[11:12], v[13:14], s[2:3]
	s_mov_b32 s3, 0x3fe62e42
	s_mov_b32 s2, 0xfefa39ef
	v_mul_f64 v[9:10], v[9:10], v[13:14]
	s_delay_alu instid0(VALU_DEP_1) | instskip(NEXT) | instid1(VALU_DEP_1)
	v_add_f64 v[11:12], v[15:16], v[9:10]
	v_add_f64 v[13:14], v[11:12], -v[15:16]
	s_delay_alu instid0(VALU_DEP_1) | instskip(NEXT) | instid1(VALU_DEP_1)
	v_add_f64 v[9:10], v[9:10], -v[13:14]
	v_add_f64 v[3:4], v[3:4], v[9:10]
	s_delay_alu instid0(VALU_DEP_1) | instskip(NEXT) | instid1(VALU_DEP_1)
	v_add_f64 v[9:10], v[11:12], v[3:4]
	v_add_f64 v[11:12], v[9:10], -v[11:12]
	s_delay_alu instid0(VALU_DEP_1) | instskip(SKIP_1) | instid1(VALU_DEP_1)
	v_add_f64 v[3:4], v[3:4], -v[11:12]
	v_cvt_f64_i32_e32 v[11:12], v0
	v_mul_f64 v[13:14], v[11:12], s[2:3]
	s_delay_alu instid0(VALU_DEP_1) | instskip(SKIP_1) | instid1(VALU_DEP_1)
	v_fma_f64 v[15:16], v[11:12], s[2:3], -v[13:14]
	s_mov_b32 s3, 0xbfe62e42
	v_fma_f64 v[11:12], v[11:12], s[4:5], v[15:16]
	s_mov_b32 s5, 0xbc7abc9e
	s_delay_alu instid0(VALU_DEP_1) | instskip(NEXT) | instid1(VALU_DEP_1)
	v_add_f64 v[15:16], v[13:14], v[11:12]
	v_add_f64 v[13:14], v[15:16], -v[13:14]
	s_delay_alu instid0(VALU_DEP_1) | instskip(SKIP_1) | instid1(VALU_DEP_1)
	v_add_f64 v[11:12], v[11:12], -v[13:14]
	v_add_f64 v[13:14], v[15:16], v[9:10]
	v_add_f64 v[17:18], v[13:14], -v[15:16]
	s_delay_alu instid0(VALU_DEP_1) | instskip(SKIP_1) | instid1(VALU_DEP_2)
	v_add_f64 v[19:20], v[13:14], -v[17:18]
	v_add_f64 v[9:10], v[9:10], -v[17:18]
	;; [unrolled: 1-line block ×3, first 2 shown]
	s_delay_alu instid0(VALU_DEP_1) | instskip(SKIP_1) | instid1(VALU_DEP_1)
	v_add_f64 v[9:10], v[9:10], v[15:16]
	v_add_f64 v[15:16], v[11:12], v[3:4]
	v_add_f64 v[17:18], v[15:16], -v[11:12]
	s_delay_alu instid0(VALU_DEP_3) | instskip(NEXT) | instid1(VALU_DEP_2)
	v_add_f64 v[9:10], v[15:16], v[9:10]
	v_add_f64 v[19:20], v[15:16], -v[17:18]
	v_add_f64 v[3:4], v[3:4], -v[17:18]
	s_delay_alu instid0(VALU_DEP_2) | instskip(NEXT) | instid1(VALU_DEP_1)
	v_add_f64 v[11:12], v[11:12], -v[19:20]
	v_add_f64 v[3:4], v[3:4], v[11:12]
	v_add_f64 v[11:12], v[13:14], v[9:10]
	s_delay_alu instid0(VALU_DEP_1) | instskip(NEXT) | instid1(VALU_DEP_1)
	v_add_f64 v[13:14], v[11:12], -v[13:14]
	v_add_f64 v[9:10], v[9:10], -v[13:14]
	s_delay_alu instid0(VALU_DEP_1) | instskip(NEXT) | instid1(VALU_DEP_1)
	v_add_f64 v[3:4], v[3:4], v[9:10]
	v_add_f64 v[3:4], v[11:12], v[3:4]
	v_div_scale_f64 v[11:12], null, v[5:6], v[5:6], 1.0
	s_delay_alu instid0(VALU_DEP_2) | instskip(NEXT) | instid1(VALU_DEP_2)
	v_cndmask_b32_e32 v0, v3, v5, vcc_lo
	v_rcp_f64_e32 v[13:14], v[11:12]
	s_delay_alu instid0(VALU_DEP_3) | instskip(SKIP_1) | instid1(VALU_DEP_2)
	v_cndmask_b32_e32 v3, v4, v6, vcc_lo
	v_cmp_ngt_f64_e32 vcc_lo, 0, v[5:6]
	v_cndmask_b32_e32 v4, 0x7ff80000, v3, vcc_lo
	s_waitcnt_depctr 0xfff
	v_fma_f64 v[15:16], -v[11:12], v[13:14], 1.0
	v_cmp_nge_f64_e32 vcc_lo, 0, v[5:6]
	s_delay_alu instid0(VALU_DEP_2) | instskip(SKIP_2) | instid1(VALU_DEP_3)
	v_fma_f64 v[13:14], v[13:14], v[15:16], v[13:14]
	v_cndmask_b32_e32 v3, 0, v0, vcc_lo
	v_cmp_neq_f64_e32 vcc_lo, 0, v[5:6]
	v_fma_f64 v[15:16], -v[11:12], v[13:14], 1.0
	v_cndmask_b32_e32 v4, 0xfff00000, v4, vcc_lo
	s_delay_alu instid0(VALU_DEP_1) | instskip(SKIP_4) | instid1(VALU_DEP_3)
	v_fma_f64 v[9:10], v[3:4], s[10:11], s[8:9]
	s_mov_b32 s8, 0x266ba494
	s_mov_b32 s9, 0x408abbbf
	;; [unrolled: 1-line block ×4, first 2 shown]
	v_fma_f64 v[13:14], v[13:14], v[15:16], v[13:14]
	v_div_scale_f64 v[15:16], vcc_lo, 1.0, v[5:6], 1.0
	s_delay_alu instid0(VALU_DEP_1) | instskip(NEXT) | instid1(VALU_DEP_1)
	v_mul_f64 v[17:18], v[15:16], v[13:14]
	v_fma_f64 v[11:12], -v[11:12], v[17:18], v[15:16]
	s_delay_alu instid0(VALU_DEP_1) | instskip(NEXT) | instid1(VALU_DEP_1)
	v_div_fmas_f64 v[11:12], v[11:12], v[13:14], v[17:18]
	v_div_fixup_f64 v[5:6], v[11:12], v[5:6], 1.0
	s_delay_alu instid0(VALU_DEP_1)
	v_fma_f64 v[9:10], v[5:6], s[8:9], v[9:10]
	s_mov_b32 s8, 0x652b82fe
	s_mov_b32 s9, 0x3ff71547
	s_delay_alu instid0(VALU_DEP_1) | instid1(SALU_CYCLE_1)
	v_mul_f64 v[11:12], v[9:10], s[8:9]
	v_cmp_nlt_f64_e32 vcc_lo, 0x40900000, v[9:10]
	v_cmp_ngt_f64_e64 s0, 0xc090cc00, v[9:10]
	s_delay_alu instid0(VALU_DEP_3) | instskip(NEXT) | instid1(VALU_DEP_1)
	v_rndne_f64_e32 v[11:12], v[11:12]
	v_fma_f64 v[13:14], v[11:12], s[2:3], v[9:10]
	v_cvt_i32_f64_e32 v0, v[11:12]
	s_delay_alu instid0(VALU_DEP_2) | instskip(NEXT) | instid1(VALU_DEP_1)
	v_fma_f64 v[13:14], v[11:12], s[4:5], v[13:14]
	v_fma_f64 v[15:16], v[13:14], s[12:13], s[10:11]
	s_delay_alu instid0(VALU_DEP_1) | instskip(NEXT) | instid1(VALU_DEP_1)
	v_fma_f64 v[15:16], v[13:14], v[15:16], s[14:15]
	v_fma_f64 v[15:16], v[13:14], v[15:16], s[16:17]
	s_delay_alu instid0(VALU_DEP_1) | instskip(NEXT) | instid1(VALU_DEP_1)
	;; [unrolled: 3-line block ×5, first 2 shown]
	v_fma_f64 v[15:16], v[13:14], v[15:16], 1.0
	v_fma_f64 v[13:14], v[13:14], v[15:16], 1.0
	s_delay_alu instid0(VALU_DEP_1) | instskip(NEXT) | instid1(VALU_DEP_1)
	v_ldexp_f64 v[11:12], v[13:14], v0
	v_cndmask_b32_e32 v0, 0x7ff00000, v12, vcc_lo
	s_and_b32 vcc_lo, s0, vcc_lo
	s_delay_alu instid0(VALU_DEP_2) | instskip(SKIP_1) | instid1(VALU_DEP_3)
	v_cndmask_b32_e32 v9, 0, v11, vcc_lo
	v_add_co_u32 v7, vcc_lo, s6, v7
	v_cndmask_b32_e64 v10, 0, v0, s0
	v_add_co_ci_u32_e32 v8, vcc_lo, s7, v8, vcc_lo
	global_store_b64 v[7:8], v[9:10], off
	v_fma_f64 v[7:8], v[3:4], s[36:37], s[34:35]
	s_mov_b32 s34, 0x6dc5d639
	s_mov_b32 s35, 0xc0e4b9ca
	;; [unrolled: 1-line block ×4, first 2 shown]
	s_delay_alu instid0(VALU_DEP_1) | instskip(SKIP_2) | instid1(VALU_DEP_1)
	v_fma_f64 v[7:8], v[5:6], s[34:35], v[7:8]
	s_mov_b32 s34, 0x1eb851ec
	s_mov_b32 s35, 0xc00deb85
	v_mul_f64 v[9:10], v[7:8], s[8:9]
	v_cmp_nlt_f64_e32 vcc_lo, 0x40900000, v[7:8]
	v_cmp_ngt_f64_e64 s0, 0xc090cc00, v[7:8]
	s_delay_alu instid0(VALU_DEP_3) | instskip(NEXT) | instid1(VALU_DEP_1)
	v_rndne_f64_e32 v[9:10], v[9:10]
	v_fma_f64 v[11:12], v[9:10], s[2:3], v[7:8]
	v_cvt_i32_f64_e32 v0, v[9:10]
	s_delay_alu instid0(VALU_DEP_2) | instskip(NEXT) | instid1(VALU_DEP_1)
	v_fma_f64 v[11:12], v[9:10], s[4:5], v[11:12]
	v_fma_f64 v[13:14], v[11:12], s[12:13], s[10:11]
	s_delay_alu instid0(VALU_DEP_1) | instskip(NEXT) | instid1(VALU_DEP_1)
	v_fma_f64 v[13:14], v[11:12], v[13:14], s[14:15]
	v_fma_f64 v[13:14], v[11:12], v[13:14], s[16:17]
	s_delay_alu instid0(VALU_DEP_1) | instskip(NEXT) | instid1(VALU_DEP_1)
	;; [unrolled: 3-line block ×5, first 2 shown]
	v_fma_f64 v[13:14], v[11:12], v[13:14], 1.0
	v_fma_f64 v[11:12], v[11:12], v[13:14], 1.0
	s_delay_alu instid0(VALU_DEP_1) | instskip(NEXT) | instid1(VALU_DEP_1)
	v_ldexp_f64 v[9:10], v[11:12], v0
	v_cndmask_b32_e32 v0, 0x7ff00000, v10, vcc_lo
	s_and_b32 vcc_lo, s0, vcc_lo
	s_delay_alu instid0(VALU_DEP_2) | instskip(SKIP_1) | instid1(VALU_DEP_3)
	v_cndmask_b32_e32 v7, 0, v9, vcc_lo
	v_lshlrev_b64 v[9:10], 3, v[1:2]
	v_cndmask_b32_e64 v8, 0, v0, s0
	v_add_nc_u32_e32 v1, s1, v1
	s_delay_alu instid0(VALU_DEP_3) | instskip(NEXT) | instid1(VALU_DEP_4)
	v_add_co_u32 v9, vcc_lo, s6, v9
	v_add_co_ci_u32_e32 v10, vcc_lo, s7, v10, vcc_lo
	global_store_b64 v[9:10], v[7:8], off
	v_fma_f64 v[7:8], v[3:4], s[34:35], s[30:31]
	s_mov_b32 s30, 0xdb445ed5
	s_mov_b32 s31, 0xc08e71d1
	;; [unrolled: 1-line block ×4, first 2 shown]
	s_delay_alu instid0(VALU_DEP_1) | instskip(SKIP_2) | instid1(VALU_DEP_1)
	v_fma_f64 v[7:8], v[5:6], s[30:31], v[7:8]
	s_mov_b32 s30, 0x6d24c689
	s_mov_b32 s31, 0x404bc7f4
	v_mul_f64 v[9:10], v[7:8], s[8:9]
	v_cmp_nlt_f64_e32 vcc_lo, 0x40900000, v[7:8]
	v_cmp_ngt_f64_e64 s0, 0xc090cc00, v[7:8]
	s_delay_alu instid0(VALU_DEP_3) | instskip(NEXT) | instid1(VALU_DEP_1)
	v_rndne_f64_e32 v[9:10], v[9:10]
	v_fma_f64 v[11:12], v[9:10], s[2:3], v[7:8]
	v_cvt_i32_f64_e32 v0, v[9:10]
	s_delay_alu instid0(VALU_DEP_2) | instskip(NEXT) | instid1(VALU_DEP_1)
	v_fma_f64 v[11:12], v[9:10], s[4:5], v[11:12]
	v_fma_f64 v[13:14], v[11:12], s[12:13], s[10:11]
	s_delay_alu instid0(VALU_DEP_1) | instskip(NEXT) | instid1(VALU_DEP_1)
	v_fma_f64 v[13:14], v[11:12], v[13:14], s[14:15]
	v_fma_f64 v[13:14], v[11:12], v[13:14], s[16:17]
	s_delay_alu instid0(VALU_DEP_1) | instskip(NEXT) | instid1(VALU_DEP_1)
	v_fma_f64 v[13:14], v[11:12], v[13:14], s[18:19]
	v_fma_f64 v[13:14], v[11:12], v[13:14], s[20:21]
	s_delay_alu instid0(VALU_DEP_1) | instskip(NEXT) | instid1(VALU_DEP_1)
	v_fma_f64 v[13:14], v[11:12], v[13:14], s[22:23]
	v_fma_f64 v[13:14], v[11:12], v[13:14], s[24:25]
	s_delay_alu instid0(VALU_DEP_1) | instskip(NEXT) | instid1(VALU_DEP_1)
	v_fma_f64 v[13:14], v[11:12], v[13:14], s[26:27]
	v_fma_f64 v[13:14], v[11:12], v[13:14], s[28:29]
	s_delay_alu instid0(VALU_DEP_1) | instskip(NEXT) | instid1(VALU_DEP_1)
	v_fma_f64 v[13:14], v[11:12], v[13:14], 1.0
	v_fma_f64 v[11:12], v[11:12], v[13:14], 1.0
	s_delay_alu instid0(VALU_DEP_1) | instskip(NEXT) | instid1(VALU_DEP_1)
	v_ldexp_f64 v[9:10], v[11:12], v0
	v_cndmask_b32_e32 v0, 0x7ff00000, v10, vcc_lo
	s_and_b32 vcc_lo, s0, vcc_lo
	s_delay_alu instid0(VALU_DEP_2) | instskip(SKIP_1) | instid1(VALU_DEP_3)
	v_cndmask_b32_e32 v7, 0, v9, vcc_lo
	v_lshlrev_b64 v[9:10], 3, v[1:2]
	v_cndmask_b32_e64 v8, 0, v0, s0
	v_add_nc_u32_e32 v1, s1, v1
	s_delay_alu instid0(VALU_DEP_3) | instskip(NEXT) | instid1(VALU_DEP_4)
	v_add_co_u32 v9, vcc_lo, s6, v9
	v_add_co_ci_u32_e32 v10, vcc_lo, s7, v10, vcc_lo
	global_store_b64 v[9:10], v[7:8], off
	v_fma_f64 v[7:8], v[3:4], s[34:35], s[30:31]
	s_mov_b32 s30, 0x85a4f00f
	s_mov_b32 s31, 0xc08668ab
	s_mov_b32 s35, 0xc01e8f5c
	s_delay_alu instid0(VALU_DEP_1) | instskip(SKIP_2) | instid1(VALU_DEP_1)
	v_fma_f64 v[7:8], v[5:6], s[30:31], v[7:8]
	s_mov_b32 s31, 0xc0091eb8
	s_mov_b32 s30, 0x51eb851f
	v_mul_f64 v[9:10], v[7:8], s[8:9]
	v_cmp_nlt_f64_e32 vcc_lo, 0x40900000, v[7:8]
	v_cmp_ngt_f64_e64 s0, 0xc090cc00, v[7:8]
	s_delay_alu instid0(VALU_DEP_3) | instskip(NEXT) | instid1(VALU_DEP_1)
	v_rndne_f64_e32 v[9:10], v[9:10]
	v_fma_f64 v[11:12], v[9:10], s[2:3], v[7:8]
	v_cvt_i32_f64_e32 v0, v[9:10]
	s_delay_alu instid0(VALU_DEP_2) | instskip(NEXT) | instid1(VALU_DEP_1)
	v_fma_f64 v[11:12], v[9:10], s[4:5], v[11:12]
	v_fma_f64 v[13:14], v[11:12], s[12:13], s[10:11]
	s_delay_alu instid0(VALU_DEP_1) | instskip(NEXT) | instid1(VALU_DEP_1)
	v_fma_f64 v[13:14], v[11:12], v[13:14], s[14:15]
	v_fma_f64 v[13:14], v[11:12], v[13:14], s[16:17]
	s_delay_alu instid0(VALU_DEP_1) | instskip(NEXT) | instid1(VALU_DEP_1)
	v_fma_f64 v[13:14], v[11:12], v[13:14], s[18:19]
	v_fma_f64 v[13:14], v[11:12], v[13:14], s[20:21]
	s_delay_alu instid0(VALU_DEP_1) | instskip(NEXT) | instid1(VALU_DEP_1)
	v_fma_f64 v[13:14], v[11:12], v[13:14], s[22:23]
	v_fma_f64 v[13:14], v[11:12], v[13:14], s[24:25]
	s_delay_alu instid0(VALU_DEP_1) | instskip(NEXT) | instid1(VALU_DEP_1)
	v_fma_f64 v[13:14], v[11:12], v[13:14], s[26:27]
	v_fma_f64 v[13:14], v[11:12], v[13:14], s[28:29]
	s_delay_alu instid0(VALU_DEP_1) | instskip(NEXT) | instid1(VALU_DEP_1)
	v_fma_f64 v[13:14], v[11:12], v[13:14], 1.0
	v_fma_f64 v[11:12], v[11:12], v[13:14], 1.0
	s_delay_alu instid0(VALU_DEP_1) | instskip(NEXT) | instid1(VALU_DEP_1)
	v_ldexp_f64 v[9:10], v[11:12], v0
	v_cndmask_b32_e32 v0, 0x7ff00000, v10, vcc_lo
	s_and_b32 vcc_lo, s0, vcc_lo
	s_delay_alu instid0(VALU_DEP_2) | instskip(SKIP_1) | instid1(VALU_DEP_3)
	v_cndmask_b32_e32 v7, 0, v9, vcc_lo
	v_lshlrev_b64 v[9:10], 3, v[1:2]
	v_cndmask_b32_e64 v8, 0, v0, s0
	v_add_nc_u32_e32 v1, s1, v1
	s_delay_alu instid0(VALU_DEP_3) | instskip(NEXT) | instid1(VALU_DEP_4)
	v_add_co_u32 v9, vcc_lo, s6, v9
	v_add_co_ci_u32_e32 v10, vcc_lo, s7, v10, vcc_lo
	global_store_b64 v[9:10], v[7:8], off
	v_fma_f64 v[7:8], v[3:4], s[30:31], s[36:37]
	s_mov_b32 s36, 0xe9ff0cbb
	s_mov_b32 s37, 0xc08357a6
	s_mov_b32 s31, 0xc0229eb8
	;; [unrolled: 46-line block ×3, first 2 shown]
	s_mov_b32 s38, 0x33333333
	s_delay_alu instid0(VALU_DEP_1) | instskip(SKIP_2) | instid1(VALU_DEP_1)
	v_fma_f64 v[7:8], v[5:6], s[36:37], v[7:8]
	s_mov_b32 s36, 0xb60bc028
	s_mov_b32 s37, 0x4051776c
	v_mul_f64 v[9:10], v[7:8], s[8:9]
	v_cmp_nlt_f64_e32 vcc_lo, 0x40900000, v[7:8]
	v_cmp_ngt_f64_e64 s0, 0xc090cc00, v[7:8]
	s_delay_alu instid0(VALU_DEP_3) | instskip(NEXT) | instid1(VALU_DEP_1)
	v_rndne_f64_e32 v[9:10], v[9:10]
	v_fma_f64 v[11:12], v[9:10], s[2:3], v[7:8]
	v_cvt_i32_f64_e32 v0, v[9:10]
	s_delay_alu instid0(VALU_DEP_2) | instskip(NEXT) | instid1(VALU_DEP_1)
	v_fma_f64 v[11:12], v[9:10], s[4:5], v[11:12]
	v_fma_f64 v[13:14], v[11:12], s[12:13], s[10:11]
	s_delay_alu instid0(VALU_DEP_1) | instskip(NEXT) | instid1(VALU_DEP_1)
	v_fma_f64 v[13:14], v[11:12], v[13:14], s[14:15]
	v_fma_f64 v[13:14], v[11:12], v[13:14], s[16:17]
	s_delay_alu instid0(VALU_DEP_1) | instskip(NEXT) | instid1(VALU_DEP_1)
	;; [unrolled: 3-line block ×5, first 2 shown]
	v_fma_f64 v[13:14], v[11:12], v[13:14], 1.0
	v_fma_f64 v[11:12], v[11:12], v[13:14], 1.0
	s_delay_alu instid0(VALU_DEP_1) | instskip(NEXT) | instid1(VALU_DEP_1)
	v_ldexp_f64 v[9:10], v[11:12], v0
	v_cndmask_b32_e32 v0, 0x7ff00000, v10, vcc_lo
	s_and_b32 vcc_lo, s0, vcc_lo
	s_delay_alu instid0(VALU_DEP_2) | instskip(SKIP_1) | instid1(VALU_DEP_3)
	v_cndmask_b32_e32 v7, 0, v9, vcc_lo
	v_lshlrev_b64 v[9:10], 3, v[1:2]
	v_cndmask_b32_e64 v8, 0, v0, s0
	v_add_nc_u32_e32 v1, s1, v1
	s_delay_alu instid0(VALU_DEP_3) | instskip(NEXT) | instid1(VALU_DEP_4)
	v_add_co_u32 v9, vcc_lo, s6, v9
	v_add_co_ci_u32_e32 v10, vcc_lo, s7, v10, vcc_lo
	global_store_b64 v[9:10], v[7:8], off
	v_fma_f64 v[7:8], v[3:4], s[38:39], s[36:37]
	s_mov_b32 s36, 0xf3775b81
	s_mov_b32 s37, 0xc0a5dbc4
	s_mov_b32 s39, 0xc00b3333
	s_delay_alu instid0(VALU_DEP_1) | instskip(SKIP_2) | instid1(VALU_DEP_1)
	v_fma_f64 v[7:8], v[5:6], s[36:37], v[7:8]
	s_mov_b32 s36, 0x5d2dd880
	s_mov_b32 s37, 0x4053391c
	v_mul_f64 v[9:10], v[7:8], s[8:9]
	v_cmp_nlt_f64_e32 vcc_lo, 0x40900000, v[7:8]
	v_cmp_ngt_f64_e64 s0, 0xc090cc00, v[7:8]
	s_delay_alu instid0(VALU_DEP_3) | instskip(NEXT) | instid1(VALU_DEP_1)
	v_rndne_f64_e32 v[9:10], v[9:10]
	v_fma_f64 v[11:12], v[9:10], s[2:3], v[7:8]
	v_cvt_i32_f64_e32 v0, v[9:10]
	s_delay_alu instid0(VALU_DEP_2) | instskip(NEXT) | instid1(VALU_DEP_1)
	v_fma_f64 v[11:12], v[9:10], s[4:5], v[11:12]
	v_fma_f64 v[13:14], v[11:12], s[12:13], s[10:11]
	s_delay_alu instid0(VALU_DEP_1) | instskip(NEXT) | instid1(VALU_DEP_1)
	v_fma_f64 v[13:14], v[11:12], v[13:14], s[14:15]
	v_fma_f64 v[13:14], v[11:12], v[13:14], s[16:17]
	s_delay_alu instid0(VALU_DEP_1) | instskip(NEXT) | instid1(VALU_DEP_1)
	v_fma_f64 v[13:14], v[11:12], v[13:14], s[18:19]
	v_fma_f64 v[13:14], v[11:12], v[13:14], s[20:21]
	s_delay_alu instid0(VALU_DEP_1) | instskip(NEXT) | instid1(VALU_DEP_1)
	v_fma_f64 v[13:14], v[11:12], v[13:14], s[22:23]
	v_fma_f64 v[13:14], v[11:12], v[13:14], s[24:25]
	s_delay_alu instid0(VALU_DEP_1) | instskip(NEXT) | instid1(VALU_DEP_1)
	v_fma_f64 v[13:14], v[11:12], v[13:14], s[26:27]
	v_fma_f64 v[13:14], v[11:12], v[13:14], s[28:29]
	s_delay_alu instid0(VALU_DEP_1) | instskip(NEXT) | instid1(VALU_DEP_1)
	v_fma_f64 v[13:14], v[11:12], v[13:14], 1.0
	v_fma_f64 v[11:12], v[11:12], v[13:14], 1.0
	s_delay_alu instid0(VALU_DEP_1) | instskip(NEXT) | instid1(VALU_DEP_1)
	v_ldexp_f64 v[9:10], v[11:12], v0
	v_cndmask_b32_e32 v0, 0x7ff00000, v10, vcc_lo
	s_and_b32 vcc_lo, s0, vcc_lo
	s_delay_alu instid0(VALU_DEP_2) | instskip(SKIP_1) | instid1(VALU_DEP_3)
	v_cndmask_b32_e32 v7, 0, v9, vcc_lo
	v_lshlrev_b64 v[9:10], 3, v[1:2]
	v_cndmask_b32_e64 v8, 0, v0, s0
	v_add_nc_u32_e32 v1, s1, v1
	s_delay_alu instid0(VALU_DEP_3) | instskip(NEXT) | instid1(VALU_DEP_4)
	v_add_co_u32 v9, vcc_lo, s6, v9
	v_add_co_ci_u32_e32 v10, vcc_lo, s7, v10, vcc_lo
	global_store_b64 v[9:10], v[7:8], off
	v_fma_f64 v[7:8], v[3:4], s[40:41], s[36:37]
	s_mov_b32 s36, 0x9bf9c63
	s_mov_b32 s37, 0xc0932f65
	s_mov_b32 s40, 0x56041893
	s_mov_b32 s41, 0xc0232d0e
	s_delay_alu instid0(VALU_DEP_1) | instskip(SKIP_2) | instid1(VALU_DEP_1)
	v_fma_f64 v[7:8], v[5:6], s[36:37], v[7:8]
	s_mov_b32 s36, 0xb0292817
	s_mov_b32 s37, 0x405bd400
	v_mul_f64 v[9:10], v[7:8], s[8:9]
	v_cmp_nlt_f64_e32 vcc_lo, 0x40900000, v[7:8]
	v_cmp_ngt_f64_e64 s0, 0xc090cc00, v[7:8]
	s_delay_alu instid0(VALU_DEP_3) | instskip(NEXT) | instid1(VALU_DEP_1)
	v_rndne_f64_e32 v[9:10], v[9:10]
	v_fma_f64 v[11:12], v[9:10], s[2:3], v[7:8]
	v_cvt_i32_f64_e32 v0, v[9:10]
	s_delay_alu instid0(VALU_DEP_2) | instskip(NEXT) | instid1(VALU_DEP_1)
	v_fma_f64 v[11:12], v[9:10], s[4:5], v[11:12]
	v_fma_f64 v[13:14], v[11:12], s[12:13], s[10:11]
	s_delay_alu instid0(VALU_DEP_1) | instskip(NEXT) | instid1(VALU_DEP_1)
	v_fma_f64 v[13:14], v[11:12], v[13:14], s[14:15]
	v_fma_f64 v[13:14], v[11:12], v[13:14], s[16:17]
	s_delay_alu instid0(VALU_DEP_1) | instskip(NEXT) | instid1(VALU_DEP_1)
	v_fma_f64 v[13:14], v[11:12], v[13:14], s[18:19]
	v_fma_f64 v[13:14], v[11:12], v[13:14], s[20:21]
	s_delay_alu instid0(VALU_DEP_1) | instskip(NEXT) | instid1(VALU_DEP_1)
	v_fma_f64 v[13:14], v[11:12], v[13:14], s[22:23]
	v_fma_f64 v[13:14], v[11:12], v[13:14], s[24:25]
	s_delay_alu instid0(VALU_DEP_1) | instskip(NEXT) | instid1(VALU_DEP_1)
	v_fma_f64 v[13:14], v[11:12], v[13:14], s[26:27]
	v_fma_f64 v[13:14], v[11:12], v[13:14], s[28:29]
	s_delay_alu instid0(VALU_DEP_1) | instskip(NEXT) | instid1(VALU_DEP_1)
	v_fma_f64 v[13:14], v[11:12], v[13:14], 1.0
	v_fma_f64 v[11:12], v[11:12], v[13:14], 1.0
	s_delay_alu instid0(VALU_DEP_1) | instskip(NEXT) | instid1(VALU_DEP_1)
	v_ldexp_f64 v[9:10], v[11:12], v0
	v_cndmask_b32_e32 v0, 0x7ff00000, v10, vcc_lo
	s_and_b32 vcc_lo, s0, vcc_lo
	s_delay_alu instid0(VALU_DEP_2) | instskip(SKIP_1) | instid1(VALU_DEP_3)
	v_cndmask_b32_e32 v7, 0, v9, vcc_lo
	v_lshlrev_b64 v[9:10], 3, v[1:2]
	v_cndmask_b32_e64 v8, 0, v0, s0
	v_add_nc_u32_e32 v1, s1, v1
	s_delay_alu instid0(VALU_DEP_3) | instskip(NEXT) | instid1(VALU_DEP_4)
	v_add_co_u32 v9, vcc_lo, s6, v9
	v_add_co_ci_u32_e32 v10, vcc_lo, s7, v10, vcc_lo
	global_store_b64 v[9:10], v[7:8], off
	v_fma_f64 v[7:8], v[3:4], s[40:41], s[36:37]
	s_mov_b32 s36, 0x5c28f5c3
	;; [unrolled: 47-line block ×4, first 2 shown]
	s_mov_b32 s41, 0xc0d86c77
	s_mov_b32 s37, 0xc01e7ae1
	s_delay_alu instid0(VALU_DEP_1) | instskip(SKIP_2) | instid1(VALU_DEP_1)
	v_fma_f64 v[7:8], v[5:6], s[40:41], v[7:8]
	s_mov_b32 s40, 0x54690de
	s_mov_b32 s41, 0x404f8e4e
	v_mul_f64 v[9:10], v[7:8], s[8:9]
	v_cmp_nlt_f64_e32 vcc_lo, 0x40900000, v[7:8]
	v_cmp_ngt_f64_e64 s0, 0xc090cc00, v[7:8]
	s_delay_alu instid0(VALU_DEP_3) | instskip(NEXT) | instid1(VALU_DEP_1)
	v_rndne_f64_e32 v[9:10], v[9:10]
	v_fma_f64 v[11:12], v[9:10], s[2:3], v[7:8]
	v_cvt_i32_f64_e32 v0, v[9:10]
	s_delay_alu instid0(VALU_DEP_2) | instskip(NEXT) | instid1(VALU_DEP_1)
	v_fma_f64 v[11:12], v[9:10], s[4:5], v[11:12]
	v_fma_f64 v[13:14], v[11:12], s[12:13], s[10:11]
	s_delay_alu instid0(VALU_DEP_1) | instskip(NEXT) | instid1(VALU_DEP_1)
	v_fma_f64 v[13:14], v[11:12], v[13:14], s[14:15]
	v_fma_f64 v[13:14], v[11:12], v[13:14], s[16:17]
	s_delay_alu instid0(VALU_DEP_1) | instskip(NEXT) | instid1(VALU_DEP_1)
	v_fma_f64 v[13:14], v[11:12], v[13:14], s[18:19]
	v_fma_f64 v[13:14], v[11:12], v[13:14], s[20:21]
	s_delay_alu instid0(VALU_DEP_1) | instskip(NEXT) | instid1(VALU_DEP_1)
	v_fma_f64 v[13:14], v[11:12], v[13:14], s[22:23]
	v_fma_f64 v[13:14], v[11:12], v[13:14], s[24:25]
	s_delay_alu instid0(VALU_DEP_1) | instskip(NEXT) | instid1(VALU_DEP_1)
	v_fma_f64 v[13:14], v[11:12], v[13:14], s[26:27]
	v_fma_f64 v[13:14], v[11:12], v[13:14], s[28:29]
	s_delay_alu instid0(VALU_DEP_1) | instskip(NEXT) | instid1(VALU_DEP_1)
	v_fma_f64 v[13:14], v[11:12], v[13:14], 1.0
	v_fma_f64 v[11:12], v[11:12], v[13:14], 1.0
	s_delay_alu instid0(VALU_DEP_1) | instskip(NEXT) | instid1(VALU_DEP_1)
	v_ldexp_f64 v[9:10], v[11:12], v0
	v_cndmask_b32_e32 v0, 0x7ff00000, v10, vcc_lo
	s_and_b32 vcc_lo, s0, vcc_lo
	s_delay_alu instid0(VALU_DEP_2) | instskip(SKIP_1) | instid1(VALU_DEP_3)
	v_cndmask_b32_e32 v7, 0, v9, vcc_lo
	v_lshlrev_b64 v[9:10], 3, v[1:2]
	v_cndmask_b32_e64 v8, 0, v0, s0
	v_add_nc_u32_e32 v1, s1, v1
	s_delay_alu instid0(VALU_DEP_3) | instskip(NEXT) | instid1(VALU_DEP_4)
	v_add_co_u32 v9, vcc_lo, s6, v9
	v_add_co_ci_u32_e32 v10, vcc_lo, s7, v10, vcc_lo
	global_store_b64 v[9:10], v[7:8], off
	v_fma_f64 v[7:8], v[3:4], s[38:39], s[40:41]
	s_mov_b32 s38, 0xce703afb
	s_mov_b32 s39, 0xc0d197a0
	s_delay_alu instid0(VALU_DEP_1) | instid1(SALU_CYCLE_1)
	v_fma_f64 v[7:8], v[5:6], s[38:39], v[7:8]
	s_mov_b32 s38, 0x60e6caa5
	s_mov_b32 s39, 0x4057ef6c
	s_delay_alu instid0(VALU_DEP_1) | instskip(SKIP_2) | instid1(VALU_DEP_3)
	v_mul_f64 v[9:10], v[7:8], s[8:9]
	v_cmp_nlt_f64_e32 vcc_lo, 0x40900000, v[7:8]
	v_cmp_ngt_f64_e64 s0, 0xc090cc00, v[7:8]
	v_rndne_f64_e32 v[9:10], v[9:10]
	s_delay_alu instid0(VALU_DEP_1) | instskip(SKIP_1) | instid1(VALU_DEP_2)
	v_fma_f64 v[11:12], v[9:10], s[2:3], v[7:8]
	v_cvt_i32_f64_e32 v0, v[9:10]
	v_fma_f64 v[11:12], v[9:10], s[4:5], v[11:12]
	s_delay_alu instid0(VALU_DEP_1) | instskip(NEXT) | instid1(VALU_DEP_1)
	v_fma_f64 v[13:14], v[11:12], s[12:13], s[10:11]
	v_fma_f64 v[13:14], v[11:12], v[13:14], s[14:15]
	s_delay_alu instid0(VALU_DEP_1) | instskip(NEXT) | instid1(VALU_DEP_1)
	v_fma_f64 v[13:14], v[11:12], v[13:14], s[16:17]
	v_fma_f64 v[13:14], v[11:12], v[13:14], s[18:19]
	s_delay_alu instid0(VALU_DEP_1) | instskip(NEXT) | instid1(VALU_DEP_1)
	v_fma_f64 v[13:14], v[11:12], v[13:14], s[20:21]
	v_fma_f64 v[13:14], v[11:12], v[13:14], s[22:23]
	s_delay_alu instid0(VALU_DEP_1) | instskip(NEXT) | instid1(VALU_DEP_1)
	v_fma_f64 v[13:14], v[11:12], v[13:14], s[24:25]
	v_fma_f64 v[13:14], v[11:12], v[13:14], s[26:27]
	s_delay_alu instid0(VALU_DEP_1) | instskip(NEXT) | instid1(VALU_DEP_1)
	v_fma_f64 v[13:14], v[11:12], v[13:14], s[28:29]
	v_fma_f64 v[13:14], v[11:12], v[13:14], 1.0
	s_delay_alu instid0(VALU_DEP_1) | instskip(NEXT) | instid1(VALU_DEP_1)
	v_fma_f64 v[11:12], v[11:12], v[13:14], 1.0
	v_ldexp_f64 v[9:10], v[11:12], v0
	s_delay_alu instid0(VALU_DEP_1) | instskip(SKIP_1) | instid1(VALU_DEP_2)
	v_cndmask_b32_e32 v0, 0x7ff00000, v10, vcc_lo
	s_and_b32 vcc_lo, s0, vcc_lo
	v_cndmask_b32_e32 v7, 0, v9, vcc_lo
	v_lshlrev_b64 v[9:10], 3, v[1:2]
	s_delay_alu instid0(VALU_DEP_3) | instskip(SKIP_1) | instid1(VALU_DEP_3)
	v_cndmask_b32_e64 v8, 0, v0, s0
	v_add_nc_u32_e32 v1, s1, v1
	v_add_co_u32 v9, vcc_lo, s6, v9
	s_delay_alu instid0(VALU_DEP_4)
	v_add_co_ci_u32_e32 v10, vcc_lo, s7, v10, vcc_lo
	global_store_b64 v[9:10], v[7:8], off
	v_fma_f64 v[7:8], v[3:4], s[34:35], s[38:39]
	s_mov_b32 s34, 0x414a4d2b
	s_mov_b32 s35, 0xc0b76447
	;; [unrolled: 1-line block ×4, first 2 shown]
	s_delay_alu instid0(VALU_DEP_1) | instskip(SKIP_2) | instid1(VALU_DEP_1)
	v_fma_f64 v[7:8], v[5:6], s[34:35], v[7:8]
	s_mov_b32 s35, 0xc00ee147
	s_mov_b32 s34, 0xae147ae1
	v_mul_f64 v[9:10], v[7:8], s[8:9]
	v_cmp_nlt_f64_e32 vcc_lo, 0x40900000, v[7:8]
	v_cmp_ngt_f64_e64 s0, 0xc090cc00, v[7:8]
	s_delay_alu instid0(VALU_DEP_3) | instskip(NEXT) | instid1(VALU_DEP_1)
	v_rndne_f64_e32 v[9:10], v[9:10]
	v_fma_f64 v[11:12], v[9:10], s[2:3], v[7:8]
	v_cvt_i32_f64_e32 v0, v[9:10]
	s_delay_alu instid0(VALU_DEP_2) | instskip(NEXT) | instid1(VALU_DEP_1)
	v_fma_f64 v[11:12], v[9:10], s[4:5], v[11:12]
	v_fma_f64 v[13:14], v[11:12], s[12:13], s[10:11]
	s_delay_alu instid0(VALU_DEP_1) | instskip(NEXT) | instid1(VALU_DEP_1)
	v_fma_f64 v[13:14], v[11:12], v[13:14], s[14:15]
	v_fma_f64 v[13:14], v[11:12], v[13:14], s[16:17]
	s_delay_alu instid0(VALU_DEP_1) | instskip(NEXT) | instid1(VALU_DEP_1)
	;; [unrolled: 3-line block ×5, first 2 shown]
	v_fma_f64 v[13:14], v[11:12], v[13:14], 1.0
	v_fma_f64 v[11:12], v[11:12], v[13:14], 1.0
	s_delay_alu instid0(VALU_DEP_1) | instskip(NEXT) | instid1(VALU_DEP_1)
	v_ldexp_f64 v[9:10], v[11:12], v0
	v_cndmask_b32_e32 v0, 0x7ff00000, v10, vcc_lo
	s_and_b32 vcc_lo, s0, vcc_lo
	s_delay_alu instid0(VALU_DEP_2) | instskip(SKIP_1) | instid1(VALU_DEP_3)
	v_cndmask_b32_e32 v7, 0, v9, vcc_lo
	v_lshlrev_b64 v[9:10], 3, v[1:2]
	v_cndmask_b32_e64 v8, 0, v0, s0
	v_add_nc_u32_e32 v1, s1, v1
	s_delay_alu instid0(VALU_DEP_3) | instskip(NEXT) | instid1(VALU_DEP_4)
	v_add_co_u32 v9, vcc_lo, s6, v9
	v_add_co_ci_u32_e32 v10, vcc_lo, s7, v10, vcc_lo
	global_store_b64 v[9:10], v[7:8], off
	v_fma_f64 v[7:8], v[3:4], s[34:35], s[38:39]
	s_mov_b32 s38, 0xa4e7ab75
	s_mov_b32 s39, 0xc09a1ab7
	;; [unrolled: 1-line block ×3, first 2 shown]
	s_delay_alu instid0(VALU_DEP_1) | instskip(SKIP_2) | instid1(VALU_DEP_1)
	v_fma_f64 v[7:8], v[5:6], s[38:39], v[7:8]
	s_mov_b32 s38, 0xb07d0aee
	s_mov_b32 s39, 0x4060e00c
	v_mul_f64 v[9:10], v[7:8], s[8:9]
	v_cmp_nlt_f64_e32 vcc_lo, 0x40900000, v[7:8]
	v_cmp_ngt_f64_e64 s0, 0xc090cc00, v[7:8]
	s_delay_alu instid0(VALU_DEP_3) | instskip(NEXT) | instid1(VALU_DEP_1)
	v_rndne_f64_e32 v[9:10], v[9:10]
	v_fma_f64 v[11:12], v[9:10], s[2:3], v[7:8]
	v_cvt_i32_f64_e32 v0, v[9:10]
	s_delay_alu instid0(VALU_DEP_2) | instskip(NEXT) | instid1(VALU_DEP_1)
	v_fma_f64 v[11:12], v[9:10], s[4:5], v[11:12]
	v_fma_f64 v[13:14], v[11:12], s[12:13], s[10:11]
	s_delay_alu instid0(VALU_DEP_1) | instskip(NEXT) | instid1(VALU_DEP_1)
	v_fma_f64 v[13:14], v[11:12], v[13:14], s[14:15]
	v_fma_f64 v[13:14], v[11:12], v[13:14], s[16:17]
	s_delay_alu instid0(VALU_DEP_1) | instskip(NEXT) | instid1(VALU_DEP_1)
	;; [unrolled: 3-line block ×5, first 2 shown]
	v_fma_f64 v[13:14], v[11:12], v[13:14], 1.0
	v_fma_f64 v[11:12], v[11:12], v[13:14], 1.0
	s_delay_alu instid0(VALU_DEP_1) | instskip(NEXT) | instid1(VALU_DEP_1)
	v_ldexp_f64 v[9:10], v[11:12], v0
	v_cndmask_b32_e32 v0, 0x7ff00000, v10, vcc_lo
	s_and_b32 vcc_lo, s0, vcc_lo
	s_delay_alu instid0(VALU_DEP_2) | instskip(SKIP_1) | instid1(VALU_DEP_3)
	v_cndmask_b32_e32 v7, 0, v9, vcc_lo
	v_lshlrev_b64 v[9:10], 3, v[1:2]
	v_cndmask_b32_e64 v8, 0, v0, s0
	v_add_nc_u32_e32 v1, s1, v1
	s_delay_alu instid0(VALU_DEP_3) | instskip(NEXT) | instid1(VALU_DEP_4)
	v_add_co_u32 v9, vcc_lo, s6, v9
	v_add_co_ci_u32_e32 v10, vcc_lo, s7, v10, vcc_lo
	global_store_b64 v[9:10], v[7:8], off
	v_fma_f64 v[7:8], v[3:4], s[34:35], s[38:39]
	s_mov_b32 s34, 0x81d7dbf5
	s_mov_b32 s35, 0xc0b33453
	;; [unrolled: 1-line block ×4, first 2 shown]
	s_delay_alu instid0(VALU_DEP_1) | instskip(SKIP_2) | instid1(VALU_DEP_1)
	v_fma_f64 v[7:8], v[5:6], s[34:35], v[7:8]
	s_mov_b32 s34, 0x3c6ff2d7
	s_mov_b32 s35, 0x4056dcc4
	v_mul_f64 v[9:10], v[7:8], s[8:9]
	v_cmp_nlt_f64_e32 vcc_lo, 0x40900000, v[7:8]
	v_cmp_ngt_f64_e64 s0, 0xc090cc00, v[7:8]
	s_delay_alu instid0(VALU_DEP_3) | instskip(NEXT) | instid1(VALU_DEP_1)
	v_rndne_f64_e32 v[9:10], v[9:10]
	v_fma_f64 v[11:12], v[9:10], s[2:3], v[7:8]
	v_cvt_i32_f64_e32 v0, v[9:10]
	s_delay_alu instid0(VALU_DEP_2) | instskip(NEXT) | instid1(VALU_DEP_1)
	v_fma_f64 v[11:12], v[9:10], s[4:5], v[11:12]
	v_fma_f64 v[13:14], v[11:12], s[12:13], s[10:11]
	s_delay_alu instid0(VALU_DEP_1) | instskip(NEXT) | instid1(VALU_DEP_1)
	v_fma_f64 v[13:14], v[11:12], v[13:14], s[14:15]
	v_fma_f64 v[13:14], v[11:12], v[13:14], s[16:17]
	s_delay_alu instid0(VALU_DEP_1) | instskip(NEXT) | instid1(VALU_DEP_1)
	;; [unrolled: 3-line block ×5, first 2 shown]
	v_fma_f64 v[13:14], v[11:12], v[13:14], 1.0
	v_fma_f64 v[11:12], v[11:12], v[13:14], 1.0
	s_delay_alu instid0(VALU_DEP_1) | instskip(NEXT) | instid1(VALU_DEP_1)
	v_ldexp_f64 v[9:10], v[11:12], v0
	v_cndmask_b32_e32 v0, 0x7ff00000, v10, vcc_lo
	s_and_b32 vcc_lo, s0, vcc_lo
	s_delay_alu instid0(VALU_DEP_2) | instskip(SKIP_1) | instid1(VALU_DEP_3)
	v_cndmask_b32_e32 v7, 0, v9, vcc_lo
	v_lshlrev_b64 v[9:10], 3, v[1:2]
	v_cndmask_b32_e64 v8, 0, v0, s0
	v_add_nc_u32_e32 v1, s1, v1
	s_delay_alu instid0(VALU_DEP_3) | instskip(NEXT) | instid1(VALU_DEP_4)
	v_add_co_u32 v9, vcc_lo, s6, v9
	v_add_co_ci_u32_e32 v10, vcc_lo, s7, v10, vcc_lo
	global_store_b64 v[9:10], v[7:8], off
	v_fma_f64 v[7:8], v[3:4], s[38:39], s[34:35]
	s_mov_b32 s34, 0x970f7b9e
	s_mov_b32 s35, 0xc0a27a3c
	s_delay_alu instid0(VALU_DEP_1) | instid1(SALU_CYCLE_1)
	v_fma_f64 v[7:8], v[5:6], s[34:35], v[7:8]
	s_mov_b32 s34, 0x80dc3372
	s_mov_b32 s35, 0x405d44cf
	s_delay_alu instid0(VALU_DEP_1) | instskip(SKIP_2) | instid1(VALU_DEP_3)
	v_mul_f64 v[9:10], v[7:8], s[8:9]
	v_cmp_nlt_f64_e32 vcc_lo, 0x40900000, v[7:8]
	v_cmp_ngt_f64_e64 s0, 0xc090cc00, v[7:8]
	v_rndne_f64_e32 v[9:10], v[9:10]
	s_delay_alu instid0(VALU_DEP_1) | instskip(SKIP_1) | instid1(VALU_DEP_2)
	v_fma_f64 v[11:12], v[9:10], s[2:3], v[7:8]
	v_cvt_i32_f64_e32 v0, v[9:10]
	v_fma_f64 v[11:12], v[9:10], s[4:5], v[11:12]
	s_delay_alu instid0(VALU_DEP_1) | instskip(NEXT) | instid1(VALU_DEP_1)
	v_fma_f64 v[13:14], v[11:12], s[12:13], s[10:11]
	v_fma_f64 v[13:14], v[11:12], v[13:14], s[14:15]
	s_delay_alu instid0(VALU_DEP_1) | instskip(NEXT) | instid1(VALU_DEP_1)
	v_fma_f64 v[13:14], v[11:12], v[13:14], s[16:17]
	;; [unrolled: 3-line block ×5, first 2 shown]
	v_fma_f64 v[13:14], v[11:12], v[13:14], 1.0
	s_delay_alu instid0(VALU_DEP_1) | instskip(NEXT) | instid1(VALU_DEP_1)
	v_fma_f64 v[11:12], v[11:12], v[13:14], 1.0
	v_ldexp_f64 v[9:10], v[11:12], v0
	s_delay_alu instid0(VALU_DEP_1) | instskip(SKIP_1) | instid1(VALU_DEP_2)
	v_cndmask_b32_e32 v0, 0x7ff00000, v10, vcc_lo
	s_and_b32 vcc_lo, s0, vcc_lo
	v_cndmask_b32_e32 v7, 0, v9, vcc_lo
	v_lshlrev_b64 v[9:10], 3, v[1:2]
	s_delay_alu instid0(VALU_DEP_3) | instskip(SKIP_1) | instid1(VALU_DEP_3)
	v_cndmask_b32_e64 v8, 0, v0, s0
	v_add_nc_u32_e32 v1, s1, v1
	v_add_co_u32 v9, vcc_lo, s6, v9
	s_delay_alu instid0(VALU_DEP_4)
	v_add_co_ci_u32_e32 v10, vcc_lo, s7, v10, vcc_lo
	global_store_b64 v[9:10], v[7:8], off
	v_fma_f64 v[7:8], v[3:4], s[30:31], s[34:35]
	s_mov_b32 s30, 0xecbfb15b
	s_mov_b32 s31, 0xc0e88966
	;; [unrolled: 1-line block ×4, first 2 shown]
	s_delay_alu instid0(VALU_DEP_1) | instskip(SKIP_2) | instid1(VALU_DEP_1)
	v_fma_f64 v[7:8], v[5:6], s[30:31], v[7:8]
	s_mov_b32 s30, 0x6e8f29d4
	s_mov_b32 s31, 0x40583904
	v_mul_f64 v[9:10], v[7:8], s[8:9]
	v_cmp_nlt_f64_e32 vcc_lo, 0x40900000, v[7:8]
	v_cmp_ngt_f64_e64 s0, 0xc090cc00, v[7:8]
	s_delay_alu instid0(VALU_DEP_3) | instskip(NEXT) | instid1(VALU_DEP_1)
	v_rndne_f64_e32 v[9:10], v[9:10]
	v_fma_f64 v[11:12], v[9:10], s[2:3], v[7:8]
	v_cvt_i32_f64_e32 v0, v[9:10]
	s_delay_alu instid0(VALU_DEP_2) | instskip(NEXT) | instid1(VALU_DEP_1)
	v_fma_f64 v[11:12], v[9:10], s[4:5], v[11:12]
	v_fma_f64 v[13:14], v[11:12], s[12:13], s[10:11]
	s_delay_alu instid0(VALU_DEP_1) | instskip(NEXT) | instid1(VALU_DEP_1)
	v_fma_f64 v[13:14], v[11:12], v[13:14], s[14:15]
	v_fma_f64 v[13:14], v[11:12], v[13:14], s[16:17]
	s_delay_alu instid0(VALU_DEP_1) | instskip(NEXT) | instid1(VALU_DEP_1)
	v_fma_f64 v[13:14], v[11:12], v[13:14], s[18:19]
	v_fma_f64 v[13:14], v[11:12], v[13:14], s[20:21]
	s_delay_alu instid0(VALU_DEP_1) | instskip(NEXT) | instid1(VALU_DEP_1)
	v_fma_f64 v[13:14], v[11:12], v[13:14], s[22:23]
	v_fma_f64 v[13:14], v[11:12], v[13:14], s[24:25]
	s_delay_alu instid0(VALU_DEP_1) | instskip(NEXT) | instid1(VALU_DEP_1)
	v_fma_f64 v[13:14], v[11:12], v[13:14], s[26:27]
	v_fma_f64 v[13:14], v[11:12], v[13:14], s[28:29]
	s_delay_alu instid0(VALU_DEP_1) | instskip(NEXT) | instid1(VALU_DEP_1)
	v_fma_f64 v[13:14], v[11:12], v[13:14], 1.0
	v_fma_f64 v[11:12], v[11:12], v[13:14], 1.0
	s_delay_alu instid0(VALU_DEP_1) | instskip(NEXT) | instid1(VALU_DEP_1)
	v_ldexp_f64 v[9:10], v[11:12], v0
	v_cndmask_b32_e32 v0, 0x7ff00000, v10, vcc_lo
	s_and_b32 vcc_lo, s0, vcc_lo
	s_delay_alu instid0(VALU_DEP_2) | instskip(SKIP_1) | instid1(VALU_DEP_3)
	v_cndmask_b32_e32 v7, 0, v9, vcc_lo
	v_lshlrev_b64 v[9:10], 3, v[1:2]
	v_cndmask_b32_e64 v8, 0, v0, s0
	v_add_nc_u32_e32 v1, s1, v1
	s_delay_alu instid0(VALU_DEP_3) | instskip(NEXT) | instid1(VALU_DEP_4)
	v_add_co_u32 v9, vcc_lo, s6, v9
	v_add_co_ci_u32_e32 v10, vcc_lo, s7, v10, vcc_lo
	global_store_b64 v[9:10], v[7:8], off
	v_fma_f64 v[7:8], v[3:4], s[36:37], s[30:31]
	s_mov_b32 s30, 0x2085b185
	s_mov_b32 s31, 0xc0ab66d7
	s_delay_alu instid0(VALU_DEP_1) | instid1(SALU_CYCLE_1)
	v_fma_f64 v[7:8], v[5:6], s[30:31], v[7:8]
	s_mov_b32 s30, 0x1e92923e
	s_mov_b32 s31, 0x4057c606
	s_delay_alu instid0(VALU_DEP_1) | instskip(SKIP_2) | instid1(VALU_DEP_3)
	v_mul_f64 v[9:10], v[7:8], s[8:9]
	v_cmp_nlt_f64_e32 vcc_lo, 0x40900000, v[7:8]
	v_cmp_ngt_f64_e64 s0, 0xc090cc00, v[7:8]
	v_rndne_f64_e32 v[9:10], v[9:10]
	s_delay_alu instid0(VALU_DEP_1) | instskip(SKIP_1) | instid1(VALU_DEP_2)
	v_fma_f64 v[11:12], v[9:10], s[2:3], v[7:8]
	v_cvt_i32_f64_e32 v0, v[9:10]
	v_fma_f64 v[11:12], v[9:10], s[4:5], v[11:12]
	s_delay_alu instid0(VALU_DEP_1) | instskip(NEXT) | instid1(VALU_DEP_1)
	v_fma_f64 v[13:14], v[11:12], s[12:13], s[10:11]
	v_fma_f64 v[13:14], v[11:12], v[13:14], s[14:15]
	s_delay_alu instid0(VALU_DEP_1) | instskip(NEXT) | instid1(VALU_DEP_1)
	v_fma_f64 v[13:14], v[11:12], v[13:14], s[16:17]
	;; [unrolled: 3-line block ×5, first 2 shown]
	v_fma_f64 v[13:14], v[11:12], v[13:14], 1.0
	s_delay_alu instid0(VALU_DEP_1) | instskip(NEXT) | instid1(VALU_DEP_1)
	v_fma_f64 v[11:12], v[11:12], v[13:14], 1.0
	v_ldexp_f64 v[9:10], v[11:12], v0
	s_delay_alu instid0(VALU_DEP_1) | instskip(SKIP_1) | instid1(VALU_DEP_2)
	v_cndmask_b32_e32 v0, 0x7ff00000, v10, vcc_lo
	s_and_b32 vcc_lo, s0, vcc_lo
	v_cndmask_b32_e32 v7, 0, v9, vcc_lo
	v_lshlrev_b64 v[9:10], 3, v[1:2]
	s_delay_alu instid0(VALU_DEP_3) | instskip(SKIP_1) | instid1(VALU_DEP_3)
	v_cndmask_b32_e64 v8, 0, v0, s0
	v_add_nc_u32_e32 v1, s1, v1
	v_add_co_u32 v9, vcc_lo, s6, v9
	s_delay_alu instid0(VALU_DEP_4)
	v_add_co_ci_u32_e32 v10, vcc_lo, s7, v10, vcc_lo
	global_store_b64 v[9:10], v[7:8], off
	v_fma_f64 v[7:8], v[3:4], s[34:35], s[30:31]
	s_mov_b32 s30, 0xc044284e
	s_mov_b32 s31, 0xc0aa4801
	;; [unrolled: 1-line block ×4, first 2 shown]
	s_delay_alu instid0(VALU_DEP_1) | instskip(SKIP_2) | instid1(VALU_DEP_1)
	v_fma_f64 v[7:8], v[5:6], s[30:31], v[7:8]
	s_mov_b32 s30, 0xd0917d6b
	s_mov_b32 s31, 0x40614e16
	v_mul_f64 v[9:10], v[7:8], s[8:9]
	v_cmp_nlt_f64_e32 vcc_lo, 0x40900000, v[7:8]
	v_cmp_ngt_f64_e64 s0, 0xc090cc00, v[7:8]
	s_delay_alu instid0(VALU_DEP_3) | instskip(NEXT) | instid1(VALU_DEP_1)
	v_rndne_f64_e32 v[9:10], v[9:10]
	v_fma_f64 v[11:12], v[9:10], s[2:3], v[7:8]
	v_cvt_i32_f64_e32 v0, v[9:10]
	s_delay_alu instid0(VALU_DEP_2) | instskip(NEXT) | instid1(VALU_DEP_1)
	v_fma_f64 v[11:12], v[9:10], s[4:5], v[11:12]
	v_fma_f64 v[13:14], v[11:12], s[12:13], s[10:11]
	s_delay_alu instid0(VALU_DEP_1) | instskip(NEXT) | instid1(VALU_DEP_1)
	v_fma_f64 v[13:14], v[11:12], v[13:14], s[14:15]
	v_fma_f64 v[13:14], v[11:12], v[13:14], s[16:17]
	s_delay_alu instid0(VALU_DEP_1) | instskip(NEXT) | instid1(VALU_DEP_1)
	;; [unrolled: 3-line block ×5, first 2 shown]
	v_fma_f64 v[13:14], v[11:12], v[13:14], 1.0
	v_fma_f64 v[11:12], v[11:12], v[13:14], 1.0
	s_delay_alu instid0(VALU_DEP_1) | instskip(NEXT) | instid1(VALU_DEP_1)
	v_ldexp_f64 v[9:10], v[11:12], v0
	v_cndmask_b32_e32 v0, 0x7ff00000, v10, vcc_lo
	s_and_b32 vcc_lo, s0, vcc_lo
	s_delay_alu instid0(VALU_DEP_2) | instskip(SKIP_1) | instid1(VALU_DEP_3)
	v_cndmask_b32_e32 v7, 0, v9, vcc_lo
	v_lshlrev_b64 v[9:10], 3, v[1:2]
	v_cndmask_b32_e64 v8, 0, v0, s0
	v_add_nc_u32_e32 v1, s1, v1
	s_delay_alu instid0(VALU_DEP_3) | instskip(NEXT) | instid1(VALU_DEP_4)
	v_add_co_u32 v9, vcc_lo, s6, v9
	v_add_co_ci_u32_e32 v10, vcc_lo, s7, v10, vcc_lo
	global_store_b64 v[9:10], v[7:8], off
	v_fma_f64 v[7:8], 0xc0280000, v[3:4], s[30:31]
	s_mov_b32 s30, 0x5f45e0b5
	s_mov_b32 s31, 0xc0a77631
	s_delay_alu instid0(VALU_DEP_1) | instid1(SALU_CYCLE_1)
	v_fma_f64 v[7:8], v[5:6], s[30:31], v[7:8]
	s_mov_b32 s30, 0x441c8f83
	s_mov_b32 s31, 0x40565546
	s_delay_alu instid0(SALU_CYCLE_1) | instskip(SKIP_2) | instid1(VALU_DEP_2)
	v_fma_f64 v[3:4], v[3:4], s[34:35], s[30:31]
	s_mov_b32 s30, 0x88f861a6
	s_mov_b32 s31, 0xc0ab8508
	v_mul_f64 v[9:10], v[7:8], s[8:9]
	v_cmp_nlt_f64_e32 vcc_lo, 0x40900000, v[7:8]
	v_cmp_ngt_f64_e64 s0, 0xc090cc00, v[7:8]
	s_delay_alu instid0(VALU_DEP_4) | instskip(NEXT) | instid1(VALU_DEP_4)
	v_fma_f64 v[3:4], v[5:6], s[30:31], v[3:4]
	v_rndne_f64_e32 v[9:10], v[9:10]
	s_delay_alu instid0(VALU_DEP_2) | instskip(NEXT) | instid1(VALU_DEP_2)
	v_mul_f64 v[5:6], v[3:4], s[8:9]
	v_fma_f64 v[11:12], v[9:10], s[2:3], v[7:8]
	v_cvt_i32_f64_e32 v0, v[9:10]
	s_delay_alu instid0(VALU_DEP_3) | instskip(NEXT) | instid1(VALU_DEP_3)
	v_rndne_f64_e32 v[5:6], v[5:6]
	v_fma_f64 v[11:12], v[9:10], s[4:5], v[11:12]
	s_delay_alu instid0(VALU_DEP_1) | instskip(NEXT) | instid1(VALU_DEP_1)
	v_fma_f64 v[13:14], v[11:12], s[12:13], s[10:11]
	v_fma_f64 v[13:14], v[11:12], v[13:14], s[14:15]
	s_delay_alu instid0(VALU_DEP_1) | instskip(NEXT) | instid1(VALU_DEP_1)
	v_fma_f64 v[13:14], v[11:12], v[13:14], s[16:17]
	;; [unrolled: 3-line block ×5, first 2 shown]
	v_fma_f64 v[13:14], v[11:12], v[13:14], 1.0
	s_delay_alu instid0(VALU_DEP_1) | instskip(NEXT) | instid1(VALU_DEP_1)
	v_fma_f64 v[11:12], v[11:12], v[13:14], 1.0
	v_ldexp_f64 v[9:10], v[11:12], v0
	s_delay_alu instid0(VALU_DEP_1) | instskip(SKIP_1) | instid1(VALU_DEP_2)
	v_cndmask_b32_e32 v0, 0x7ff00000, v10, vcc_lo
	s_and_b32 vcc_lo, s0, vcc_lo
	v_cndmask_b32_e32 v7, 0, v9, vcc_lo
	v_lshlrev_b64 v[9:10], 3, v[1:2]
	s_delay_alu instid0(VALU_DEP_3)
	v_cndmask_b32_e64 v8, 0, v0, s0
	v_cvt_i32_f64_e32 v0, v[5:6]
	v_cmp_ngt_f64_e64 s0, 0xc090cc00, v[3:4]
	v_add_nc_u32_e32 v1, s1, v1
	v_add_co_u32 v9, vcc_lo, s6, v9
	v_add_co_ci_u32_e32 v10, vcc_lo, s7, v10, vcc_lo
	v_cmp_nlt_f64_e32 vcc_lo, 0x40900000, v[3:4]
	global_store_b64 v[9:10], v[7:8], off
	v_fma_f64 v[7:8], v[5:6], s[2:3], v[3:4]
	s_delay_alu instid0(VALU_DEP_1) | instskip(NEXT) | instid1(VALU_DEP_1)
	v_fma_f64 v[7:8], v[5:6], s[4:5], v[7:8]
	v_fma_f64 v[9:10], v[7:8], s[12:13], s[10:11]
	s_delay_alu instid0(VALU_DEP_1) | instskip(NEXT) | instid1(VALU_DEP_1)
	v_fma_f64 v[9:10], v[7:8], v[9:10], s[14:15]
	;; [unrolled: 3-line block ×5, first 2 shown]
	v_fma_f64 v[9:10], v[7:8], v[9:10], s[28:29]
	s_delay_alu instid0(VALU_DEP_1) | instskip(NEXT) | instid1(VALU_DEP_1)
	v_fma_f64 v[9:10], v[7:8], v[9:10], 1.0
	v_fma_f64 v[7:8], v[7:8], v[9:10], 1.0
	s_delay_alu instid0(VALU_DEP_1) | instskip(NEXT) | instid1(VALU_DEP_1)
	v_ldexp_f64 v[5:6], v[7:8], v0
	v_cndmask_b32_e32 v0, 0x7ff00000, v6, vcc_lo
	s_and_b32 vcc_lo, s0, vcc_lo
	s_delay_alu instid0(VALU_DEP_2) | instskip(NEXT) | instid1(VALU_DEP_2)
	v_cndmask_b32_e32 v3, 0, v5, vcc_lo
	v_cndmask_b32_e64 v4, 0, v0, s0
	v_lshlrev_b64 v[0:1], 3, v[1:2]
	s_delay_alu instid0(VALU_DEP_1) | instskip(NEXT) | instid1(VALU_DEP_2)
	v_add_co_u32 v0, vcc_lo, s6, v0
	v_add_co_ci_u32_e32 v1, vcc_lo, s7, v1, vcc_lo
	global_store_b64 v[0:1], v[3:4], off
	s_nop 0
	s_sendmsg sendmsg(MSG_DEALLOC_VGPRS)
	s_endpgm
	.section	.rodata,"a",@progbits
	.p2align	6, 0x0
	.amdhsa_kernel _Z13ratt10_kernelIdEvPKT_PS0_S0_
		.amdhsa_group_segment_fixed_size 0
		.amdhsa_private_segment_fixed_size 0
		.amdhsa_kernarg_size 280
		.amdhsa_user_sgpr_count 15
		.amdhsa_user_sgpr_dispatch_ptr 0
		.amdhsa_user_sgpr_queue_ptr 0
		.amdhsa_user_sgpr_kernarg_segment_ptr 1
		.amdhsa_user_sgpr_dispatch_id 0
		.amdhsa_user_sgpr_private_segment_size 0
		.amdhsa_wavefront_size32 1
		.amdhsa_uses_dynamic_stack 0
		.amdhsa_enable_private_segment 0
		.amdhsa_system_sgpr_workgroup_id_x 1
		.amdhsa_system_sgpr_workgroup_id_y 0
		.amdhsa_system_sgpr_workgroup_id_z 0
		.amdhsa_system_sgpr_workgroup_info 0
		.amdhsa_system_vgpr_workitem_id 0
		.amdhsa_next_free_vgpr 21
		.amdhsa_next_free_sgpr 42
		.amdhsa_reserve_vcc 1
		.amdhsa_float_round_mode_32 0
		.amdhsa_float_round_mode_16_64 0
		.amdhsa_float_denorm_mode_32 3
		.amdhsa_float_denorm_mode_16_64 3
		.amdhsa_dx10_clamp 1
		.amdhsa_ieee_mode 1
		.amdhsa_fp16_overflow 0
		.amdhsa_workgroup_processor_mode 1
		.amdhsa_memory_ordered 1
		.amdhsa_forward_progress 0
		.amdhsa_shared_vgpr_count 0
		.amdhsa_exception_fp_ieee_invalid_op 0
		.amdhsa_exception_fp_denorm_src 0
		.amdhsa_exception_fp_ieee_div_zero 0
		.amdhsa_exception_fp_ieee_overflow 0
		.amdhsa_exception_fp_ieee_underflow 0
		.amdhsa_exception_fp_ieee_inexact 0
		.amdhsa_exception_int_div_zero 0
	.end_amdhsa_kernel
	.section	.text._Z13ratt10_kernelIdEvPKT_PS0_S0_,"axG",@progbits,_Z13ratt10_kernelIdEvPKT_PS0_S0_,comdat
.Lfunc_end38:
	.size	_Z13ratt10_kernelIdEvPKT_PS0_S0_, .Lfunc_end38-_Z13ratt10_kernelIdEvPKT_PS0_S0_
                                        ; -- End function
	.section	.AMDGPU.csdata,"",@progbits
; Kernel info:
; codeLenInByte = 7832
; NumSgprs: 44
; NumVgprs: 21
; ScratchSize: 0
; MemoryBound: 0
; FloatMode: 240
; IeeeMode: 1
; LDSByteSize: 0 bytes/workgroup (compile time only)
; SGPRBlocks: 5
; VGPRBlocks: 2
; NumSGPRsForWavesPerEU: 44
; NumVGPRsForWavesPerEU: 21
; Occupancy: 16
; WaveLimiterHint : 0
; COMPUTE_PGM_RSRC2:SCRATCH_EN: 0
; COMPUTE_PGM_RSRC2:USER_SGPR: 15
; COMPUTE_PGM_RSRC2:TRAP_HANDLER: 0
; COMPUTE_PGM_RSRC2:TGID_X_EN: 1
; COMPUTE_PGM_RSRC2:TGID_Y_EN: 0
; COMPUTE_PGM_RSRC2:TGID_Z_EN: 0
; COMPUTE_PGM_RSRC2:TIDIG_COMP_CNT: 0
	.section	.text._Z11ratx_kernelIdEvPKT_S2_PS0_S3_S2_S0_,"axG",@progbits,_Z11ratx_kernelIdEvPKT_S2_PS0_S3_S2_S0_,comdat
	.protected	_Z11ratx_kernelIdEvPKT_S2_PS0_S3_S2_S0_ ; -- Begin function _Z11ratx_kernelIdEvPKT_S2_PS0_S3_S2_S0_
	.globl	_Z11ratx_kernelIdEvPKT_S2_PS0_S3_S2_S0_
	.p2align	8
	.type	_Z11ratx_kernelIdEvPKT_S2_PS0_S3_S2_S0_,@function
_Z11ratx_kernelIdEvPKT_S2_PS0_S3_S2_S0_: ; @_Z11ratx_kernelIdEvPKT_S2_PS0_S3_S2_S0_
; %bb.0:
	s_clause 0x2
	s_load_b32 s2, s[0:1], 0x3c
	s_load_b256 s[4:11], s[0:1], 0x0
	s_load_b32 s33, s[0:1], 0x30
	s_mov_b32 s76, 0x652b82fe
	s_mov_b32 s77, 0x3ff71547
	s_mov_b32 s78, 0xfefa39ef
	s_mov_b32 s79, 0xbfe62e42
	s_mov_b32 s74, 0x3b39803f
	s_mov_b32 s75, 0xbc7abc9e
	s_mov_b32 s18, 0x6a5dcb37
	s_mov_b32 s19, 0x3e5ade15
	s_mov_b32 s20, 0x623fde64
	s_mov_b32 s21, 0x3ec71dee
	s_mov_b32 s22, 0x7c89e6b0
	s_mov_b32 s23, 0x3efa0199
	s_mov_b32 s24, 0x14761f6e
	s_mov_b32 s25, 0x3f2a01a0
	s_mov_b32 s26, 0x1852b7b0
	s_mov_b32 s27, 0x3f56c16c
	s_mov_b32 s28, 0x11122322
	s_waitcnt lgkmcnt(0)
	s_and_b32 s2, s2, 0xffff
	s_mov_b32 s29, 0x3f811111
	v_mad_u64_u32 v[1:2], null, s15, s2, v[0:1]
	s_load_b128 s[12:15], s[0:1], 0x20
	s_mul_i32 s33, s33, s2
	v_mov_b32_e32 v2, 0
	s_mov_b32 s2, 0x92f3c105
	s_mov_b32 s3, 0xbf42a91c
	;; [unrolled: 1-line block ×4, first 2 shown]
	v_lshlrev_b64 v[7:8], 3, v[1:2]
	v_add_nc_u32_e32 v1, s33, v1
	s_mov_b32 s58, 0x55555555
	s_mov_b32 s59, 0x3fe55555
	;; [unrolled: 1-line block ×4, first 2 shown]
	v_add_co_u32 v3, vcc_lo, s6, v7
	v_add_co_ci_u32_e32 v4, vcc_lo, s7, v8, vcc_lo
	v_lshlrev_b64 v[27:28], 3, v[1:2]
	v_add_nc_u32_e32 v1, s33, v1
	s_mov_b32 s37, 0x3fc38538
	global_load_b64 v[9:10], v[3:4], off
	s_mov_b32 s43, 0x3fc3ab76
	s_mov_b32 s48, 0xd7f4df2e
	v_add_co_u32 v3, vcc_lo, s6, v27
	v_add_co_ci_u32_e32 v4, vcc_lo, s7, v28, vcc_lo
	v_lshlrev_b64 v[5:6], 3, v[1:2]
	v_add_nc_u32_e32 v1, s33, v1
	s_mov_b32 s49, 0x3fc7474d
	global_load_b64 v[3:4], v[3:4], off
	s_mov_b32 s52, 0x16291751
	s_mov_b32 s53, 0x3fcc71c0
	;; [unrolled: 8-line block ×3, first 2 shown]
	v_add_co_u32 v11, vcc_lo, s6, v39
	v_add_co_ci_u32_e32 v12, vcc_lo, s7, v40, vcc_lo
	s_mov_b32 s45, 0x3fd99999
	s_mov_b32 s40, 0x55555780
	;; [unrolled: 1-line block ×3, first 2 shown]
	global_load_b64 v[13:14], v[11:12], off
	v_lshlrev_b64 v[11:12], 3, v[1:2]
	v_add_nc_u32_e32 v1, s33, v1
	s_mov_b32 s30, 0x1526e50e
	s_mov_b32 s31, 0x3fdbcb7b
	;; [unrolled: 1-line block ×4, first 2 shown]
	v_add_co_u32 v11, vcc_lo, s6, v11
	v_add_co_ci_u32_e32 v12, vcc_lo, s7, v12, vcc_lo
	v_lshlrev_b64 v[43:44], 3, v[1:2]
	v_add_nc_u32_e32 v1, s33, v1
	s_mov_b32 s46, 0xa994fd21
	global_load_b64 v[15:16], v[11:12], off
	s_mov_b32 s54, 0xbaaafad3
	s_mov_b32 s47, 0xbc49dc1d
	v_add_co_u32 v11, vcc_lo, s6, v43
	v_add_co_ci_u32_e32 v12, vcc_lo, s7, v44, vcc_lo
	v_lshlrev_b64 v[37:38], 3, v[1:2]
	v_add_nc_u32_e32 v1, s33, v1
	s_mov_b32 s55, 0x3c695355
	global_load_b64 v[17:18], v[11:12], off
	s_mov_b32 s68, 0xd70a3d71
	s_mov_b32 s62, 0x9999999a
	;; [unrolled: 8-line block ×3, first 2 shown]
	v_add_co_u32 v11, vcc_lo, s6, v31
	v_add_co_ci_u32_e32 v12, vcc_lo, s7, v32, vcc_lo
	s_mov_b32 s71, 0xbff451eb
	s_mov_b32 s72, 0x1eb851ec
	;; [unrolled: 1-line block ×3, first 2 shown]
	global_load_b64 v[23:24], v[11:12], off
	v_lshlrev_b64 v[11:12], 3, v[1:2]
	v_add_nc_u32_e32 v1, s33, v1
	s_mov_b32 s38, 0x979a371
	s_mov_b32 s39, 0x400a934f
	;; [unrolled: 1-line block ×4, first 2 shown]
	v_add_co_u32 v11, vcc_lo, s6, v11
	v_add_co_ci_u32_e32 v12, vcc_lo, s7, v12, vcc_lo
	v_lshlrev_b64 v[21:22], 3, v[1:2]
	v_add_nc_u32_e32 v1, s33, v1
	s_mov_b32 s51, 0x3c49dc1d
	global_load_b64 v[25:26], v[11:12], off
	s_mov_b32 s50, s46
	s_mov_b32 s64, 0x494ea3e9
	v_add_co_u32 v29, vcc_lo, s6, v21
	v_add_co_ci_u32_e32 v30, vcc_lo, s7, v22, vcc_lo
	s_mov_b32 s65, 0xbcaf48ad
	s_mov_b32 s66, 0xbbb55516
	;; [unrolled: 1-line block ×3, first 2 shown]
	global_load_b64 v[35:36], v[29:30], off
	s_waitcnt vmcnt(9)
	v_add_f64 v[11:12], v[9:10], 0
	s_waitcnt vmcnt(8)
	s_delay_alu instid0(VALU_DEP_1) | instskip(SKIP_2) | instid1(VALU_DEP_2)
	v_add_f64 v[3:4], v[11:12], v[3:4]
	v_lshlrev_b64 v[11:12], 3, v[1:2]
	v_add_nc_u32_e32 v1, s33, v1
	v_add_co_u32 v29, vcc_lo, s6, v11
	s_delay_alu instid0(VALU_DEP_3)
	v_add_co_ci_u32_e32 v30, vcc_lo, s7, v12, vcc_lo
	global_load_b64 v[41:42], v[29:30], off
	s_waitcnt vmcnt(8)
	v_add_f64 v[5:6], v[3:4], v[5:6]
	v_lshlrev_b64 v[3:4], 3, v[1:2]
	v_add_nc_u32_e32 v1, s33, v1
	s_delay_alu instid0(VALU_DEP_2) | instskip(NEXT) | instid1(VALU_DEP_3)
	v_add_co_u32 v29, vcc_lo, s6, v3
	v_add_co_ci_u32_e32 v30, vcc_lo, s7, v4, vcc_lo
	global_load_b64 v[45:46], v[29:30], off
	s_waitcnt vmcnt(8)
	v_add_f64 v[5:6], v[5:6], v[13:14]
	v_lshlrev_b64 v[13:14], 3, v[1:2]
	v_add_nc_u32_e32 v1, s33, v1
	s_delay_alu instid0(VALU_DEP_2) | instskip(NEXT) | instid1(VALU_DEP_3)
	v_add_co_u32 v13, vcc_lo, s6, v13
	v_add_co_ci_u32_e32 v14, vcc_lo, s7, v14, vcc_lo
	global_load_b64 v[33:34], v[13:14], off
	v_lshlrev_b64 v[13:14], 3, v[1:2]
	v_add_nc_u32_e32 v1, s33, v1
	s_delay_alu instid0(VALU_DEP_2) | instskip(NEXT) | instid1(VALU_DEP_3)
	v_add_co_u32 v13, vcc_lo, s6, v13
	v_add_co_ci_u32_e32 v14, vcc_lo, s7, v14, vcc_lo
	global_load_b64 v[13:14], v[13:14], off
	s_waitcnt vmcnt(9)
	v_add_f64 v[5:6], v[5:6], v[15:16]
	v_lshlrev_b64 v[15:16], 3, v[1:2]
	v_add_nc_u32_e32 v1, s33, v1
	s_delay_alu instid0(VALU_DEP_2) | instskip(NEXT) | instid1(VALU_DEP_3)
	v_add_co_u32 v15, vcc_lo, s6, v15
	v_add_co_ci_u32_e32 v16, vcc_lo, s7, v16, vcc_lo
	global_load_b64 v[15:16], v[15:16], off
	s_waitcnt vmcnt(9)
	v_add_f64 v[5:6], v[5:6], v[17:18]
	s_waitcnt vmcnt(8)
	s_delay_alu instid0(VALU_DEP_1) | instskip(SKIP_2) | instid1(VALU_DEP_2)
	v_add_f64 v[19:20], v[5:6], v[19:20]
	v_lshlrev_b64 v[5:6], 3, v[1:2]
	v_add_nc_u32_e32 v1, s33, v1
	v_add_co_u32 v29, vcc_lo, s6, v5
	s_delay_alu instid0(VALU_DEP_3)
	v_add_co_ci_u32_e32 v30, vcc_lo, s7, v6, vcc_lo
	global_load_b64 v[47:48], v[29:30], off
	s_waitcnt vmcnt(8)
	v_add_f64 v[19:20], v[19:20], v[23:24]
	v_lshlrev_b64 v[23:24], 3, v[1:2]
	v_add_nc_u32_e32 v1, s33, v1
	s_delay_alu instid0(VALU_DEP_2) | instskip(NEXT) | instid1(VALU_DEP_3)
	v_add_co_u32 v23, vcc_lo, s6, v23
	v_add_co_ci_u32_e32 v24, vcc_lo, s7, v24, vcc_lo
	global_load_b64 v[23:24], v[23:24], off
	s_waitcnt vmcnt(8)
	v_add_f64 v[19:20], v[19:20], v[25:26]
	v_lshlrev_b64 v[25:26], 3, v[1:2]
	v_add_nc_u32_e32 v1, s33, v1
	s_delay_alu instid0(VALU_DEP_2) | instskip(NEXT) | instid1(VALU_DEP_3)
	v_add_co_u32 v25, vcc_lo, s6, v25
	v_add_co_ci_u32_e32 v26, vcc_lo, s7, v26, vcc_lo
	global_load_b64 v[49:50], v[25:26], off
	v_lshlrev_b64 v[25:26], 3, v[1:2]
	v_add_nc_u32_e32 v1, s33, v1
	s_delay_alu instid0(VALU_DEP_2) | instskip(NEXT) | instid1(VALU_DEP_3)
	v_add_co_u32 v25, vcc_lo, s6, v25
	v_add_co_ci_u32_e32 v26, vcc_lo, s7, v26, vcc_lo
	global_load_b64 v[51:52], v[25:26], off
	v_lshlrev_b64 v[25:26], 3, v[1:2]
	v_add_nc_u32_e32 v1, s33, v1
	s_delay_alu instid0(VALU_DEP_2) | instskip(NEXT) | instid1(VALU_DEP_3)
	v_add_co_u32 v25, vcc_lo, s6, v25
	v_add_co_ci_u32_e32 v26, vcc_lo, s7, v26, vcc_lo
	s_waitcnt vmcnt(9)
	v_add_f64 v[19:20], v[19:20], v[35:36]
	v_add_co_u32 v29, vcc_lo, s8, v5
	global_load_b64 v[53:54], v[25:26], off
	v_lshlrev_b64 v[25:26], 3, v[1:2]
	v_add_co_ci_u32_e32 v30, vcc_lo, s9, v6, vcc_lo
	v_add_nc_u32_e32 v1, s33, v1
	s_delay_alu instid0(VALU_DEP_3) | instskip(NEXT) | instid1(VALU_DEP_4)
	v_add_co_u32 v55, vcc_lo, s6, v25
	v_add_co_ci_u32_e32 v56, vcc_lo, s7, v26, vcc_lo
	global_load_b64 v[25:26], v[29:30], off
	global_load_b64 v[55:56], v[55:56], off
	s_waitcnt vmcnt(11)
	v_add_f64 v[19:20], v[19:20], v[41:42]
	s_waitcnt vmcnt(10)
	s_delay_alu instid0(VALU_DEP_1) | instskip(SKIP_1) | instid1(VALU_DEP_1)
	v_add_f64 v[19:20], v[19:20], v[45:46]
	s_waitcnt vmcnt(9)
	v_add_f64 v[19:20], v[19:20], v[33:34]
	v_lshlrev_b64 v[33:34], 3, v[1:2]
	s_delay_alu instid0(VALU_DEP_1) | instskip(NEXT) | instid1(VALU_DEP_2)
	v_add_co_u32 v33, vcc_lo, s6, v33
	v_add_co_ci_u32_e32 v34, vcc_lo, s7, v34, vcc_lo
	s_mov_b32 s6, 0x55555511
	s_mov_b32 s7, 0x3fc55555
	global_load_b64 v[33:34], v[33:34], off
	s_waitcnt vmcnt(9)
	v_add_f64 v[19:20], v[19:20], v[13:14]
	s_waitcnt vmcnt(8)
	s_delay_alu instid0(VALU_DEP_1) | instskip(SKIP_1) | instid1(VALU_DEP_1)
	v_add_f64 v[19:20], v[19:20], v[15:16]
	s_waitcnt vmcnt(7)
	v_add_f64 v[19:20], v[19:20], v[47:48]
	s_waitcnt vmcnt(6)
	s_delay_alu instid0(VALU_DEP_1) | instskip(SKIP_1) | instid1(VALU_DEP_1)
	v_add_f64 v[19:20], v[19:20], v[23:24]
	s_waitcnt vmcnt(5)
	v_add_f64 v[19:20], v[19:20], v[49:50]
	s_waitcnt vmcnt(2)
	v_div_scale_f64 v[23:24], null, v[25:26], v[25:26], 1.0
	s_delay_alu instid0(VALU_DEP_2) | instskip(NEXT) | instid1(VALU_DEP_2)
	v_add_f64 v[19:20], v[19:20], v[51:52]
	v_rcp_f64_e32 v[49:50], v[23:24]
	s_delay_alu instid0(VALU_DEP_1)
	v_add_f64 v[19:20], v[19:20], v[53:54]
	s_waitcnt_depctr 0xfff
	v_fma_f64 v[51:52], -v[23:24], v[49:50], 1.0
	s_waitcnt vmcnt(1)
	v_add_f64 v[19:20], v[19:20], v[55:56]
	s_waitcnt vmcnt(0)
	s_delay_alu instid0(VALU_DEP_1) | instskip(NEXT) | instid1(VALU_DEP_1)
	v_add_f64 v[19:20], v[19:20], v[33:34]
	v_add_f64 v[9:10], v[19:20], v[9:10]
	s_waitcnt lgkmcnt(0)
	v_add_co_u32 v19, vcc_lo, s12, v7
	v_add_co_ci_u32_e32 v20, vcc_lo, s13, v8, vcc_lo
	v_add_co_u32 v7, vcc_lo, s4, v7
	v_add_co_ci_u32_e32 v8, vcc_lo, s5, v8, vcc_lo
	global_load_b64 v[33:34], v[19:20], off
	global_load_b64 v[19:20], v[7:8], off
	v_fma_f64 v[7:8], v[49:50], v[51:52], v[49:50]
	s_mov_b32 s4, 0x555502a1
	s_mov_b32 s5, 0x3fa55555
	v_fma_f64 v[9:10], 0x40140000, v[17:18], v[9:10]
	s_delay_alu instid0(VALU_DEP_2) | instskip(NEXT) | instid1(VALU_DEP_2)
	v_fma_f64 v[17:18], -v[23:24], v[7:8], 1.0
	v_add_f64 v[9:10], v[35:36], v[9:10]
	v_div_scale_f64 v[35:36], vcc_lo, 1.0, v[25:26], 1.0
	s_delay_alu instid0(VALU_DEP_3) | instskip(NEXT) | instid1(VALU_DEP_3)
	v_fma_f64 v[7:8], v[7:8], v[17:18], v[7:8]
	v_fma_f64 v[9:10], v[41:42], 0.5, v[9:10]
	s_delay_alu instid0(VALU_DEP_2) | instskip(NEXT) | instid1(VALU_DEP_2)
	v_mul_f64 v[41:42], v[35:36], v[7:8]
	v_add_f64 v[9:10], v[45:46], v[9:10]
	s_delay_alu instid0(VALU_DEP_2) | instskip(NEXT) | instid1(VALU_DEP_2)
	v_fma_f64 v[23:24], -v[23:24], v[41:42], v[35:36]
	v_fma_f64 v[17:18], v[47:48], 2.0, v[9:10]
	s_delay_alu instid0(VALU_DEP_2) | instskip(NEXT) | instid1(VALU_DEP_2)
	v_div_fmas_f64 v[7:8], v[23:24], v[7:8], v[41:42]
	v_fma_f64 v[9:10], v[13:14], 2.0, v[17:18]
	v_fma_f64 v[13:14], 0x3ff80000, v[13:14], v[17:18]
	s_delay_alu instid0(VALU_DEP_3) | instskip(NEXT) | instid1(VALU_DEP_3)
	v_div_fixup_f64 v[23:24], v[7:8], v[25:26], 1.0
	v_fma_f64 v[7:8], v[15:16], 2.0, v[9:10]
	s_delay_alu instid0(VALU_DEP_3) | instskip(NEXT) | instid1(VALU_DEP_2)
	v_fma_f64 v[13:14], 0x3ff80000, v[15:16], v[13:14]
	v_mul_f64 v[35:36], v[7:8], v[23:24]
	s_waitcnt vmcnt(0)
	v_mul_f64 v[9:10], v[19:20], s[14:15]
	s_mov_b32 s14, 0xfca7ab0c
	s_mov_b32 s15, 0x3e928af3
	s_delay_alu instid0(VALU_DEP_2) | instskip(SKIP_1) | instid1(VALU_DEP_3)
	v_fma_f64 v[23:24], v[33:34], v[35:36], 1.0
	v_mul_f64 v[33:34], v[33:34], v[35:36]
	v_div_scale_f64 v[41:42], null, v[9:10], v[9:10], 1.0
	s_delay_alu instid0(VALU_DEP_3) | instskip(SKIP_1) | instid1(VALU_DEP_3)
	v_div_scale_f64 v[19:20], null, v[23:24], v[23:24], 1.0
	v_div_scale_f64 v[53:54], vcc_lo, 1.0, v[23:24], 1.0
	v_rcp_f64_e32 v[47:48], v[41:42]
	s_delay_alu instid0(VALU_DEP_2) | instskip(SKIP_3) | instid1(VALU_DEP_2)
	v_rcp_f64_e32 v[45:46], v[19:20]
	s_waitcnt_depctr 0xfff
	v_fma_f64 v[51:52], -v[41:42], v[47:48], 1.0
	v_fma_f64 v[49:50], -v[19:20], v[45:46], 1.0
	v_fma_f64 v[47:48], v[47:48], v[51:52], v[47:48]
	s_delay_alu instid0(VALU_DEP_2) | instskip(NEXT) | instid1(VALU_DEP_2)
	v_fma_f64 v[45:46], v[45:46], v[49:50], v[45:46]
	v_fma_f64 v[51:52], -v[41:42], v[47:48], 1.0
	s_delay_alu instid0(VALU_DEP_2) | instskip(NEXT) | instid1(VALU_DEP_2)
	v_fma_f64 v[49:50], -v[19:20], v[45:46], 1.0
	v_fma_f64 v[47:48], v[47:48], v[51:52], v[47:48]
	s_delay_alu instid0(VALU_DEP_2) | instskip(SKIP_1) | instid1(VALU_DEP_2)
	v_fma_f64 v[45:46], v[45:46], v[49:50], v[45:46]
	v_div_scale_f64 v[49:50], s0, 1.0, v[9:10], 1.0
	v_mul_f64 v[51:52], v[53:54], v[45:46]
	s_delay_alu instid0(VALU_DEP_2) | instskip(NEXT) | instid1(VALU_DEP_2)
	v_mul_f64 v[55:56], v[49:50], v[47:48]
	v_fma_f64 v[19:20], -v[19:20], v[51:52], v[53:54]
	s_delay_alu instid0(VALU_DEP_2) | instskip(NEXT) | instid1(VALU_DEP_2)
	v_fma_f64 v[49:50], -v[41:42], v[55:56], v[49:50]
	v_div_fmas_f64 v[41:42], v[19:20], v[45:46], v[51:52]
	s_mov_b32 vcc_lo, s0
	v_mul_f64 v[45:46], v[9:10], s[2:3]
	s_delay_alu instid0(VALU_DEP_3) | instskip(SKIP_2) | instid1(SALU_CYCLE_1)
	v_div_fmas_f64 v[19:20], v[49:50], v[47:48], v[55:56]
	s_mov_b32 s0, 0x2b931057
	s_mov_b32 s1, 0xbf85c988
	v_mul_f64 v[47:48], v[9:10], s[0:1]
	s_mov_b32 s0, 0xdbf487fd
	s_mov_b32 s1, 0x3fe781d7
	s_delay_alu instid0(VALU_DEP_4) | instskip(NEXT) | instid1(VALU_DEP_4)
	v_div_fixup_f64 v[23:24], v[41:42], v[23:24], 1.0
	v_mul_f64 v[49:50], v[45:46], s[76:77]
	s_delay_alu instid0(VALU_DEP_4)
	v_div_fixup_f64 v[19:20], v[19:20], v[9:10], 1.0
	v_cmp_ngt_f64_e64 s2, 0xc090cc00, v[45:46]
	v_mul_f64 v[51:52], v[47:48], s[76:77]
	v_cmp_nlt_f64_e32 vcc_lo, 0x40900000, v[47:48]
	v_mul_f64 v[23:24], v[33:34], v[23:24]
	v_rndne_f64_e32 v[49:50], v[49:50]
	v_mul_f64 v[53:54], 0xc0b43e00, v[19:20]
	v_rndne_f64_e32 v[51:52], v[51:52]
	s_delay_alu instid0(VALU_DEP_3) | instskip(NEXT) | instid1(VALU_DEP_3)
	v_fma_f64 v[57:58], v[49:50], s[78:79], v[45:46]
	v_mul_f64 v[55:56], v[53:54], s[76:77]
	v_cvt_i32_f64_e32 v0, v[49:50]
	s_delay_alu instid0(VALU_DEP_4) | instskip(NEXT) | instid1(VALU_DEP_4)
	v_fma_f64 v[59:60], v[51:52], s[78:79], v[47:48]
	v_fma_f64 v[57:58], v[49:50], s[74:75], v[57:58]
	s_delay_alu instid0(VALU_DEP_4) | instskip(NEXT) | instid1(VALU_DEP_3)
	v_rndne_f64_e32 v[55:56], v[55:56]
	v_fma_f64 v[59:60], v[51:52], s[74:75], v[59:60]
	s_delay_alu instid0(VALU_DEP_3) | instskip(NEXT) | instid1(VALU_DEP_3)
	v_fma_f64 v[63:64], v[57:58], s[18:19], s[14:15]
	v_fma_f64 v[61:62], v[55:56], s[78:79], v[53:54]
	s_delay_alu instid0(VALU_DEP_3) | instskip(NEXT) | instid1(VALU_DEP_3)
	v_fma_f64 v[65:66], v[59:60], s[18:19], s[14:15]
	v_fma_f64 v[63:64], v[57:58], v[63:64], s[20:21]
	s_delay_alu instid0(VALU_DEP_3) | instskip(NEXT) | instid1(VALU_DEP_3)
	v_fma_f64 v[61:62], v[55:56], s[74:75], v[61:62]
	v_fma_f64 v[65:66], v[59:60], v[65:66], s[20:21]
	s_delay_alu instid0(VALU_DEP_3) | instskip(NEXT) | instid1(VALU_DEP_3)
	v_fma_f64 v[63:64], v[57:58], v[63:64], s[22:23]
	v_fma_f64 v[67:68], v[61:62], s[18:19], s[14:15]
	s_delay_alu instid0(VALU_DEP_3) | instskip(NEXT) | instid1(VALU_DEP_3)
	v_fma_f64 v[65:66], v[59:60], v[65:66], s[22:23]
	v_fma_f64 v[63:64], v[57:58], v[63:64], s[24:25]
	s_delay_alu instid0(VALU_DEP_3) | instskip(NEXT) | instid1(VALU_DEP_3)
	v_fma_f64 v[67:68], v[61:62], v[67:68], s[20:21]
	v_fma_f64 v[65:66], v[59:60], v[65:66], s[24:25]
	s_delay_alu instid0(VALU_DEP_3) | instskip(NEXT) | instid1(VALU_DEP_3)
	v_fma_f64 v[63:64], v[57:58], v[63:64], s[26:27]
	v_fma_f64 v[67:68], v[61:62], v[67:68], s[22:23]
	s_delay_alu instid0(VALU_DEP_3) | instskip(NEXT) | instid1(VALU_DEP_3)
	v_fma_f64 v[65:66], v[59:60], v[65:66], s[26:27]
	v_fma_f64 v[63:64], v[57:58], v[63:64], s[28:29]
	s_delay_alu instid0(VALU_DEP_3) | instskip(NEXT) | instid1(VALU_DEP_3)
	v_fma_f64 v[67:68], v[61:62], v[67:68], s[24:25]
	v_fma_f64 v[65:66], v[59:60], v[65:66], s[28:29]
	s_delay_alu instid0(VALU_DEP_3) | instskip(NEXT) | instid1(VALU_DEP_3)
	v_fma_f64 v[63:64], v[57:58], v[63:64], s[4:5]
	v_fma_f64 v[67:68], v[61:62], v[67:68], s[26:27]
	s_delay_alu instid0(VALU_DEP_3) | instskip(NEXT) | instid1(VALU_DEP_3)
	v_fma_f64 v[65:66], v[59:60], v[65:66], s[4:5]
	v_fma_f64 v[63:64], v[57:58], v[63:64], s[6:7]
	s_delay_alu instid0(VALU_DEP_3) | instskip(NEXT) | instid1(VALU_DEP_3)
	v_fma_f64 v[67:68], v[61:62], v[67:68], s[28:29]
	v_fma_f64 v[65:66], v[59:60], v[65:66], s[6:7]
	s_delay_alu instid0(VALU_DEP_3) | instskip(NEXT) | instid1(VALU_DEP_3)
	v_fma_f64 v[63:64], v[57:58], v[63:64], s[16:17]
	v_fma_f64 v[67:68], v[61:62], v[67:68], s[4:5]
	s_delay_alu instid0(VALU_DEP_3) | instskip(NEXT) | instid1(VALU_DEP_3)
	v_fma_f64 v[65:66], v[59:60], v[65:66], s[16:17]
	v_fma_f64 v[63:64], v[57:58], v[63:64], 1.0
	s_delay_alu instid0(VALU_DEP_3) | instskip(NEXT) | instid1(VALU_DEP_3)
	v_fma_f64 v[67:68], v[61:62], v[67:68], s[6:7]
	v_fma_f64 v[65:66], v[59:60], v[65:66], 1.0
	s_delay_alu instid0(VALU_DEP_3) | instskip(NEXT) | instid1(VALU_DEP_3)
	v_fma_f64 v[49:50], v[57:58], v[63:64], 1.0
	v_fma_f64 v[67:68], v[61:62], v[67:68], s[16:17]
	v_cvt_i32_f64_e32 v63, v[51:52]
	s_delay_alu instid0(VALU_DEP_4) | instskip(NEXT) | instid1(VALU_DEP_4)
	v_fma_f64 v[51:52], v[59:60], v[65:66], 1.0
	v_ldexp_f64 v[49:50], v[49:50], v0
	s_delay_alu instid0(VALU_DEP_4) | instskip(SKIP_1) | instid1(VALU_DEP_4)
	v_fma_f64 v[57:58], v[61:62], v[67:68], 1.0
	v_cvt_i32_f64_e32 v0, v[55:56]
	v_ldexp_f64 v[51:52], v[51:52], v63
	s_delay_alu instid0(VALU_DEP_4) | instskip(SKIP_4) | instid1(VALU_DEP_4)
	v_mul_f64 v[49:50], v[49:50], s[0:1]
	v_cmp_ngt_f64_e64 s0, 0xc090cc00, v[47:48]
	v_fma_f64 v[55:56], v[61:62], v[57:58], 1.0
	v_cmp_nlt_f64_e64 s1, 0x40900000, v[45:46]
	v_cndmask_b32_e32 v52, 0x7ff00000, v52, vcc_lo
	s_and_b32 vcc_lo, s0, vcc_lo
	s_delay_alu instid0(VALU_DEP_3)
	v_ldexp_f64 v[47:48], v[55:56], v0
	v_cndmask_b32_e32 v45, 0, v51, vcc_lo
	v_cmp_nlt_f64_e32 vcc_lo, 0x40900000, v[53:54]
	v_cndmask_b32_e64 v0, 0x7ff00000, v50, s1
	v_cndmask_b32_e64 v46, 0, v52, s0
	v_cmp_ngt_f64_e64 s0, 0xc090cc00, v[53:54]
	s_and_b32 s1, s2, s1
	v_mov_b32_e32 v53, v2
	v_cndmask_b32_e64 v50, 0, v0, s2
	v_cndmask_b32_e64 v49, 0, v49, s1
	s_mov_b32 s2, 0x4816f007
	s_mov_b32 s3, 0x3fd0fc50
	v_cndmask_b32_e32 v0, 0x7ff00000, v48, vcc_lo
	s_delay_alu instid0(VALU_DEP_2) | instskip(SKIP_1) | instid1(VALU_DEP_2)
	v_fma_f64 v[48:49], v[45:46], s[2:3], v[49:50]
	s_and_b32 vcc_lo, s0, vcc_lo
	v_cndmask_b32_e64 v51, 0, v0, s0
	v_cndmask_b32_e32 v50, 0, v47, vcc_lo
	s_delay_alu instid0(VALU_DEP_1) | instskip(NEXT) | instid1(VALU_DEP_1)
	v_add_f64 v[47:48], v[50:51], v[48:49]
	v_max_f64 v[35:36], 0x38100000, v[47:48]
	v_max_f64 v[47:48], 0x38100000, v[33:34]
	s_delay_alu instid0(VALU_DEP_2) | instskip(NEXT) | instid1(VALU_DEP_2)
	v_frexp_mant_f64_e32 v[49:50], v[35:36]
	v_frexp_mant_f64_e32 v[51:52], v[47:48]
	v_frexp_exp_i32_f64_e32 v0, v[35:36]
	s_delay_alu instid0(VALU_DEP_3) | instskip(NEXT) | instid1(VALU_DEP_3)
	v_cmp_gt_f64_e32 vcc_lo, s[58:59], v[49:50]
	v_cmp_gt_f64_e64 s0, s[58:59], v[51:52]
	v_cndmask_b32_e64 v54, 0x3ff00000, 2.0, vcc_lo
	s_delay_alu instid0(VALU_DEP_4) | instskip(NEXT) | instid1(VALU_DEP_2)
	v_subrev_co_ci_u32_e32 v0, vcc_lo, 0, v0, vcc_lo
	v_mul_f64 v[49:50], v[49:50], v[53:54]
	s_delay_alu instid0(VALU_DEP_4) | instskip(NEXT) | instid1(VALU_DEP_1)
	v_cndmask_b32_e64 v54, 0x3ff00000, 2.0, s0
	v_mul_f64 v[51:52], v[51:52], v[53:54]
	s_delay_alu instid0(VALU_DEP_3) | instskip(SKIP_1) | instid1(VALU_DEP_3)
	v_add_f64 v[53:54], v[49:50], 1.0
	v_add_f64 v[65:66], v[49:50], -1.0
	v_add_f64 v[55:56], v[51:52], 1.0
	s_delay_alu instid0(VALU_DEP_3) | instskip(SKIP_1) | instid1(VALU_DEP_2)
	v_rcp_f64_e32 v[57:58], v[53:54]
	v_add_f64 v[69:70], v[53:54], -1.0
	v_rcp_f64_e32 v[59:60], v[55:56]
	v_add_f64 v[73:74], v[55:56], -1.0
	s_delay_alu instid0(VALU_DEP_2) | instskip(SKIP_3) | instid1(VALU_DEP_2)
	v_add_f64 v[49:50], v[49:50], -v[69:70]
	s_waitcnt_depctr 0xfff
	v_fma_f64 v[61:62], -v[53:54], v[57:58], 1.0
	v_fma_f64 v[63:64], -v[55:56], v[59:60], 1.0
	v_fma_f64 v[57:58], v[61:62], v[57:58], v[57:58]
	s_delay_alu instid0(VALU_DEP_2) | instskip(NEXT) | instid1(VALU_DEP_2)
	v_fma_f64 v[59:60], v[63:64], v[59:60], v[59:60]
	v_fma_f64 v[61:62], -v[53:54], v[57:58], 1.0
	s_delay_alu instid0(VALU_DEP_2) | instskip(NEXT) | instid1(VALU_DEP_2)
	v_fma_f64 v[63:64], -v[55:56], v[59:60], 1.0
	v_fma_f64 v[57:58], v[61:62], v[57:58], v[57:58]
	v_add_f64 v[61:62], v[51:52], -1.0
	v_add_f64 v[51:52], v[51:52], -v[73:74]
	s_delay_alu instid0(VALU_DEP_4) | instskip(NEXT) | instid1(VALU_DEP_4)
	v_fma_f64 v[59:60], v[63:64], v[59:60], v[59:60]
	v_mul_f64 v[63:64], v[65:66], v[57:58]
	s_delay_alu instid0(VALU_DEP_2) | instskip(NEXT) | instid1(VALU_DEP_2)
	v_mul_f64 v[67:68], v[61:62], v[59:60]
	v_mul_f64 v[71:72], v[53:54], v[63:64]
	s_delay_alu instid0(VALU_DEP_2) | instskip(NEXT) | instid1(VALU_DEP_2)
	v_mul_f64 v[75:76], v[55:56], v[67:68]
	v_fma_f64 v[53:54], v[63:64], v[53:54], -v[71:72]
	s_delay_alu instid0(VALU_DEP_2) | instskip(NEXT) | instid1(VALU_DEP_2)
	v_fma_f64 v[55:56], v[67:68], v[55:56], -v[75:76]
	v_fma_f64 v[49:50], v[63:64], v[49:50], v[53:54]
	s_delay_alu instid0(VALU_DEP_2) | instskip(NEXT) | instid1(VALU_DEP_2)
	v_fma_f64 v[51:52], v[67:68], v[51:52], v[55:56]
	v_add_f64 v[53:54], v[71:72], v[49:50]
	s_delay_alu instid0(VALU_DEP_2) | instskip(NEXT) | instid1(VALU_DEP_2)
	v_add_f64 v[55:56], v[75:76], v[51:52]
	v_add_f64 v[69:70], v[65:66], -v[53:54]
	v_add_f64 v[71:72], v[53:54], -v[71:72]
	s_delay_alu instid0(VALU_DEP_3) | instskip(SKIP_1) | instid1(VALU_DEP_4)
	v_add_f64 v[73:74], v[61:62], -v[55:56]
	v_add_f64 v[75:76], v[55:56], -v[75:76]
	;; [unrolled: 1-line block ×3, first 2 shown]
	s_delay_alu instid0(VALU_DEP_4) | instskip(NEXT) | instid1(VALU_DEP_4)
	v_add_f64 v[49:50], v[71:72], -v[49:50]
	v_add_f64 v[61:62], v[61:62], -v[73:74]
	s_delay_alu instid0(VALU_DEP_4) | instskip(NEXT) | instid1(VALU_DEP_4)
	v_add_f64 v[51:52], v[75:76], -v[51:52]
	v_add_f64 v[53:54], v[65:66], -v[53:54]
	s_delay_alu instid0(VALU_DEP_3) | instskip(NEXT) | instid1(VALU_DEP_2)
	v_add_f64 v[55:56], v[61:62], -v[55:56]
	v_add_f64 v[49:50], v[49:50], v[53:54]
	s_delay_alu instid0(VALU_DEP_2) | instskip(NEXT) | instid1(VALU_DEP_2)
	v_add_f64 v[51:52], v[51:52], v[55:56]
	v_add_f64 v[49:50], v[69:70], v[49:50]
	s_delay_alu instid0(VALU_DEP_2) | instskip(NEXT) | instid1(VALU_DEP_2)
	v_add_f64 v[51:52], v[73:74], v[51:52]
	v_mul_f64 v[49:50], v[57:58], v[49:50]
	s_delay_alu instid0(VALU_DEP_2) | instskip(NEXT) | instid1(VALU_DEP_2)
	v_mul_f64 v[51:52], v[59:60], v[51:52]
	v_add_f64 v[53:54], v[63:64], v[49:50]
	s_delay_alu instid0(VALU_DEP_2) | instskip(NEXT) | instid1(VALU_DEP_2)
	v_add_f64 v[55:56], v[67:68], v[51:52]
	v_mul_f64 v[57:58], v[53:54], v[53:54]
	s_delay_alu instid0(VALU_DEP_2) | instskip(NEXT) | instid1(VALU_DEP_2)
	v_mul_f64 v[59:60], v[55:56], v[55:56]
	v_fma_f64 v[61:62], v[57:58], s[42:43], s[36:37]
	v_mul_f64 v[69:70], v[53:54], v[57:58]
	s_delay_alu instid0(VALU_DEP_3) | instskip(NEXT) | instid1(VALU_DEP_3)
	v_fma_f64 v[65:66], v[59:60], s[42:43], s[36:37]
	v_fma_f64 v[61:62], v[57:58], v[61:62], s[48:49]
	s_delay_alu instid0(VALU_DEP_2) | instskip(NEXT) | instid1(VALU_DEP_2)
	v_fma_f64 v[65:66], v[59:60], v[65:66], s[48:49]
	v_fma_f64 v[61:62], v[57:58], v[61:62], s[52:53]
	s_delay_alu instid0(VALU_DEP_2) | instskip(NEXT) | instid1(VALU_DEP_2)
	;; [unrolled: 3-line block ×4, first 2 shown]
	v_fma_f64 v[65:66], v[59:60], v[65:66], s[44:45]
	v_fma_f64 v[57:58], v[57:58], v[61:62], s[40:41]
	v_mul_f64 v[61:62], v[55:56], v[59:60]
	s_delay_alu instid0(VALU_DEP_3)
	v_fma_f64 v[59:60], v[59:60], v[65:66], s[40:41]
	v_ldexp_f64 v[65:66], v[53:54], 1
	v_add_f64 v[53:54], v[53:54], -v[63:64]
	v_mul_f64 v[57:58], v[69:70], v[57:58]
	v_ldexp_f64 v[69:70], v[55:56], 1
	v_add_f64 v[55:56], v[55:56], -v[67:68]
	v_mul_f64 v[59:60], v[61:62], v[59:60]
	v_add_f64 v[49:50], v[49:50], -v[53:54]
	v_add_f64 v[61:62], v[65:66], v[57:58]
	s_delay_alu instid0(VALU_DEP_4) | instskip(NEXT) | instid1(VALU_DEP_4)
	v_add_f64 v[51:52], v[51:52], -v[55:56]
	v_add_f64 v[63:64], v[69:70], v[59:60]
	s_delay_alu instid0(VALU_DEP_4) | instskip(NEXT) | instid1(VALU_DEP_4)
	v_ldexp_f64 v[49:50], v[49:50], 1
	v_add_f64 v[53:54], v[61:62], -v[65:66]
	v_frexp_exp_i32_f64_e32 v65, v[47:48]
	v_ldexp_f64 v[51:52], v[51:52], 1
	v_add_f64 v[55:56], v[63:64], -v[69:70]
	s_delay_alu instid0(VALU_DEP_4) | instskip(SKIP_4) | instid1(VALU_DEP_3)
	v_add_f64 v[53:54], v[57:58], -v[53:54]
	v_cvt_f64_i32_e32 v[57:58], v0
	v_subrev_co_ci_u32_e64 v0, vcc_lo, 0, v65, s0
	v_cmp_eq_f64_e32 vcc_lo, 0x7ff00000, v[35:36]
	v_add_f64 v[55:56], v[59:60], -v[55:56]
	v_cvt_f64_i32_e32 v[65:66], v0
	v_add_f64 v[49:50], v[49:50], v[53:54]
	v_mul_f64 v[69:70], v[57:58], s[34:35]
	s_delay_alu instid0(VALU_DEP_4) | instskip(NEXT) | instid1(VALU_DEP_4)
	v_add_f64 v[51:52], v[51:52], v[55:56]
	v_mul_f64 v[71:72], v[65:66], s[34:35]
	s_delay_alu instid0(VALU_DEP_4) | instskip(NEXT) | instid1(VALU_DEP_4)
	v_add_f64 v[53:54], v[61:62], v[49:50]
	v_fma_f64 v[73:74], v[57:58], s[34:35], -v[69:70]
	s_delay_alu instid0(VALU_DEP_4) | instskip(NEXT) | instid1(VALU_DEP_3)
	v_add_f64 v[55:56], v[63:64], v[51:52]
	v_add_f64 v[59:60], v[53:54], -v[61:62]
	v_mul_f64 v[61:62], v[53:54], s[30:31]
	s_delay_alu instid0(VALU_DEP_4) | instskip(NEXT) | instid1(VALU_DEP_4)
	v_fma_f64 v[57:58], v[57:58], s[46:47], v[73:74]
	v_add_f64 v[63:64], v[55:56], -v[63:64]
	v_mul_f64 v[67:68], v[55:56], s[30:31]
	v_add_f64 v[49:50], v[49:50], -v[59:60]
	v_fma_f64 v[59:60], v[53:54], s[30:31], -v[61:62]
	s_delay_alu instid0(VALU_DEP_4) | instskip(NEXT) | instid1(VALU_DEP_4)
	v_add_f64 v[51:52], v[51:52], -v[63:64]
	v_fma_f64 v[63:64], v[55:56], s[30:31], -v[67:68]
	s_delay_alu instid0(VALU_DEP_3) | instskip(SKIP_1) | instid1(VALU_DEP_3)
	v_fma_f64 v[49:50], v[49:50], s[30:31], v[59:60]
	v_fma_f64 v[59:60], v[65:66], s[34:35], -v[71:72]
	v_fma_f64 v[51:52], v[51:52], s[30:31], v[63:64]
	s_delay_alu instid0(VALU_DEP_3) | instskip(NEXT) | instid1(VALU_DEP_3)
	v_fma_f64 v[49:50], v[53:54], s[54:55], v[49:50]
	v_fma_f64 v[53:54], v[65:66], s[46:47], v[59:60]
	s_delay_alu instid0(VALU_DEP_3) | instskip(SKIP_1) | instid1(VALU_DEP_4)
	v_fma_f64 v[51:52], v[55:56], s[54:55], v[51:52]
	v_add_f64 v[55:56], v[69:70], v[57:58]
	v_add_f64 v[59:60], v[61:62], v[49:50]
	s_delay_alu instid0(VALU_DEP_4) | instskip(NEXT) | instid1(VALU_DEP_4)
	v_add_f64 v[63:64], v[71:72], v[53:54]
	v_add_f64 v[65:66], v[67:68], v[51:52]
	s_delay_alu instid0(VALU_DEP_4) | instskip(NEXT) | instid1(VALU_DEP_4)
	v_add_f64 v[69:70], v[55:56], -v[69:70]
	v_add_f64 v[73:74], v[55:56], v[59:60]
	v_add_f64 v[61:62], v[59:60], -v[61:62]
	v_add_f64 v[71:72], v[63:64], -v[71:72]
	v_add_f64 v[75:76], v[63:64], v[65:66]
	v_add_f64 v[67:68], v[65:66], -v[67:68]
	v_add_f64 v[57:58], v[57:58], -v[69:70]
	;; [unrolled: 1-line block ×9, first 2 shown]
	s_delay_alu instid0(VALU_DEP_4) | instskip(SKIP_3) | instid1(VALU_DEP_4)
	v_add_f64 v[69:70], v[75:76], -v[79:80]
	v_add_f64 v[61:62], v[65:66], -v[79:80]
	v_add_f64 v[65:66], v[57:58], v[49:50]
	v_add_f64 v[55:56], v[55:56], -v[81:82]
	v_add_f64 v[63:64], v[63:64], -v[69:70]
	s_delay_alu instid0(VALU_DEP_2) | instskip(SKIP_1) | instid1(VALU_DEP_3)
	v_add_f64 v[55:56], v[59:60], v[55:56]
	v_add_f64 v[59:60], v[53:54], v[51:52]
	;; [unrolled: 1-line block ×3, first 2 shown]
	v_add_f64 v[63:64], v[65:66], -v[57:58]
	s_delay_alu instid0(VALU_DEP_4) | instskip(NEXT) | instid1(VALU_DEP_4)
	v_add_f64 v[55:56], v[65:66], v[55:56]
	v_add_f64 v[67:68], v[59:60], -v[53:54]
	s_delay_alu instid0(VALU_DEP_4) | instskip(NEXT) | instid1(VALU_DEP_4)
	v_add_f64 v[61:62], v[59:60], v[61:62]
	v_add_f64 v[65:66], v[65:66], -v[63:64]
	v_add_f64 v[49:50], v[49:50], -v[63:64]
	v_add_f64 v[69:70], v[73:74], v[55:56]
	v_add_f64 v[59:60], v[59:60], -v[67:68]
	v_add_f64 v[51:52], v[51:52], -v[67:68]
	v_add_f64 v[71:72], v[75:76], v[61:62]
	v_add_f64 v[57:58], v[57:58], -v[65:66]
	v_add_f64 v[63:64], v[69:70], -v[73:74]
	v_add_f64 v[53:54], v[53:54], -v[59:60]
	s_delay_alu instid0(VALU_DEP_4) | instskip(NEXT) | instid1(VALU_DEP_4)
	v_add_f64 v[59:60], v[71:72], -v[75:76]
	v_add_f64 v[49:50], v[49:50], v[57:58]
	s_delay_alu instid0(VALU_DEP_4) | instskip(NEXT) | instid1(VALU_DEP_4)
	v_add_f64 v[55:56], v[55:56], -v[63:64]
	v_add_f64 v[51:52], v[51:52], v[53:54]
	s_delay_alu instid0(VALU_DEP_4) | instskip(NEXT) | instid1(VALU_DEP_3)
	v_add_f64 v[53:54], v[61:62], -v[59:60]
	v_add_f64 v[49:50], v[49:50], v[55:56]
	s_delay_alu instid0(VALU_DEP_2) | instskip(NEXT) | instid1(VALU_DEP_2)
	v_add_f64 v[51:52], v[51:52], v[53:54]
	v_add_f64 v[49:50], v[69:70], v[49:50]
	s_delay_alu instid0(VALU_DEP_2) | instskip(NEXT) | instid1(VALU_DEP_2)
	v_add_f64 v[51:52], v[71:72], v[51:52]
	v_dual_cndmask_b32 v36, v50, v36 :: v_dual_cndmask_b32 v35, v49, v35
	v_cmp_eq_f64_e32 vcc_lo, 0x7ff00000, v[47:48]
	s_delay_alu instid0(VALU_DEP_2) | instskip(NEXT) | instid1(VALU_DEP_4)
	v_fma_f64 v[49:50], v[35:36], s[68:69], s[62:63]
	v_dual_cndmask_b32 v48, v52, v48 :: v_dual_cndmask_b32 v47, v51, v47
	v_fma_f64 v[51:52], v[35:36], s[70:71], 0x3fe80000
	s_delay_alu instid0(VALU_DEP_2) | instskip(NEXT) | instid1(VALU_DEP_1)
	v_add_f64 v[47:48], v[47:48], -v[49:50]
	v_fma_f64 v[49:50], v[47:48], s[72:73], v[51:52]
	s_delay_alu instid0(VALU_DEP_1) | instskip(SKIP_1) | instid1(VALU_DEP_2)
	v_div_scale_f64 v[51:52], null, v[49:50], v[49:50], 1.0
	v_div_scale_f64 v[57:58], vcc_lo, 1.0, v[49:50], 1.0
	v_rcp_f64_e32 v[53:54], v[51:52]
	s_waitcnt_depctr 0xfff
	v_fma_f64 v[55:56], -v[51:52], v[53:54], 1.0
	s_delay_alu instid0(VALU_DEP_1) | instskip(NEXT) | instid1(VALU_DEP_1)
	v_fma_f64 v[53:54], v[53:54], v[55:56], v[53:54]
	v_fma_f64 v[55:56], -v[51:52], v[53:54], 1.0
	s_delay_alu instid0(VALU_DEP_1) | instskip(NEXT) | instid1(VALU_DEP_1)
	v_fma_f64 v[53:54], v[53:54], v[55:56], v[53:54]
	v_mul_f64 v[55:56], v[57:58], v[53:54]
	s_delay_alu instid0(VALU_DEP_1) | instskip(NEXT) | instid1(VALU_DEP_1)
	v_fma_f64 v[51:52], -v[51:52], v[55:56], v[57:58]
	v_div_fmas_f64 v[51:52], v[51:52], v[53:54], v[55:56]
	s_delay_alu instid0(VALU_DEP_1) | instskip(NEXT) | instid1(VALU_DEP_1)
	v_div_fixup_f64 v[49:50], v[51:52], v[49:50], 1.0
	v_mul_f64 v[47:48], v[47:48], v[49:50]
	s_delay_alu instid0(VALU_DEP_1) | instskip(NEXT) | instid1(VALU_DEP_1)
	v_fma_f64 v[47:48], v[47:48], v[47:48], 1.0
	v_div_scale_f64 v[49:50], null, v[47:48], v[47:48], 1.0
	v_div_scale_f64 v[55:56], vcc_lo, 1.0, v[47:48], 1.0
	s_delay_alu instid0(VALU_DEP_2) | instskip(SKIP_2) | instid1(VALU_DEP_1)
	v_rcp_f64_e32 v[51:52], v[49:50]
	s_waitcnt_depctr 0xfff
	v_fma_f64 v[53:54], -v[49:50], v[51:52], 1.0
	v_fma_f64 v[51:52], v[51:52], v[53:54], v[51:52]
	s_delay_alu instid0(VALU_DEP_1) | instskip(NEXT) | instid1(VALU_DEP_1)
	v_fma_f64 v[53:54], -v[49:50], v[51:52], 1.0
	v_fma_f64 v[51:52], v[51:52], v[53:54], v[51:52]
	s_delay_alu instid0(VALU_DEP_1) | instskip(NEXT) | instid1(VALU_DEP_1)
	v_mul_f64 v[53:54], v[55:56], v[51:52]
	v_fma_f64 v[49:50], -v[49:50], v[53:54], v[55:56]
	s_delay_alu instid0(VALU_DEP_1) | instskip(NEXT) | instid1(VALU_DEP_1)
	v_div_fmas_f64 v[49:50], v[49:50], v[51:52], v[53:54]
	v_div_fixup_f64 v[47:48], v[49:50], v[47:48], 1.0
	s_delay_alu instid0(VALU_DEP_1) | instskip(NEXT) | instid1(VALU_DEP_1)
	v_mul_f64 v[35:36], v[35:36], v[47:48]
	v_mul_f64 v[47:48], v[35:36], s[38:39]
	v_cmp_nlt_f64_e32 vcc_lo, 0x40900000, v[35:36]
	v_cmp_ngt_f64_e64 s0, 0xc090cc00, v[35:36]
	s_delay_alu instid0(VALU_DEP_3) | instskip(NEXT) | instid1(VALU_DEP_1)
	v_rndne_f64_e32 v[47:48], v[47:48]
	v_fma_f64 v[49:50], v[47:48], s[56:57], v[35:36]
	v_cvt_i32_f64_e32 v0, v[47:48]
	s_delay_alu instid0(VALU_DEP_2) | instskip(NEXT) | instid1(VALU_DEP_1)
	v_fma_f64 v[49:50], v[47:48], s[50:51], v[49:50]
	v_mul_f64 v[51:52], v[49:50], s[64:65]
	s_delay_alu instid0(VALU_DEP_1) | instskip(NEXT) | instid1(VALU_DEP_1)
	v_fma_f64 v[49:50], v[49:50], s[66:67], v[51:52]
	v_fma_f64 v[51:52], v[49:50], s[18:19], s[14:15]
	s_delay_alu instid0(VALU_DEP_1) | instskip(NEXT) | instid1(VALU_DEP_1)
	v_fma_f64 v[51:52], v[49:50], v[51:52], s[20:21]
	v_fma_f64 v[51:52], v[49:50], v[51:52], s[22:23]
	;; [unrolled: 3-line block ×5, first 2 shown]
	s_delay_alu instid0(VALU_DEP_1) | instskip(NEXT) | instid1(VALU_DEP_1)
	v_fma_f64 v[51:52], v[49:50], v[51:52], 1.0
	v_fma_f64 v[47:48], v[49:50], v[51:52], 1.0
	s_delay_alu instid0(VALU_DEP_1) | instskip(NEXT) | instid1(VALU_DEP_1)
	v_ldexp_f64 v[47:48], v[47:48], v0
	v_cndmask_b32_e32 v0, 0x7ff00000, v48, vcc_lo
	s_and_b32 vcc_lo, s0, vcc_lo
	s_delay_alu instid0(VALU_DEP_2) | instskip(NEXT) | instid1(VALU_DEP_2)
	v_cndmask_b32_e32 v33, 0, v47, vcc_lo
	v_cndmask_b32_e64 v34, 0, v0, s0
	s_mov_b32 s0, 0x8725af6e
	s_mov_b32 s1, 0xbf74cab8
	s_delay_alu instid0(SALU_CYCLE_1) | instskip(NEXT) | instid1(VALU_DEP_2)
	v_mul_f64 v[35:36], v[9:10], s[0:1]
	v_mul_f64 v[23:24], v[23:24], v[33:34]
	s_mov_b32 s0, 0xe6bb82fe
	s_mov_b32 s1, 0xbf454725
	v_mad_u64_u32 v[33:34], null, s33, 9, v[1:2]
	v_mul_f64 v[41:42], v[9:10], s[0:1]
	v_mov_b32_e32 v34, v2
	s_mov_b32 s0, 0xb020c49c
	s_mov_b32 s1, 0x3fb16872
	v_mul_f64 v[49:50], v[35:36], s[76:77]
	v_mul_f64 v[47:48], v[25:26], v[23:24]
	v_lshlrev_b64 v[25:26], 3, v[33:34]
	v_mul_f64 v[51:52], v[41:42], s[76:77]
	v_cmp_nlt_f64_e64 s2, 0x40900000, v[41:42]
	s_delay_alu instid0(VALU_DEP_3) | instskip(NEXT) | instid1(VALU_DEP_4)
	v_add_co_u32 v0, vcc_lo, s8, v25
	v_add_co_ci_u32_e32 v1, vcc_lo, s9, v26, vcc_lo
	v_add_co_u32 v27, vcc_lo, s12, v27
	v_add_co_ci_u32_e32 v28, vcc_lo, s13, v28, vcc_lo
	v_cmp_ngt_f64_e64 s3, 0xc090cc00, v[41:42]
	global_load_b64 v[27:28], v[27:28], off
	global_store_b64 v[29:30], v[47:48], off
	global_load_b64 v[29:30], v[0:1], off
	v_rndne_f64_e32 v[47:48], v[49:50]
	v_mul_f64 v[49:50], 0xc0c41e00, v[19:20]
	v_rndne_f64_e32 v[51:52], v[51:52]
	s_delay_alu instid0(VALU_DEP_3) | instskip(NEXT) | instid1(VALU_DEP_3)
	v_fma_f64 v[53:54], v[47:48], s[78:79], v[35:36]
	v_mul_f64 v[55:56], v[49:50], s[76:77]
	v_cvt_i32_f64_e32 v34, v[47:48]
	s_delay_alu instid0(VALU_DEP_4) | instskip(NEXT) | instid1(VALU_DEP_4)
	v_fma_f64 v[57:58], v[51:52], s[78:79], v[41:42]
	v_fma_f64 v[53:54], v[47:48], s[74:75], v[53:54]
	s_delay_alu instid0(VALU_DEP_4) | instskip(NEXT) | instid1(VALU_DEP_3)
	v_rndne_f64_e32 v[55:56], v[55:56]
	v_fma_f64 v[57:58], v[51:52], s[74:75], v[57:58]
	s_delay_alu instid0(VALU_DEP_3) | instskip(NEXT) | instid1(VALU_DEP_3)
	v_fma_f64 v[59:60], v[53:54], s[18:19], s[14:15]
	v_fma_f64 v[61:62], v[55:56], s[78:79], v[49:50]
	s_delay_alu instid0(VALU_DEP_3) | instskip(NEXT) | instid1(VALU_DEP_3)
	v_fma_f64 v[63:64], v[57:58], s[18:19], s[14:15]
	;; [unrolled: 3-line block ×9, first 2 shown]
	v_fma_f64 v[63:64], v[57:58], v[63:64], s[28:29]
	s_waitcnt vmcnt(0)
	v_div_scale_f64 v[67:68], null, v[29:30], v[29:30], 1.0
	s_delay_alu instid0(VALU_DEP_4) | instskip(NEXT) | instid1(VALU_DEP_4)
	v_fma_f64 v[59:60], v[53:54], v[59:60], s[4:5]
	v_fma_f64 v[65:66], v[61:62], v[65:66], s[26:27]
	s_delay_alu instid0(VALU_DEP_4) | instskip(NEXT) | instid1(VALU_DEP_4)
	v_fma_f64 v[63:64], v[57:58], v[63:64], s[4:5]
	v_rcp_f64_e32 v[69:70], v[67:68]
	s_delay_alu instid0(VALU_DEP_3) | instskip(NEXT) | instid1(VALU_DEP_3)
	v_fma_f64 v[59:60], v[53:54], v[59:60], s[6:7]
	v_fma_f64 v[65:66], v[61:62], v[65:66], s[28:29]
	s_delay_alu instid0(VALU_DEP_3)
	v_fma_f64 v[63:64], v[57:58], v[63:64], s[6:7]
	s_waitcnt_depctr 0xfff
	v_fma_f64 v[71:72], -v[67:68], v[69:70], 1.0
	v_fma_f64 v[59:60], v[53:54], v[59:60], s[16:17]
	v_fma_f64 v[65:66], v[61:62], v[65:66], s[4:5]
	;; [unrolled: 1-line block ×3, first 2 shown]
	s_delay_alu instid0(VALU_DEP_4) | instskip(NEXT) | instid1(VALU_DEP_4)
	v_fma_f64 v[69:70], v[69:70], v[71:72], v[69:70]
	v_fma_f64 v[59:60], v[53:54], v[59:60], 1.0
	s_delay_alu instid0(VALU_DEP_4) | instskip(NEXT) | instid1(VALU_DEP_4)
	v_fma_f64 v[65:66], v[61:62], v[65:66], s[6:7]
	v_fma_f64 v[63:64], v[57:58], v[63:64], 1.0
	s_delay_alu instid0(VALU_DEP_4) | instskip(NEXT) | instid1(VALU_DEP_4)
	v_fma_f64 v[71:72], -v[67:68], v[69:70], 1.0
	v_fma_f64 v[47:48], v[53:54], v[59:60], 1.0
	s_delay_alu instid0(VALU_DEP_4)
	v_fma_f64 v[53:54], v[61:62], v[65:66], s[16:17]
	v_cvt_i32_f64_e32 v65, v[51:52]
	v_fma_f64 v[51:52], v[57:58], v[63:64], 1.0
	v_div_scale_f64 v[57:58], vcc_lo, 1.0, v[29:30], 1.0
	v_fma_f64 v[59:60], v[69:70], v[71:72], v[69:70]
	v_ldexp_f64 v[47:48], v[47:48], v34
	v_fma_f64 v[53:54], v[61:62], v[53:54], 1.0
	v_cvt_i32_f64_e32 v34, v[55:56]
	v_ldexp_f64 v[51:52], v[51:52], v65
	v_mul_f64 v[63:64], v[57:58], v[59:60]
	v_mul_f64 v[47:48], v[47:48], s[0:1]
	s_mov_b32 s0, 0xa9fbe76d
	s_mov_b32 s1, 0x3fedd2f1
	v_fma_f64 v[53:54], v[61:62], v[53:54], 1.0
	s_delay_alu instid0(VALU_DEP_4)
	v_mul_f64 v[51:52], v[51:52], s[0:1]
	v_cmp_nlt_f64_e64 s0, 0x40900000, v[35:36]
	v_cmp_ngt_f64_e64 s1, 0xc090cc00, v[35:36]
	v_fma_f64 v[55:56], -v[67:68], v[63:64], v[57:58]
	v_ldexp_f64 v[34:35], v[53:54], v34
	v_cndmask_b32_e64 v36, 0x7ff00000, v52, s2
	v_cndmask_b32_e64 v48, 0x7ff00000, v48, s0
	v_mov_b32_e32 v53, v2
	s_delay_alu instid0(VALU_DEP_3) | instskip(NEXT) | instid1(VALU_DEP_3)
	v_cndmask_b32_e64 v36, 0, v36, s3
	v_cndmask_b32_e64 v48, 0, v48, s1
	v_div_fmas_f64 v[41:42], v[55:56], v[59:60], v[63:64]
	s_and_b32 vcc_lo, s1, s0
	v_cmp_ngt_f64_e64 s0, 0xc090cc00, v[49:50]
	v_cndmask_b32_e32 v47, 0, v47, vcc_lo
	v_cmp_nlt_f64_e32 vcc_lo, 0x40900000, v[49:50]
	s_and_b32 s1, s3, s2
	s_delay_alu instid0(VALU_DEP_4) | instskip(SKIP_3) | instid1(VALU_DEP_1)
	v_div_fixup_f64 v[41:42], v[41:42], v[29:30], 1.0
	v_cndmask_b32_e32 v52, 0x7ff00000, v35, vcc_lo
	v_cndmask_b32_e64 v35, 0, v51, s1
	s_and_b32 vcc_lo, s0, vcc_lo
	v_add_f64 v[35:36], v[47:48], v[35:36]
	s_delay_alu instid0(VALU_DEP_3) | instskip(SKIP_2) | instid1(VALU_DEP_2)
	v_cndmask_b32_e64 v48, 0, v52, s0
	v_cndmask_b32_e32 v47, 0, v34, vcc_lo
	v_mul_f64 v[41:42], v[7:8], v[41:42]
	v_add_f64 v[34:35], v[47:48], v[35:36]
	s_delay_alu instid0(VALU_DEP_2) | instskip(SKIP_1) | instid1(VALU_DEP_3)
	v_mul_f64 v[47:48], v[27:28], v[41:42]
	v_fma_f64 v[27:28], v[27:28], v[41:42], 1.0
	v_max_f64 v[34:35], 0x38100000, v[34:35]
	s_delay_alu instid0(VALU_DEP_3) | instskip(NEXT) | instid1(VALU_DEP_2)
	v_max_f64 v[51:52], 0x38100000, v[47:48]
	v_frexp_mant_f64_e32 v[49:50], v[34:35]
	v_frexp_exp_i32_f64_e32 v36, v[34:35]
	s_delay_alu instid0(VALU_DEP_3) | instskip(NEXT) | instid1(VALU_DEP_3)
	v_frexp_mant_f64_e32 v[55:56], v[51:52]
	v_cmp_gt_f64_e32 vcc_lo, s[58:59], v[49:50]
	s_delay_alu instid0(VALU_DEP_2) | instskip(SKIP_2) | instid1(VALU_DEP_2)
	v_cmp_gt_f64_e64 s0, s[58:59], v[55:56]
	v_cndmask_b32_e64 v54, 0x3ff00000, 2.0, vcc_lo
	v_subrev_co_ci_u32_e32 v36, vcc_lo, 0, v36, vcc_lo
	v_mul_f64 v[49:50], v[49:50], v[53:54]
	s_delay_alu instid0(VALU_DEP_4) | instskip(NEXT) | instid1(VALU_DEP_1)
	v_cndmask_b32_e64 v54, 0x3ff00000, 2.0, s0
	v_mul_f64 v[53:54], v[55:56], v[53:54]
	s_delay_alu instid0(VALU_DEP_3) | instskip(NEXT) | instid1(VALU_DEP_2)
	v_add_f64 v[57:58], v[49:50], 1.0
	v_add_f64 v[59:60], v[53:54], 1.0
	v_add_f64 v[69:70], v[53:54], -1.0
	s_delay_alu instid0(VALU_DEP_3) | instskip(NEXT) | instid1(VALU_DEP_2)
	v_rcp_f64_e32 v[55:56], v[57:58]
	v_rcp_f64_e32 v[63:64], v[59:60]
	s_waitcnt_depctr 0xfff
	v_fma_f64 v[61:62], -v[57:58], v[55:56], 1.0
	s_delay_alu instid0(VALU_DEP_1) | instskip(SKIP_1) | instid1(VALU_DEP_2)
	v_fma_f64 v[55:56], v[61:62], v[55:56], v[55:56]
	v_fma_f64 v[61:62], -v[59:60], v[63:64], 1.0
	v_fma_f64 v[65:66], -v[57:58], v[55:56], 1.0
	s_delay_alu instid0(VALU_DEP_2) | instskip(SKIP_1) | instid1(VALU_DEP_3)
	v_fma_f64 v[61:62], v[61:62], v[63:64], v[63:64]
	v_add_f64 v[63:64], v[49:50], -1.0
	v_fma_f64 v[55:56], v[65:66], v[55:56], v[55:56]
	s_delay_alu instid0(VALU_DEP_3) | instskip(NEXT) | instid1(VALU_DEP_2)
	v_fma_f64 v[65:66], -v[59:60], v[61:62], 1.0
	v_mul_f64 v[67:68], v[63:64], v[55:56]
	s_delay_alu instid0(VALU_DEP_2) | instskip(SKIP_1) | instid1(VALU_DEP_3)
	v_fma_f64 v[61:62], v[65:66], v[61:62], v[61:62]
	v_add_f64 v[65:66], v[57:58], -1.0
	v_mul_f64 v[71:72], v[57:58], v[67:68]
	s_delay_alu instid0(VALU_DEP_3) | instskip(NEXT) | instid1(VALU_DEP_3)
	v_mul_f64 v[73:74], v[69:70], v[61:62]
	v_add_f64 v[49:50], v[49:50], -v[65:66]
	v_add_f64 v[65:66], v[59:60], -1.0
	s_delay_alu instid0(VALU_DEP_4) | instskip(NEXT) | instid1(VALU_DEP_4)
	v_fma_f64 v[57:58], v[67:68], v[57:58], -v[71:72]
	v_mul_f64 v[75:76], v[59:60], v[73:74]
	s_delay_alu instid0(VALU_DEP_3) | instskip(NEXT) | instid1(VALU_DEP_3)
	v_add_f64 v[53:54], v[53:54], -v[65:66]
	v_fma_f64 v[49:50], v[67:68], v[49:50], v[57:58]
	s_delay_alu instid0(VALU_DEP_3) | instskip(NEXT) | instid1(VALU_DEP_2)
	v_fma_f64 v[57:58], v[73:74], v[59:60], -v[75:76]
	v_add_f64 v[59:60], v[71:72], v[49:50]
	s_delay_alu instid0(VALU_DEP_2) | instskip(NEXT) | instid1(VALU_DEP_2)
	v_fma_f64 v[53:54], v[73:74], v[53:54], v[57:58]
	v_add_f64 v[57:58], v[63:64], -v[59:60]
	s_delay_alu instid0(VALU_DEP_2) | instskip(SKIP_1) | instid1(VALU_DEP_3)
	v_add_f64 v[65:66], v[75:76], v[53:54]
	v_add_f64 v[71:72], v[59:60], -v[71:72]
	v_add_f64 v[63:64], v[63:64], -v[57:58]
	s_delay_alu instid0(VALU_DEP_3) | instskip(NEXT) | instid1(VALU_DEP_3)
	v_add_f64 v[77:78], v[69:70], -v[65:66]
	v_add_f64 v[49:50], v[71:72], -v[49:50]
	s_delay_alu instid0(VALU_DEP_3) | instskip(SKIP_1) | instid1(VALU_DEP_4)
	v_add_f64 v[59:60], v[63:64], -v[59:60]
	v_add_f64 v[63:64], v[65:66], -v[75:76]
	;; [unrolled: 1-line block ×3, first 2 shown]
	s_delay_alu instid0(VALU_DEP_3) | instskip(NEXT) | instid1(VALU_DEP_3)
	v_add_f64 v[49:50], v[49:50], v[59:60]
	v_add_f64 v[53:54], v[63:64], -v[53:54]
	s_delay_alu instid0(VALU_DEP_3) | instskip(NEXT) | instid1(VALU_DEP_3)
	v_add_f64 v[59:60], v[69:70], -v[65:66]
	v_add_f64 v[49:50], v[57:58], v[49:50]
	s_delay_alu instid0(VALU_DEP_2) | instskip(NEXT) | instid1(VALU_DEP_2)
	v_add_f64 v[53:54], v[53:54], v[59:60]
	v_mul_f64 v[49:50], v[55:56], v[49:50]
	s_delay_alu instid0(VALU_DEP_2) | instskip(NEXT) | instid1(VALU_DEP_2)
	v_add_f64 v[53:54], v[77:78], v[53:54]
	v_add_f64 v[55:56], v[67:68], v[49:50]
	s_delay_alu instid0(VALU_DEP_2) | instskip(NEXT) | instid1(VALU_DEP_2)
	v_mul_f64 v[53:54], v[61:62], v[53:54]
	v_mul_f64 v[57:58], v[55:56], v[55:56]
	s_delay_alu instid0(VALU_DEP_2) | instskip(NEXT) | instid1(VALU_DEP_2)
	v_add_f64 v[59:60], v[73:74], v[53:54]
	v_fma_f64 v[61:62], v[57:58], s[42:43], s[36:37]
	v_mul_f64 v[69:70], v[55:56], v[57:58]
	s_delay_alu instid0(VALU_DEP_3) | instskip(NEXT) | instid1(VALU_DEP_3)
	v_mul_f64 v[63:64], v[59:60], v[59:60]
	v_fma_f64 v[61:62], v[57:58], v[61:62], s[48:49]
	s_delay_alu instid0(VALU_DEP_2) | instskip(NEXT) | instid1(VALU_DEP_2)
	v_fma_f64 v[65:66], v[63:64], s[42:43], s[36:37]
	v_fma_f64 v[61:62], v[57:58], v[61:62], s[52:53]
	s_delay_alu instid0(VALU_DEP_2) | instskip(NEXT) | instid1(VALU_DEP_2)
	v_fma_f64 v[65:66], v[63:64], v[65:66], s[48:49]
	;; [unrolled: 3-line block ×4, first 2 shown]
	v_fma_f64 v[57:58], v[57:58], v[61:62], s[40:41]
	s_delay_alu instid0(VALU_DEP_2)
	v_fma_f64 v[61:62], v[63:64], v[65:66], s[44:45]
	v_ldexp_f64 v[65:66], v[55:56], 1
	v_add_f64 v[55:56], v[55:56], -v[67:68]
	v_ldexp_f64 v[67:68], v[59:60], 1
	v_mul_f64 v[57:58], v[69:70], v[57:58]
	v_mul_f64 v[69:70], v[59:60], v[63:64]
	v_fma_f64 v[61:62], v[63:64], v[61:62], s[40:41]
	v_add_f64 v[59:60], v[59:60], -v[73:74]
	v_add_f64 v[49:50], v[49:50], -v[55:56]
	v_add_f64 v[63:64], v[65:66], v[57:58]
	s_delay_alu instid0(VALU_DEP_4) | instskip(NEXT) | instid1(VALU_DEP_4)
	v_mul_f64 v[61:62], v[69:70], v[61:62]
	v_add_f64 v[53:54], v[53:54], -v[59:60]
	s_delay_alu instid0(VALU_DEP_4) | instskip(NEXT) | instid1(VALU_DEP_4)
	v_ldexp_f64 v[49:50], v[49:50], 1
	v_add_f64 v[55:56], v[63:64], -v[65:66]
	s_delay_alu instid0(VALU_DEP_4) | instskip(NEXT) | instid1(VALU_DEP_4)
	v_add_f64 v[65:66], v[67:68], v[61:62]
	v_ldexp_f64 v[53:54], v[53:54], 1
	s_delay_alu instid0(VALU_DEP_3) | instskip(NEXT) | instid1(VALU_DEP_3)
	v_add_f64 v[55:56], v[57:58], -v[55:56]
	v_add_f64 v[57:58], v[65:66], -v[67:68]
	v_frexp_exp_i32_f64_e32 v67, v[51:52]
	s_delay_alu instid0(VALU_DEP_3) | instskip(NEXT) | instid1(VALU_DEP_3)
	v_add_f64 v[49:50], v[49:50], v[55:56]
	v_add_f64 v[55:56], v[61:62], -v[57:58]
	s_delay_alu instid0(VALU_DEP_2) | instskip(NEXT) | instid1(VALU_DEP_2)
	v_add_f64 v[57:58], v[63:64], v[49:50]
	v_add_f64 v[53:54], v[53:54], v[55:56]
	v_cvt_f64_i32_e32 v[55:56], v36
	v_subrev_co_ci_u32_e64 v36, vcc_lo, 0, v67, s0
	v_cmp_eq_f64_e32 vcc_lo, 0x7ff00000, v[34:35]
	s_delay_alu instid0(VALU_DEP_2) | instskip(SKIP_4) | instid1(VALU_DEP_4)
	v_cvt_f64_i32_e32 v[69:70], v36
	v_add_f64 v[59:60], v[57:58], -v[63:64]
	v_mul_f64 v[61:62], v[57:58], s[30:31]
	v_add_f64 v[63:64], v[65:66], v[53:54]
	v_mul_f64 v[67:68], v[55:56], s[34:35]
	v_add_f64 v[49:50], v[49:50], -v[59:60]
	s_delay_alu instid0(VALU_DEP_4) | instskip(NEXT) | instid1(VALU_DEP_4)
	v_fma_f64 v[59:60], v[57:58], s[30:31], -v[61:62]
	v_add_f64 v[65:66], v[63:64], -v[65:66]
	v_mul_f64 v[71:72], v[63:64], s[30:31]
	v_fma_f64 v[73:74], v[55:56], s[34:35], -v[67:68]
	s_delay_alu instid0(VALU_DEP_4)
	v_fma_f64 v[49:50], v[49:50], s[30:31], v[59:60]
	v_mul_f64 v[59:60], v[69:70], s[34:35]
	v_add_f64 v[53:54], v[53:54], -v[65:66]
	v_fma_f64 v[65:66], v[63:64], s[30:31], -v[71:72]
	v_fma_f64 v[55:56], v[55:56], s[46:47], v[73:74]
	v_fma_f64 v[49:50], v[57:58], s[54:55], v[49:50]
	v_fma_f64 v[57:58], v[69:70], s[34:35], -v[59:60]
	s_delay_alu instid0(VALU_DEP_4) | instskip(NEXT) | instid1(VALU_DEP_4)
	v_fma_f64 v[53:54], v[53:54], s[30:31], v[65:66]
	v_add_f64 v[65:66], v[67:68], v[55:56]
	s_delay_alu instid0(VALU_DEP_4) | instskip(NEXT) | instid1(VALU_DEP_4)
	v_add_f64 v[73:74], v[61:62], v[49:50]
	v_fma_f64 v[57:58], v[69:70], s[46:47], v[57:58]
	s_delay_alu instid0(VALU_DEP_4) | instskip(NEXT) | instid1(VALU_DEP_4)
	v_fma_f64 v[53:54], v[63:64], s[54:55], v[53:54]
	v_add_f64 v[67:68], v[65:66], -v[67:68]
	s_delay_alu instid0(VALU_DEP_4) | instskip(NEXT) | instid1(VALU_DEP_4)
	v_add_f64 v[63:64], v[65:66], v[73:74]
	v_add_f64 v[69:70], v[59:60], v[57:58]
	v_add_f64 v[61:62], v[73:74], -v[61:62]
	v_add_f64 v[75:76], v[71:72], v[53:54]
	v_add_f64 v[55:56], v[55:56], -v[67:68]
	v_add_f64 v[77:78], v[63:64], -v[65:66]
	;; [unrolled: 1-line block ×4, first 2 shown]
	v_add_f64 v[79:80], v[69:70], v[75:76]
	v_add_f64 v[67:68], v[75:76], -v[71:72]
	v_add_f64 v[81:82], v[63:64], -v[77:78]
	;; [unrolled: 1-line block ×3, first 2 shown]
	v_add_f64 v[73:74], v[55:56], v[49:50]
	v_add_f64 v[83:84], v[79:80], -v[69:70]
	v_add_f64 v[57:58], v[57:58], -v[59:60]
	;; [unrolled: 1-line block ×7, first 2 shown]
	s_delay_alu instid0(VALU_DEP_4) | instskip(NEXT) | instid1(VALU_DEP_4)
	v_add_f64 v[61:62], v[61:62], v[65:66]
	v_add_f64 v[49:50], v[49:50], -v[67:68]
	s_delay_alu instid0(VALU_DEP_4) | instskip(SKIP_1) | instid1(VALU_DEP_4)
	v_add_f64 v[65:66], v[69:70], -v[71:72]
	v_add_f64 v[69:70], v[57:58], v[53:54]
	v_add_f64 v[61:62], v[73:74], v[61:62]
	s_delay_alu instid0(VALU_DEP_3) | instskip(SKIP_1) | instid1(VALU_DEP_4)
	v_add_f64 v[59:60], v[59:60], v[65:66]
	v_add_f64 v[65:66], v[73:74], -v[67:68]
	v_add_f64 v[73:74], v[69:70], -v[57:58]
	s_delay_alu instid0(VALU_DEP_4) | instskip(NEXT) | instid1(VALU_DEP_4)
	v_add_f64 v[71:72], v[63:64], v[61:62]
	v_add_f64 v[59:60], v[69:70], v[59:60]
	s_delay_alu instid0(VALU_DEP_4) | instskip(NEXT) | instid1(VALU_DEP_4)
	v_add_f64 v[55:56], v[55:56], -v[65:66]
	v_add_f64 v[65:66], v[69:70], -v[73:74]
	;; [unrolled: 1-line block ×4, first 2 shown]
	v_add_f64 v[67:68], v[79:80], v[59:60]
	v_add_f64 v[49:50], v[49:50], v[55:56]
	v_add_f64 v[57:58], v[57:58], -v[65:66]
	s_delay_alu instid0(VALU_DEP_4) | instskip(NEXT) | instid1(VALU_DEP_4)
	v_add_f64 v[55:56], v[61:62], -v[63:64]
	v_add_f64 v[61:62], v[67:68], -v[79:80]
	s_delay_alu instid0(VALU_DEP_3) | instskip(NEXT) | instid1(VALU_DEP_3)
	v_add_f64 v[53:54], v[53:54], v[57:58]
	v_add_f64 v[49:50], v[49:50], v[55:56]
	s_delay_alu instid0(VALU_DEP_3) | instskip(NEXT) | instid1(VALU_DEP_2)
	v_add_f64 v[55:56], v[59:60], -v[61:62]
	v_add_f64 v[49:50], v[71:72], v[49:50]
	s_delay_alu instid0(VALU_DEP_2) | instskip(NEXT) | instid1(VALU_DEP_2)
	v_add_f64 v[53:54], v[53:54], v[55:56]
	v_dual_cndmask_b32 v35, v50, v35 :: v_dual_cndmask_b32 v34, v49, v34
	v_cmp_eq_f64_e32 vcc_lo, 0x7ff00000, v[51:52]
	s_delay_alu instid0(VALU_DEP_3) | instskip(NEXT) | instid1(VALU_DEP_3)
	v_add_f64 v[49:50], v[67:68], v[53:54]
	v_fma_f64 v[53:54], v[34:35], s[68:69], s[62:63]
	s_delay_alu instid0(VALU_DEP_2) | instskip(SKIP_2) | instid1(VALU_DEP_3)
	v_dual_cndmask_b32 v50, v50, v52 :: v_dual_cndmask_b32 v49, v49, v51
	v_fma_f64 v[51:52], v[34:35], s[70:71], 0x3fe80000
	v_div_scale_f64 v[63:64], vcc_lo, 1.0, v[27:28], 1.0
	v_add_f64 v[49:50], v[49:50], -v[53:54]
	s_delay_alu instid0(VALU_DEP_1) | instskip(SKIP_1) | instid1(VALU_DEP_2)
	v_fma_f64 v[41:42], v[49:50], s[72:73], v[51:52]
	v_div_scale_f64 v[51:52], null, v[27:28], v[27:28], 1.0
	v_div_scale_f64 v[53:54], null, v[41:42], v[41:42], 1.0
	s_delay_alu instid0(VALU_DEP_2) | instskip(NEXT) | instid1(VALU_DEP_1)
	v_rcp_f64_e32 v[55:56], v[51:52]
	v_rcp_f64_e32 v[57:58], v[53:54]
	s_waitcnt_depctr 0xfff
	v_fma_f64 v[59:60], -v[51:52], v[55:56], 1.0
	v_fma_f64 v[61:62], -v[53:54], v[57:58], 1.0
	s_delay_alu instid0(VALU_DEP_2) | instskip(NEXT) | instid1(VALU_DEP_2)
	v_fma_f64 v[55:56], v[55:56], v[59:60], v[55:56]
	v_fma_f64 v[57:58], v[57:58], v[61:62], v[57:58]
	s_delay_alu instid0(VALU_DEP_2) | instskip(NEXT) | instid1(VALU_DEP_2)
	v_fma_f64 v[59:60], -v[51:52], v[55:56], 1.0
	v_fma_f64 v[61:62], -v[53:54], v[57:58], 1.0
	s_delay_alu instid0(VALU_DEP_2) | instskip(SKIP_1) | instid1(VALU_DEP_3)
	v_fma_f64 v[55:56], v[55:56], v[59:60], v[55:56]
	v_div_scale_f64 v[59:60], s0, 1.0, v[41:42], 1.0
	v_fma_f64 v[57:58], v[57:58], v[61:62], v[57:58]
	s_delay_alu instid0(VALU_DEP_3) | instskip(NEXT) | instid1(VALU_DEP_2)
	v_mul_f64 v[61:62], v[63:64], v[55:56]
	v_mul_f64 v[65:66], v[59:60], v[57:58]
	s_delay_alu instid0(VALU_DEP_2) | instskip(NEXT) | instid1(VALU_DEP_2)
	v_fma_f64 v[51:52], -v[51:52], v[61:62], v[63:64]
	v_fma_f64 v[53:54], -v[53:54], v[65:66], v[59:60]
	s_delay_alu instid0(VALU_DEP_2) | instskip(SKIP_1) | instid1(VALU_DEP_2)
	v_div_fmas_f64 v[51:52], v[51:52], v[55:56], v[61:62]
	s_mov_b32 vcc_lo, s0
	v_div_fmas_f64 v[53:54], v[53:54], v[57:58], v[65:66]
	s_delay_alu instid0(VALU_DEP_2) | instskip(NEXT) | instid1(VALU_DEP_2)
	v_div_fixup_f64 v[27:28], v[51:52], v[27:28], 1.0
	v_div_fixup_f64 v[41:42], v[53:54], v[41:42], 1.0
	s_delay_alu instid0(VALU_DEP_2) | instskip(NEXT) | instid1(VALU_DEP_2)
	v_mul_f64 v[27:28], v[47:48], v[27:28]
	v_mul_f64 v[41:42], v[49:50], v[41:42]
	s_delay_alu instid0(VALU_DEP_1) | instskip(NEXT) | instid1(VALU_DEP_1)
	v_fma_f64 v[41:42], v[41:42], v[41:42], 1.0
	v_div_scale_f64 v[49:50], null, v[41:42], v[41:42], 1.0
	v_div_scale_f64 v[57:58], vcc_lo, 1.0, v[41:42], 1.0
	s_delay_alu instid0(VALU_DEP_2) | instskip(SKIP_2) | instid1(VALU_DEP_1)
	v_rcp_f64_e32 v[53:54], v[49:50]
	s_waitcnt_depctr 0xfff
	v_fma_f64 v[55:56], -v[49:50], v[53:54], 1.0
	v_fma_f64 v[53:54], v[53:54], v[55:56], v[53:54]
	s_delay_alu instid0(VALU_DEP_1) | instskip(NEXT) | instid1(VALU_DEP_1)
	v_fma_f64 v[55:56], -v[49:50], v[53:54], 1.0
	v_fma_f64 v[53:54], v[53:54], v[55:56], v[53:54]
	s_delay_alu instid0(VALU_DEP_1) | instskip(NEXT) | instid1(VALU_DEP_1)
	v_mul_f64 v[55:56], v[57:58], v[53:54]
	v_fma_f64 v[49:50], -v[49:50], v[55:56], v[57:58]
	s_delay_alu instid0(VALU_DEP_1) | instskip(NEXT) | instid1(VALU_DEP_1)
	v_div_fmas_f64 v[49:50], v[49:50], v[53:54], v[55:56]
	v_div_fixup_f64 v[41:42], v[49:50], v[41:42], 1.0
	s_delay_alu instid0(VALU_DEP_1) | instskip(NEXT) | instid1(VALU_DEP_1)
	v_mul_f64 v[34:35], v[34:35], v[41:42]
	v_mul_f64 v[41:42], v[34:35], s[38:39]
	v_cmp_nlt_f64_e32 vcc_lo, 0x40900000, v[34:35]
	v_cmp_ngt_f64_e64 s0, 0xc090cc00, v[34:35]
	s_delay_alu instid0(VALU_DEP_3) | instskip(NEXT) | instid1(VALU_DEP_1)
	v_rndne_f64_e32 v[41:42], v[41:42]
	v_fma_f64 v[49:50], v[41:42], s[56:57], v[34:35]
	v_cvt_i32_f64_e32 v36, v[41:42]
	s_delay_alu instid0(VALU_DEP_2) | instskip(NEXT) | instid1(VALU_DEP_1)
	v_fma_f64 v[49:50], v[41:42], s[50:51], v[49:50]
	v_mul_f64 v[53:54], v[49:50], s[64:65]
	s_delay_alu instid0(VALU_DEP_1) | instskip(NEXT) | instid1(VALU_DEP_1)
	v_fma_f64 v[49:50], v[49:50], s[66:67], v[53:54]
	v_fma_f64 v[53:54], v[49:50], s[18:19], s[14:15]
	s_delay_alu instid0(VALU_DEP_1) | instskip(NEXT) | instid1(VALU_DEP_1)
	v_fma_f64 v[53:54], v[49:50], v[53:54], s[20:21]
	v_fma_f64 v[53:54], v[49:50], v[53:54], s[22:23]
	;; [unrolled: 3-line block ×5, first 2 shown]
	s_delay_alu instid0(VALU_DEP_1) | instskip(NEXT) | instid1(VALU_DEP_1)
	v_fma_f64 v[53:54], v[49:50], v[53:54], 1.0
	v_fma_f64 v[41:42], v[49:50], v[53:54], 1.0
	s_delay_alu instid0(VALU_DEP_1) | instskip(NEXT) | instid1(VALU_DEP_1)
	v_ldexp_f64 v[41:42], v[41:42], v36
	v_cndmask_b32_e32 v36, 0x7ff00000, v42, vcc_lo
	s_and_b32 vcc_lo, s0, vcc_lo
	s_delay_alu instid0(VALU_DEP_2) | instskip(NEXT) | instid1(VALU_DEP_2)
	v_cndmask_b32_e32 v34, 0, v41, vcc_lo
	v_cndmask_b32_e64 v35, 0, v36, s0
	s_mov_b32 s0, 0xe0acd3b
	s_mov_b32 s1, 0xbf71485f
	s_delay_alu instid0(VALU_DEP_2) | instskip(NEXT) | instid1(VALU_DEP_2)
	v_mad_u64_u32 v[57:58], null, 0xffffffe4, s33, v[33:34]
	v_mul_f64 v[27:28], v[27:28], v[34:35]
	v_mul_f64 v[47:48], v[9:10], s[0:1]
	s_mov_b32 s0, 0x91aa75c6
	s_mov_b32 s1, 0xbf43d5d9
	v_mov_b32_e32 v58, v2
	v_mul_f64 v[49:50], v[9:10], s[0:1]
	s_mov_b32 s0, 0x2fec56d6
	s_mov_b32 s1, 0x3fdb27bb
	s_delay_alu instid0(VALU_DEP_2) | instskip(SKIP_4) | instid1(VALU_DEP_4)
	v_mad_u64_u32 v[35:36], null, s33, 36, v[57:58]
	v_mov_b32_e32 v36, v2
	v_lshlrev_b64 v[57:58], 3, v[57:58]
	v_mul_f64 v[51:52], v[29:30], v[27:28]
	v_mul_f64 v[53:54], v[47:48], s[76:77]
	v_lshlrev_b64 v[29:30], 3, v[35:36]
	v_mul_f64 v[55:56], v[49:50], s[76:77]
	v_cmp_nlt_f64_e64 s2, 0x40900000, v[49:50]
	v_cmp_ngt_f64_e64 s3, 0xc090cc00, v[49:50]
	s_delay_alu instid0(VALU_DEP_4)
	v_add_co_u32 v41, vcc_lo, s8, v29
	v_add_co_ci_u32_e32 v42, vcc_lo, s9, v30, vcc_lo
	v_add_co_u32 v57, vcc_lo, s12, v57
	v_add_co_ci_u32_e32 v58, vcc_lo, s13, v58, vcc_lo
	global_load_b64 v[57:58], v[57:58], off
	global_store_b64 v[0:1], v[51:52], off
	global_load_b64 v[0:1], v[41:42], off
	v_rndne_f64_e32 v[33:34], v[53:54]
	v_mul_f64 v[51:52], 0xc0b3cd00, v[19:20]
	v_rndne_f64_e32 v[53:54], v[55:56]
	s_delay_alu instid0(VALU_DEP_3) | instskip(NEXT) | instid1(VALU_DEP_3)
	v_fma_f64 v[55:56], v[33:34], s[78:79], v[47:48]
	v_mul_f64 v[59:60], v[51:52], s[76:77]
	v_cvt_i32_f64_e32 v36, v[33:34]
	s_delay_alu instid0(VALU_DEP_4) | instskip(NEXT) | instid1(VALU_DEP_4)
	v_fma_f64 v[61:62], v[53:54], s[78:79], v[49:50]
	v_fma_f64 v[55:56], v[33:34], s[74:75], v[55:56]
	s_delay_alu instid0(VALU_DEP_4) | instskip(NEXT) | instid1(VALU_DEP_3)
	v_rndne_f64_e32 v[59:60], v[59:60]
	v_fma_f64 v[61:62], v[53:54], s[74:75], v[61:62]
	s_delay_alu instid0(VALU_DEP_3) | instskip(NEXT) | instid1(VALU_DEP_3)
	v_fma_f64 v[63:64], v[55:56], s[18:19], s[14:15]
	v_fma_f64 v[65:66], v[59:60], s[78:79], v[51:52]
	s_delay_alu instid0(VALU_DEP_3) | instskip(NEXT) | instid1(VALU_DEP_3)
	v_fma_f64 v[67:68], v[61:62], s[18:19], s[14:15]
	v_fma_f64 v[63:64], v[55:56], v[63:64], s[20:21]
	s_delay_alu instid0(VALU_DEP_3) | instskip(NEXT) | instid1(VALU_DEP_3)
	v_fma_f64 v[65:66], v[59:60], s[74:75], v[65:66]
	v_fma_f64 v[67:68], v[61:62], v[67:68], s[20:21]
	s_delay_alu instid0(VALU_DEP_3) | instskip(NEXT) | instid1(VALU_DEP_3)
	v_fma_f64 v[63:64], v[55:56], v[63:64], s[22:23]
	v_fma_f64 v[69:70], v[65:66], s[18:19], s[14:15]
	s_delay_alu instid0(VALU_DEP_3) | instskip(NEXT) | instid1(VALU_DEP_3)
	v_fma_f64 v[67:68], v[61:62], v[67:68], s[22:23]
	v_fma_f64 v[63:64], v[55:56], v[63:64], s[24:25]
	s_delay_alu instid0(VALU_DEP_3) | instskip(NEXT) | instid1(VALU_DEP_3)
	v_fma_f64 v[69:70], v[65:66], v[69:70], s[20:21]
	v_fma_f64 v[67:68], v[61:62], v[67:68], s[24:25]
	s_delay_alu instid0(VALU_DEP_3) | instskip(NEXT) | instid1(VALU_DEP_3)
	v_fma_f64 v[63:64], v[55:56], v[63:64], s[26:27]
	v_fma_f64 v[69:70], v[65:66], v[69:70], s[22:23]
	s_delay_alu instid0(VALU_DEP_3) | instskip(NEXT) | instid1(VALU_DEP_3)
	v_fma_f64 v[67:68], v[61:62], v[67:68], s[26:27]
	v_fma_f64 v[63:64], v[55:56], v[63:64], s[28:29]
	s_delay_alu instid0(VALU_DEP_3) | instskip(NEXT) | instid1(VALU_DEP_3)
	v_fma_f64 v[69:70], v[65:66], v[69:70], s[24:25]
	v_fma_f64 v[67:68], v[61:62], v[67:68], s[28:29]
	s_waitcnt vmcnt(0)
	v_div_scale_f64 v[71:72], null, v[0:1], v[0:1], 1.0
	s_delay_alu instid0(VALU_DEP_4) | instskip(NEXT) | instid1(VALU_DEP_4)
	v_fma_f64 v[63:64], v[55:56], v[63:64], s[4:5]
	v_fma_f64 v[69:70], v[65:66], v[69:70], s[26:27]
	s_delay_alu instid0(VALU_DEP_4) | instskip(NEXT) | instid1(VALU_DEP_4)
	v_fma_f64 v[67:68], v[61:62], v[67:68], s[4:5]
	v_rcp_f64_e32 v[73:74], v[71:72]
	s_delay_alu instid0(VALU_DEP_3) | instskip(NEXT) | instid1(VALU_DEP_3)
	v_fma_f64 v[63:64], v[55:56], v[63:64], s[6:7]
	v_fma_f64 v[69:70], v[65:66], v[69:70], s[28:29]
	s_delay_alu instid0(VALU_DEP_3)
	v_fma_f64 v[67:68], v[61:62], v[67:68], s[6:7]
	s_waitcnt_depctr 0xfff
	v_fma_f64 v[75:76], -v[71:72], v[73:74], 1.0
	v_fma_f64 v[63:64], v[55:56], v[63:64], s[16:17]
	v_fma_f64 v[69:70], v[65:66], v[69:70], s[4:5]
	;; [unrolled: 1-line block ×3, first 2 shown]
	s_delay_alu instid0(VALU_DEP_4) | instskip(NEXT) | instid1(VALU_DEP_4)
	v_fma_f64 v[73:74], v[73:74], v[75:76], v[73:74]
	v_fma_f64 v[63:64], v[55:56], v[63:64], 1.0
	s_delay_alu instid0(VALU_DEP_4) | instskip(NEXT) | instid1(VALU_DEP_4)
	v_fma_f64 v[69:70], v[65:66], v[69:70], s[6:7]
	v_fma_f64 v[67:68], v[61:62], v[67:68], 1.0
	s_delay_alu instid0(VALU_DEP_4) | instskip(NEXT) | instid1(VALU_DEP_4)
	v_fma_f64 v[75:76], -v[71:72], v[73:74], 1.0
	v_fma_f64 v[33:34], v[55:56], v[63:64], 1.0
	s_delay_alu instid0(VALU_DEP_4)
	v_fma_f64 v[55:56], v[65:66], v[69:70], s[16:17]
	v_cvt_i32_f64_e32 v69, v[53:54]
	v_fma_f64 v[53:54], v[61:62], v[67:68], 1.0
	v_div_scale_f64 v[61:62], vcc_lo, 1.0, v[0:1], 1.0
	v_fma_f64 v[63:64], v[73:74], v[75:76], v[73:74]
	v_ldexp_f64 v[33:34], v[33:34], v36
	v_fma_f64 v[55:56], v[65:66], v[55:56], 1.0
	v_cvt_i32_f64_e32 v36, v[59:60]
	v_ldexp_f64 v[53:54], v[53:54], v69
	v_mul_f64 v[67:68], v[61:62], v[63:64]
	v_mul_f64 v[33:34], v[33:34], s[0:1]
	s_mov_b32 s0, 0x6809d495
	s_mov_b32 s1, 0x3fe26c22
	v_fma_f64 v[55:56], v[65:66], v[55:56], 1.0
	s_delay_alu instid0(VALU_DEP_4)
	v_mul_f64 v[53:54], v[53:54], s[0:1]
	v_cmp_nlt_f64_e64 s0, 0x40900000, v[47:48]
	v_cmp_ngt_f64_e64 s1, 0xc090cc00, v[47:48]
	v_fma_f64 v[59:60], -v[71:72], v[67:68], v[61:62]
	v_ldexp_f64 v[47:48], v[55:56], v36
	v_cndmask_b32_e64 v36, 0x7ff00000, v54, s2
	v_cndmask_b32_e64 v34, 0x7ff00000, v34, s0
	v_mov_b32_e32 v55, v2
	s_delay_alu instid0(VALU_DEP_3) | instskip(NEXT) | instid1(VALU_DEP_3)
	v_cndmask_b32_e64 v54, 0, v36, s3
	v_cndmask_b32_e64 v34, 0, v34, s1
	v_div_fmas_f64 v[49:50], v[59:60], v[63:64], v[67:68]
	s_and_b32 vcc_lo, s1, s0
	v_cmp_ngt_f64_e64 s0, 0xc090cc00, v[51:52]
	v_cndmask_b32_e32 v33, 0, v33, vcc_lo
	v_cmp_nlt_f64_e32 vcc_lo, 0x40900000, v[51:52]
	s_and_b32 s1, s3, s2
	s_delay_alu instid0(SALU_CYCLE_1) | instskip(NEXT) | instid1(VALU_DEP_1)
	v_cndmask_b32_e64 v53, 0, v53, s1
	v_add_f64 v[33:34], v[33:34], v[53:54]
	v_cndmask_b32_e32 v36, 0x7ff00000, v48, vcc_lo
	v_div_fixup_f64 v[48:49], v[49:50], v[0:1], 1.0
	s_and_b32 vcc_lo, s0, vcc_lo
	v_cndmask_b32_e32 v50, 0, v47, vcc_lo
	s_delay_alu instid0(VALU_DEP_3) | instskip(NEXT) | instid1(VALU_DEP_1)
	v_cndmask_b32_e64 v51, 0, v36, s0
	v_add_f64 v[33:34], v[50:51], v[33:34]
	s_delay_alu instid0(VALU_DEP_4) | instskip(NEXT) | instid1(VALU_DEP_2)
	v_mul_f64 v[47:48], v[7:8], v[48:49]
	v_max_f64 v[33:34], 0x38100000, v[33:34]
	s_delay_alu instid0(VALU_DEP_2) | instskip(SKIP_1) | instid1(VALU_DEP_3)
	v_mul_f64 v[49:50], v[57:58], v[47:48]
	v_fma_f64 v[47:48], v[57:58], v[47:48], 1.0
	v_frexp_mant_f64_e32 v[51:52], v[33:34]
	v_frexp_exp_i32_f64_e32 v36, v[33:34]
	s_delay_alu instid0(VALU_DEP_4) | instskip(NEXT) | instid1(VALU_DEP_3)
	v_max_f64 v[53:54], 0x38100000, v[49:50]
	v_cmp_gt_f64_e32 vcc_lo, s[58:59], v[51:52]
	s_delay_alu instid0(VALU_DEP_2) | instskip(SKIP_2) | instid1(VALU_DEP_2)
	v_frexp_mant_f64_e32 v[59:60], v[53:54]
	v_cndmask_b32_e64 v56, 0x3ff00000, 2.0, vcc_lo
	v_subrev_co_ci_u32_e32 v36, vcc_lo, 0, v36, vcc_lo
	v_mul_f64 v[51:52], v[51:52], v[55:56]
	s_delay_alu instid0(VALU_DEP_4) | instskip(NEXT) | instid1(VALU_DEP_2)
	v_cmp_gt_f64_e64 s0, s[58:59], v[59:60]
	v_add_f64 v[61:62], v[51:52], 1.0
	s_delay_alu instid0(VALU_DEP_2) | instskip(NEXT) | instid1(VALU_DEP_1)
	v_cndmask_b32_e64 v56, 0x3ff00000, 2.0, s0
	v_mul_f64 v[55:56], v[59:60], v[55:56]
	s_delay_alu instid0(VALU_DEP_3) | instskip(NEXT) | instid1(VALU_DEP_1)
	v_rcp_f64_e32 v[59:60], v[61:62]
	v_add_f64 v[63:64], v[55:56], 1.0
	v_add_f64 v[73:74], v[55:56], -1.0
	s_waitcnt_depctr 0xfff
	v_fma_f64 v[65:66], -v[61:62], v[59:60], 1.0
	v_rcp_f64_e32 v[67:68], v[63:64]
	s_delay_alu instid0(VALU_DEP_1) | instskip(SKIP_3) | instid1(VALU_DEP_2)
	v_fma_f64 v[59:60], v[65:66], v[59:60], v[59:60]
	s_waitcnt_depctr 0xfff
	v_fma_f64 v[65:66], -v[63:64], v[67:68], 1.0
	v_fma_f64 v[69:70], -v[61:62], v[59:60], 1.0
	v_fma_f64 v[65:66], v[65:66], v[67:68], v[67:68]
	v_add_f64 v[67:68], v[51:52], -1.0
	s_delay_alu instid0(VALU_DEP_3) | instskip(NEXT) | instid1(VALU_DEP_3)
	v_fma_f64 v[59:60], v[69:70], v[59:60], v[59:60]
	v_fma_f64 v[69:70], -v[63:64], v[65:66], 1.0
	s_delay_alu instid0(VALU_DEP_2) | instskip(NEXT) | instid1(VALU_DEP_2)
	v_mul_f64 v[71:72], v[67:68], v[59:60]
	v_fma_f64 v[65:66], v[69:70], v[65:66], v[65:66]
	v_add_f64 v[69:70], v[61:62], -1.0
	s_delay_alu instid0(VALU_DEP_3) | instskip(NEXT) | instid1(VALU_DEP_3)
	v_mul_f64 v[75:76], v[61:62], v[71:72]
	v_mul_f64 v[77:78], v[73:74], v[65:66]
	s_delay_alu instid0(VALU_DEP_3) | instskip(SKIP_1) | instid1(VALU_DEP_4)
	v_add_f64 v[51:52], v[51:52], -v[69:70]
	v_add_f64 v[69:70], v[63:64], -1.0
	v_fma_f64 v[61:62], v[71:72], v[61:62], -v[75:76]
	s_delay_alu instid0(VALU_DEP_4) | instskip(NEXT) | instid1(VALU_DEP_3)
	v_mul_f64 v[79:80], v[63:64], v[77:78]
	v_add_f64 v[55:56], v[55:56], -v[69:70]
	s_delay_alu instid0(VALU_DEP_3) | instskip(NEXT) | instid1(VALU_DEP_3)
	v_fma_f64 v[51:52], v[71:72], v[51:52], v[61:62]
	v_fma_f64 v[61:62], v[77:78], v[63:64], -v[79:80]
	s_delay_alu instid0(VALU_DEP_2) | instskip(NEXT) | instid1(VALU_DEP_2)
	v_add_f64 v[63:64], v[75:76], v[51:52]
	v_fma_f64 v[55:56], v[77:78], v[55:56], v[61:62]
	s_delay_alu instid0(VALU_DEP_2) | instskip(SKIP_1) | instid1(VALU_DEP_3)
	v_add_f64 v[61:62], v[67:68], -v[63:64]
	v_add_f64 v[75:76], v[63:64], -v[75:76]
	v_add_f64 v[69:70], v[79:80], v[55:56]
	s_delay_alu instid0(VALU_DEP_3) | instskip(NEXT) | instid1(VALU_DEP_3)
	v_add_f64 v[67:68], v[67:68], -v[61:62]
	v_add_f64 v[51:52], v[75:76], -v[51:52]
	s_delay_alu instid0(VALU_DEP_3) | instskip(NEXT) | instid1(VALU_DEP_3)
	v_add_f64 v[81:82], v[73:74], -v[69:70]
	v_add_f64 v[63:64], v[67:68], -v[63:64]
	;; [unrolled: 1-line block ×3, first 2 shown]
	s_delay_alu instid0(VALU_DEP_3) | instskip(NEXT) | instid1(VALU_DEP_3)
	v_add_f64 v[73:74], v[73:74], -v[81:82]
	v_add_f64 v[51:52], v[51:52], v[63:64]
	s_delay_alu instid0(VALU_DEP_3) | instskip(NEXT) | instid1(VALU_DEP_3)
	v_add_f64 v[55:56], v[67:68], -v[55:56]
	v_add_f64 v[63:64], v[73:74], -v[69:70]
	s_delay_alu instid0(VALU_DEP_3) | instskip(NEXT) | instid1(VALU_DEP_2)
	v_add_f64 v[51:52], v[61:62], v[51:52]
	v_add_f64 v[55:56], v[55:56], v[63:64]
	s_delay_alu instid0(VALU_DEP_2) | instskip(NEXT) | instid1(VALU_DEP_2)
	v_mul_f64 v[51:52], v[59:60], v[51:52]
	v_add_f64 v[55:56], v[81:82], v[55:56]
	s_delay_alu instid0(VALU_DEP_2) | instskip(NEXT) | instid1(VALU_DEP_2)
	v_add_f64 v[59:60], v[71:72], v[51:52]
	v_mul_f64 v[55:56], v[65:66], v[55:56]
	s_delay_alu instid0(VALU_DEP_2) | instskip(NEXT) | instid1(VALU_DEP_2)
	v_mul_f64 v[61:62], v[59:60], v[59:60]
	v_add_f64 v[63:64], v[77:78], v[55:56]
	s_delay_alu instid0(VALU_DEP_2) | instskip(SKIP_1) | instid1(VALU_DEP_3)
	v_fma_f64 v[65:66], v[61:62], s[42:43], s[36:37]
	v_mul_f64 v[73:74], v[59:60], v[61:62]
	v_mul_f64 v[67:68], v[63:64], v[63:64]
	s_delay_alu instid0(VALU_DEP_3) | instskip(NEXT) | instid1(VALU_DEP_2)
	v_fma_f64 v[65:66], v[61:62], v[65:66], s[48:49]
	v_fma_f64 v[69:70], v[67:68], s[42:43], s[36:37]
	s_delay_alu instid0(VALU_DEP_2) | instskip(NEXT) | instid1(VALU_DEP_2)
	v_fma_f64 v[65:66], v[61:62], v[65:66], s[52:53]
	v_fma_f64 v[69:70], v[67:68], v[69:70], s[48:49]
	s_delay_alu instid0(VALU_DEP_2) | instskip(NEXT) | instid1(VALU_DEP_2)
	;; [unrolled: 3-line block ×4, first 2 shown]
	v_fma_f64 v[61:62], v[61:62], v[65:66], s[40:41]
	v_fma_f64 v[65:66], v[67:68], v[69:70], s[44:45]
	v_ldexp_f64 v[69:70], v[59:60], 1
	v_add_f64 v[59:60], v[59:60], -v[71:72]
	v_ldexp_f64 v[71:72], v[63:64], 1
	v_mul_f64 v[61:62], v[73:74], v[61:62]
	v_mul_f64 v[73:74], v[63:64], v[67:68]
	v_add_f64 v[63:64], v[63:64], -v[77:78]
	v_fma_f64 v[65:66], v[67:68], v[65:66], s[40:41]
	v_add_f64 v[51:52], v[51:52], -v[59:60]
	v_add_f64 v[67:68], v[69:70], v[61:62]
	s_delay_alu instid0(VALU_DEP_4) | instskip(NEXT) | instid1(VALU_DEP_4)
	v_add_f64 v[55:56], v[55:56], -v[63:64]
	v_mul_f64 v[65:66], v[73:74], v[65:66]
	s_delay_alu instid0(VALU_DEP_4) | instskip(NEXT) | instid1(VALU_DEP_4)
	v_ldexp_f64 v[51:52], v[51:52], 1
	v_add_f64 v[59:60], v[67:68], -v[69:70]
	s_delay_alu instid0(VALU_DEP_4) | instskip(NEXT) | instid1(VALU_DEP_4)
	v_ldexp_f64 v[55:56], v[55:56], 1
	v_add_f64 v[69:70], v[71:72], v[65:66]
	s_delay_alu instid0(VALU_DEP_3) | instskip(NEXT) | instid1(VALU_DEP_2)
	v_add_f64 v[59:60], v[61:62], -v[59:60]
	v_add_f64 v[61:62], v[69:70], -v[71:72]
	v_frexp_exp_i32_f64_e32 v71, v[53:54]
	s_delay_alu instid0(VALU_DEP_3) | instskip(NEXT) | instid1(VALU_DEP_3)
	v_add_f64 v[51:52], v[51:52], v[59:60]
	v_add_f64 v[59:60], v[65:66], -v[61:62]
	s_delay_alu instid0(VALU_DEP_2) | instskip(NEXT) | instid1(VALU_DEP_2)
	v_add_f64 v[61:62], v[67:68], v[51:52]
	v_add_f64 v[55:56], v[55:56], v[59:60]
	v_cvt_f64_i32_e32 v[59:60], v36
	v_subrev_co_ci_u32_e64 v36, vcc_lo, 0, v71, s0
	v_cmp_eq_f64_e32 vcc_lo, 0x7ff00000, v[33:34]
	s_delay_alu instid0(VALU_DEP_2) | instskip(SKIP_4) | instid1(VALU_DEP_4)
	v_cvt_f64_i32_e32 v[73:74], v36
	v_add_f64 v[63:64], v[61:62], -v[67:68]
	v_mul_f64 v[65:66], v[61:62], s[30:31]
	v_add_f64 v[67:68], v[69:70], v[55:56]
	v_mul_f64 v[71:72], v[59:60], s[34:35]
	v_add_f64 v[51:52], v[51:52], -v[63:64]
	s_delay_alu instid0(VALU_DEP_4) | instskip(NEXT) | instid1(VALU_DEP_4)
	v_fma_f64 v[63:64], v[61:62], s[30:31], -v[65:66]
	v_add_f64 v[69:70], v[67:68], -v[69:70]
	v_mul_f64 v[75:76], v[67:68], s[30:31]
	v_fma_f64 v[77:78], v[59:60], s[34:35], -v[71:72]
	s_delay_alu instid0(VALU_DEP_4)
	v_fma_f64 v[51:52], v[51:52], s[30:31], v[63:64]
	v_mul_f64 v[63:64], v[73:74], s[34:35]
	v_add_f64 v[55:56], v[55:56], -v[69:70]
	v_fma_f64 v[69:70], v[67:68], s[30:31], -v[75:76]
	v_fma_f64 v[59:60], v[59:60], s[46:47], v[77:78]
	v_fma_f64 v[51:52], v[61:62], s[54:55], v[51:52]
	v_fma_f64 v[61:62], v[73:74], s[34:35], -v[63:64]
	s_delay_alu instid0(VALU_DEP_4) | instskip(NEXT) | instid1(VALU_DEP_4)
	v_fma_f64 v[55:56], v[55:56], s[30:31], v[69:70]
	v_add_f64 v[69:70], v[71:72], v[59:60]
	s_delay_alu instid0(VALU_DEP_4) | instskip(NEXT) | instid1(VALU_DEP_4)
	v_add_f64 v[77:78], v[65:66], v[51:52]
	v_fma_f64 v[61:62], v[73:74], s[46:47], v[61:62]
	s_delay_alu instid0(VALU_DEP_4) | instskip(NEXT) | instid1(VALU_DEP_4)
	v_fma_f64 v[55:56], v[67:68], s[54:55], v[55:56]
	v_add_f64 v[71:72], v[69:70], -v[71:72]
	s_delay_alu instid0(VALU_DEP_4) | instskip(NEXT) | instid1(VALU_DEP_4)
	v_add_f64 v[67:68], v[69:70], v[77:78]
	v_add_f64 v[73:74], v[63:64], v[61:62]
	v_add_f64 v[65:66], v[77:78], -v[65:66]
	v_add_f64 v[79:80], v[75:76], v[55:56]
	v_add_f64 v[59:60], v[59:60], -v[71:72]
	v_add_f64 v[81:82], v[67:68], -v[69:70]
	;; [unrolled: 1-line block ×4, first 2 shown]
	v_add_f64 v[83:84], v[73:74], v[79:80]
	v_add_f64 v[71:72], v[79:80], -v[75:76]
	v_add_f64 v[85:86], v[67:68], -v[81:82]
	;; [unrolled: 1-line block ×3, first 2 shown]
	v_add_f64 v[77:78], v[59:60], v[51:52]
	v_add_f64 v[61:62], v[61:62], -v[63:64]
	v_add_f64 v[87:88], v[83:84], -v[73:74]
	v_add_f64 v[55:56], v[55:56], -v[71:72]
	v_add_f64 v[69:70], v[69:70], -v[85:86]
	v_add_f64 v[71:72], v[77:78], -v[59:60]
	s_delay_alu instid0(VALU_DEP_4) | instskip(SKIP_1) | instid1(VALU_DEP_4)
	v_add_f64 v[75:76], v[83:84], -v[87:88]
	v_add_f64 v[63:64], v[79:80], -v[87:88]
	v_add_f64 v[65:66], v[65:66], v[69:70]
	s_delay_alu instid0(VALU_DEP_4) | instskip(NEXT) | instid1(VALU_DEP_4)
	v_add_f64 v[51:52], v[51:52], -v[71:72]
	v_add_f64 v[69:70], v[73:74], -v[75:76]
	v_add_f64 v[73:74], v[61:62], v[55:56]
	s_delay_alu instid0(VALU_DEP_4) | instskip(NEXT) | instid1(VALU_DEP_3)
	v_add_f64 v[65:66], v[77:78], v[65:66]
	v_add_f64 v[63:64], v[63:64], v[69:70]
	v_add_f64 v[69:70], v[77:78], -v[71:72]
	s_delay_alu instid0(VALU_DEP_4) | instskip(NEXT) | instid1(VALU_DEP_4)
	v_add_f64 v[77:78], v[73:74], -v[61:62]
	v_add_f64 v[75:76], v[67:68], v[65:66]
	s_delay_alu instid0(VALU_DEP_4) | instskip(NEXT) | instid1(VALU_DEP_4)
	v_add_f64 v[63:64], v[73:74], v[63:64]
	v_add_f64 v[59:60], v[59:60], -v[69:70]
	s_delay_alu instid0(VALU_DEP_4)
	v_add_f64 v[69:70], v[73:74], -v[77:78]
	v_add_f64 v[55:56], v[55:56], -v[77:78]
	;; [unrolled: 1-line block ×3, first 2 shown]
	v_add_f64 v[71:72], v[83:84], v[63:64]
	v_add_f64 v[51:52], v[51:52], v[59:60]
	v_add_f64 v[61:62], v[61:62], -v[69:70]
	s_delay_alu instid0(VALU_DEP_4) | instskip(NEXT) | instid1(VALU_DEP_4)
	v_add_f64 v[59:60], v[65:66], -v[67:68]
	v_add_f64 v[65:66], v[71:72], -v[83:84]
	s_delay_alu instid0(VALU_DEP_3) | instskip(NEXT) | instid1(VALU_DEP_3)
	v_add_f64 v[55:56], v[55:56], v[61:62]
	v_add_f64 v[51:52], v[51:52], v[59:60]
	s_delay_alu instid0(VALU_DEP_3) | instskip(NEXT) | instid1(VALU_DEP_2)
	v_add_f64 v[59:60], v[63:64], -v[65:66]
	v_add_f64 v[51:52], v[75:76], v[51:52]
	s_delay_alu instid0(VALU_DEP_2) | instskip(NEXT) | instid1(VALU_DEP_2)
	v_add_f64 v[55:56], v[55:56], v[59:60]
	v_dual_cndmask_b32 v34, v52, v34 :: v_dual_cndmask_b32 v33, v51, v33
	v_cmp_eq_f64_e32 vcc_lo, 0x7ff00000, v[53:54]
	s_delay_alu instid0(VALU_DEP_3) | instskip(NEXT) | instid1(VALU_DEP_3)
	v_add_f64 v[51:52], v[71:72], v[55:56]
	v_fma_f64 v[55:56], v[33:34], s[68:69], s[62:63]
	s_delay_alu instid0(VALU_DEP_2) | instskip(SKIP_2) | instid1(VALU_DEP_3)
	v_dual_cndmask_b32 v52, v52, v54 :: v_dual_cndmask_b32 v51, v51, v53
	v_fma_f64 v[53:54], v[33:34], s[70:71], 0x3fe80000
	v_div_scale_f64 v[67:68], vcc_lo, 1.0, v[47:48], 1.0
	v_add_f64 v[51:52], v[51:52], -v[55:56]
	v_div_scale_f64 v[55:56], null, v[47:48], v[47:48], 1.0
	s_delay_alu instid0(VALU_DEP_2) | instskip(NEXT) | instid1(VALU_DEP_2)
	v_fma_f64 v[53:54], v[51:52], s[72:73], v[53:54]
	v_rcp_f64_e32 v[59:60], v[55:56]
	s_delay_alu instid0(VALU_DEP_1) | instskip(SKIP_3) | instid1(VALU_DEP_1)
	v_div_scale_f64 v[57:58], null, v[53:54], v[53:54], 1.0
	s_waitcnt_depctr 0xfff
	v_fma_f64 v[63:64], -v[55:56], v[59:60], 1.0
	v_rcp_f64_e32 v[61:62], v[57:58]
	v_fma_f64 v[59:60], v[59:60], v[63:64], v[59:60]
	s_waitcnt_depctr 0xfff
	v_fma_f64 v[65:66], -v[57:58], v[61:62], 1.0
	v_fma_f64 v[63:64], -v[55:56], v[59:60], 1.0
	s_delay_alu instid0(VALU_DEP_2) | instskip(NEXT) | instid1(VALU_DEP_2)
	v_fma_f64 v[61:62], v[61:62], v[65:66], v[61:62]
	v_fma_f64 v[59:60], v[59:60], v[63:64], v[59:60]
	v_div_scale_f64 v[63:64], s0, 1.0, v[53:54], 1.0
	s_delay_alu instid0(VALU_DEP_3) | instskip(NEXT) | instid1(VALU_DEP_1)
	v_fma_f64 v[65:66], -v[57:58], v[61:62], 1.0
	v_fma_f64 v[61:62], v[61:62], v[65:66], v[61:62]
	s_delay_alu instid0(VALU_DEP_4) | instskip(NEXT) | instid1(VALU_DEP_2)
	v_mul_f64 v[65:66], v[67:68], v[59:60]
	v_mul_f64 v[69:70], v[63:64], v[61:62]
	s_delay_alu instid0(VALU_DEP_2) | instskip(NEXT) | instid1(VALU_DEP_2)
	v_fma_f64 v[55:56], -v[55:56], v[65:66], v[67:68]
	v_fma_f64 v[57:58], -v[57:58], v[69:70], v[63:64]
	s_delay_alu instid0(VALU_DEP_2) | instskip(SKIP_1) | instid1(VALU_DEP_2)
	v_div_fmas_f64 v[55:56], v[55:56], v[59:60], v[65:66]
	s_mov_b32 vcc_lo, s0
	v_div_fmas_f64 v[57:58], v[57:58], v[61:62], v[69:70]
	s_delay_alu instid0(VALU_DEP_2) | instskip(NEXT) | instid1(VALU_DEP_2)
	v_div_fixup_f64 v[47:48], v[55:56], v[47:48], 1.0
	v_div_fixup_f64 v[53:54], v[57:58], v[53:54], 1.0
	s_delay_alu instid0(VALU_DEP_1) | instskip(NEXT) | instid1(VALU_DEP_1)
	v_mul_f64 v[51:52], v[51:52], v[53:54]
	v_fma_f64 v[51:52], v[51:52], v[51:52], 1.0
	s_delay_alu instid0(VALU_DEP_1) | instskip(SKIP_1) | instid1(VALU_DEP_2)
	v_div_scale_f64 v[53:54], null, v[51:52], v[51:52], 1.0
	v_div_scale_f64 v[61:62], vcc_lo, 1.0, v[51:52], 1.0
	v_rcp_f64_e32 v[57:58], v[53:54]
	s_waitcnt_depctr 0xfff
	v_fma_f64 v[59:60], -v[53:54], v[57:58], 1.0
	s_delay_alu instid0(VALU_DEP_1) | instskip(NEXT) | instid1(VALU_DEP_1)
	v_fma_f64 v[57:58], v[57:58], v[59:60], v[57:58]
	v_fma_f64 v[59:60], -v[53:54], v[57:58], 1.0
	s_delay_alu instid0(VALU_DEP_1) | instskip(NEXT) | instid1(VALU_DEP_1)
	v_fma_f64 v[57:58], v[57:58], v[59:60], v[57:58]
	v_mul_f64 v[59:60], v[61:62], v[57:58]
	s_delay_alu instid0(VALU_DEP_1) | instskip(NEXT) | instid1(VALU_DEP_1)
	v_fma_f64 v[53:54], -v[53:54], v[59:60], v[61:62]
	v_div_fmas_f64 v[53:54], v[53:54], v[57:58], v[59:60]
	s_delay_alu instid0(VALU_DEP_1) | instskip(NEXT) | instid1(VALU_DEP_1)
	v_div_fixup_f64 v[51:52], v[53:54], v[51:52], 1.0
	v_mul_f64 v[33:34], v[33:34], v[51:52]
	s_delay_alu instid0(VALU_DEP_1) | instskip(SKIP_2) | instid1(VALU_DEP_3)
	v_mul_f64 v[51:52], v[33:34], s[38:39]
	v_cmp_nlt_f64_e32 vcc_lo, 0x40900000, v[33:34]
	v_cmp_ngt_f64_e64 s0, 0xc090cc00, v[33:34]
	v_rndne_f64_e32 v[51:52], v[51:52]
	s_delay_alu instid0(VALU_DEP_1) | instskip(SKIP_2) | instid1(VALU_DEP_3)
	v_fma_f64 v[53:54], v[51:52], s[56:57], v[33:34]
	v_cvt_i32_f64_e32 v36, v[51:52]
	v_mul_f64 v[33:34], v[49:50], v[47:48]
	v_fma_f64 v[53:54], v[51:52], s[50:51], v[53:54]
	s_delay_alu instid0(VALU_DEP_1) | instskip(NEXT) | instid1(VALU_DEP_1)
	v_mul_f64 v[57:58], v[53:54], s[64:65]
	v_fma_f64 v[53:54], v[53:54], s[66:67], v[57:58]
	s_delay_alu instid0(VALU_DEP_1) | instskip(NEXT) | instid1(VALU_DEP_1)
	v_fma_f64 v[57:58], v[53:54], s[18:19], s[14:15]
	v_fma_f64 v[57:58], v[53:54], v[57:58], s[20:21]
	s_delay_alu instid0(VALU_DEP_1) | instskip(NEXT) | instid1(VALU_DEP_1)
	v_fma_f64 v[57:58], v[53:54], v[57:58], s[22:23]
	;; [unrolled: 3-line block ×5, first 2 shown]
	v_fma_f64 v[57:58], v[53:54], v[57:58], 1.0
	s_delay_alu instid0(VALU_DEP_1) | instskip(NEXT) | instid1(VALU_DEP_1)
	v_fma_f64 v[51:52], v[53:54], v[57:58], 1.0
	v_ldexp_f64 v[51:52], v[51:52], v36
	s_delay_alu instid0(VALU_DEP_1) | instskip(SKIP_1) | instid1(VALU_DEP_2)
	v_cndmask_b32_e32 v36, 0x7ff00000, v52, vcc_lo
	s_and_b32 vcc_lo, s0, vcc_lo
	v_cndmask_b32_e32 v47, 0, v51, vcc_lo
	s_delay_alu instid0(VALU_DEP_2) | instskip(SKIP_2) | instid1(SALU_CYCLE_1)
	v_cndmask_b32_e64 v48, 0, v36, s0
	s_mov_b32 s0, 0x79dc1a73
	s_mov_b32 s1, 0xbf6e3a91
	v_mul_f64 v[49:50], v[9:10], s[0:1]
	s_delay_alu instid0(VALU_DEP_2) | instskip(SKIP_2) | instid1(SALU_CYCLE_1)
	v_mul_f64 v[33:34], v[33:34], v[47:48]
	s_mov_b32 s0, 0xcb978e43
	s_mov_b32 s1, 0xbf37c9bb
	v_mul_f64 v[51:52], v[9:10], s[0:1]
	s_mov_b32 s0, 0x19ce075f
	s_mov_b32 s1, 0x3fcbda51
	s_delay_alu instid0(VALU_DEP_3) | instskip(NEXT) | instid1(VALU_DEP_3)
	v_mul_f64 v[55:56], v[49:50], s[76:77]
	v_mul_f64 v[53:54], v[0:1], v[33:34]
	v_lshl_add_u32 v1, s33, 1, v35
	s_delay_alu instid0(VALU_DEP_4) | instskip(SKIP_1) | instid1(VALU_DEP_3)
	v_mul_f64 v[57:58], v[51:52], s[76:77]
	v_cmp_nlt_f64_e64 s2, 0x40900000, v[51:52]
	v_lshlrev_b64 v[35:36], 3, v[1:2]
	v_cmp_ngt_f64_e64 s3, 0xc090cc00, v[51:52]
	s_delay_alu instid0(VALU_DEP_2) | instskip(NEXT) | instid1(VALU_DEP_3)
	v_add_co_u32 v47, vcc_lo, s8, v35
	v_add_co_ci_u32_e32 v48, vcc_lo, s9, v36, vcc_lo
	v_add_co_u32 v39, vcc_lo, s12, v39
	v_add_co_ci_u32_e32 v40, vcc_lo, s13, v40, vcc_lo
	global_load_b64 v[39:40], v[39:40], off
	global_store_b64 v[41:42], v[53:54], off
	global_load_b64 v[41:42], v[47:48], off
	v_rndne_f64_e32 v[53:54], v[55:56]
	v_mul_f64 v[55:56], 0xc0b9aa00, v[19:20]
	v_rndne_f64_e32 v[57:58], v[57:58]
	s_delay_alu instid0(VALU_DEP_3) | instskip(NEXT) | instid1(VALU_DEP_3)
	v_fma_f64 v[59:60], v[53:54], s[78:79], v[49:50]
	v_mul_f64 v[61:62], v[55:56], s[76:77]
	s_delay_alu instid0(VALU_DEP_3) | instskip(SKIP_1) | instid1(VALU_DEP_4)
	v_fma_f64 v[63:64], v[57:58], s[78:79], v[51:52]
	v_cvt_i32_f64_e32 v0, v[53:54]
	v_fma_f64 v[59:60], v[53:54], s[74:75], v[59:60]
	s_delay_alu instid0(VALU_DEP_4) | instskip(NEXT) | instid1(VALU_DEP_4)
	v_rndne_f64_e32 v[61:62], v[61:62]
	v_fma_f64 v[63:64], v[57:58], s[74:75], v[63:64]
	s_delay_alu instid0(VALU_DEP_3) | instskip(NEXT) | instid1(VALU_DEP_3)
	v_fma_f64 v[65:66], v[59:60], s[18:19], s[14:15]
	v_fma_f64 v[67:68], v[61:62], s[78:79], v[55:56]
	s_delay_alu instid0(VALU_DEP_3) | instskip(NEXT) | instid1(VALU_DEP_3)
	v_fma_f64 v[69:70], v[63:64], s[18:19], s[14:15]
	;; [unrolled: 3-line block ×9, first 2 shown]
	v_fma_f64 v[69:70], v[63:64], v[69:70], s[28:29]
	s_waitcnt vmcnt(0)
	v_div_scale_f64 v[73:74], null, v[41:42], v[41:42], 1.0
	s_delay_alu instid0(VALU_DEP_4) | instskip(NEXT) | instid1(VALU_DEP_4)
	v_fma_f64 v[65:66], v[59:60], v[65:66], s[4:5]
	v_fma_f64 v[71:72], v[67:68], v[71:72], s[26:27]
	s_delay_alu instid0(VALU_DEP_4) | instskip(NEXT) | instid1(VALU_DEP_4)
	v_fma_f64 v[69:70], v[63:64], v[69:70], s[4:5]
	v_rcp_f64_e32 v[75:76], v[73:74]
	s_delay_alu instid0(VALU_DEP_3) | instskip(NEXT) | instid1(VALU_DEP_3)
	v_fma_f64 v[65:66], v[59:60], v[65:66], s[6:7]
	v_fma_f64 v[71:72], v[67:68], v[71:72], s[28:29]
	s_delay_alu instid0(VALU_DEP_3)
	v_fma_f64 v[69:70], v[63:64], v[69:70], s[6:7]
	s_waitcnt_depctr 0xfff
	v_fma_f64 v[77:78], -v[73:74], v[75:76], 1.0
	v_fma_f64 v[65:66], v[59:60], v[65:66], s[16:17]
	v_fma_f64 v[71:72], v[67:68], v[71:72], s[4:5]
	;; [unrolled: 1-line block ×3, first 2 shown]
	s_delay_alu instid0(VALU_DEP_4) | instskip(NEXT) | instid1(VALU_DEP_4)
	v_fma_f64 v[75:76], v[75:76], v[77:78], v[75:76]
	v_fma_f64 v[65:66], v[59:60], v[65:66], 1.0
	s_delay_alu instid0(VALU_DEP_4) | instskip(NEXT) | instid1(VALU_DEP_4)
	v_fma_f64 v[71:72], v[67:68], v[71:72], s[6:7]
	v_fma_f64 v[69:70], v[63:64], v[69:70], 1.0
	s_delay_alu instid0(VALU_DEP_4) | instskip(NEXT) | instid1(VALU_DEP_4)
	v_fma_f64 v[77:78], -v[73:74], v[75:76], 1.0
	v_fma_f64 v[53:54], v[59:60], v[65:66], 1.0
	s_delay_alu instid0(VALU_DEP_4)
	v_fma_f64 v[59:60], v[67:68], v[71:72], s[16:17]
	v_cvt_i32_f64_e32 v71, v[57:58]
	v_fma_f64 v[57:58], v[63:64], v[69:70], 1.0
	v_div_scale_f64 v[63:64], vcc_lo, 1.0, v[41:42], 1.0
	v_fma_f64 v[65:66], v[75:76], v[77:78], v[75:76]
	v_ldexp_f64 v[53:54], v[53:54], v0
	v_fma_f64 v[59:60], v[67:68], v[59:60], 1.0
	v_cvt_i32_f64_e32 v0, v[61:62]
	v_ldexp_f64 v[57:58], v[57:58], v71
	v_mul_f64 v[69:70], v[63:64], v[65:66]
	v_mul_f64 v[53:54], v[53:54], s[0:1]
	s_mov_b32 s0, 0xb98c7e28
	s_mov_b32 s1, 0x3fe9096b
	v_fma_f64 v[59:60], v[67:68], v[59:60], 1.0
	s_delay_alu instid0(VALU_DEP_4)
	v_mul_f64 v[57:58], v[57:58], s[0:1]
	v_cmp_nlt_f64_e64 s0, 0x40900000, v[49:50]
	v_cmp_ngt_f64_e64 s1, 0xc090cc00, v[49:50]
	v_fma_f64 v[61:62], -v[73:74], v[69:70], v[63:64]
	v_ldexp_f64 v[49:50], v[59:60], v0
	v_cndmask_b32_e64 v0, 0x7ff00000, v58, s2
	v_cndmask_b32_e64 v54, 0x7ff00000, v54, s0
	v_mov_b32_e32 v59, v2
	s_delay_alu instid0(VALU_DEP_3) | instskip(NEXT) | instid1(VALU_DEP_3)
	v_cndmask_b32_e64 v58, 0, v0, s3
	v_cndmask_b32_e64 v54, 0, v54, s1
	v_div_fmas_f64 v[51:52], v[61:62], v[65:66], v[69:70]
	s_and_b32 vcc_lo, s1, s0
	v_cmp_ngt_f64_e64 s0, 0xc090cc00, v[55:56]
	v_cndmask_b32_e32 v53, 0, v53, vcc_lo
	v_cmp_nlt_f64_e32 vcc_lo, 0x40900000, v[55:56]
	s_and_b32 s1, s3, s2
	s_delay_alu instid0(SALU_CYCLE_1) | instskip(NEXT) | instid1(VALU_DEP_1)
	v_cndmask_b32_e64 v57, 0, v57, s1
	v_add_f64 v[53:54], v[53:54], v[57:58]
	v_cndmask_b32_e32 v0, 0x7ff00000, v50, vcc_lo
	v_div_fixup_f64 v[50:51], v[51:52], v[41:42], 1.0
	s_and_b32 vcc_lo, s0, vcc_lo
	v_cndmask_b32_e32 v55, 0, v49, vcc_lo
	s_delay_alu instid0(VALU_DEP_3) | instskip(NEXT) | instid1(VALU_DEP_1)
	v_cndmask_b32_e64 v56, 0, v0, s0
	v_add_f64 v[52:53], v[55:56], v[53:54]
	s_delay_alu instid0(VALU_DEP_4) | instskip(NEXT) | instid1(VALU_DEP_2)
	v_mul_f64 v[49:50], v[7:8], v[50:51]
	v_max_f64 v[51:52], 0x38100000, v[52:53]
	s_delay_alu instid0(VALU_DEP_2) | instskip(SKIP_1) | instid1(VALU_DEP_3)
	v_mul_f64 v[53:54], v[39:40], v[49:50]
	v_fma_f64 v[39:40], v[39:40], v[49:50], 1.0
	v_frexp_mant_f64_e32 v[55:56], v[51:52]
	v_frexp_exp_i32_f64_e32 v0, v[51:52]
	s_delay_alu instid0(VALU_DEP_4) | instskip(NEXT) | instid1(VALU_DEP_3)
	v_max_f64 v[57:58], 0x38100000, v[53:54]
	v_cmp_gt_f64_e32 vcc_lo, s[58:59], v[55:56]
	s_delay_alu instid0(VALU_DEP_2) | instskip(SKIP_2) | instid1(VALU_DEP_2)
	v_frexp_mant_f64_e32 v[61:62], v[57:58]
	v_cndmask_b32_e64 v60, 0x3ff00000, 2.0, vcc_lo
	v_subrev_co_ci_u32_e32 v0, vcc_lo, 0, v0, vcc_lo
	v_mul_f64 v[55:56], v[55:56], v[59:60]
	s_delay_alu instid0(VALU_DEP_4) | instskip(NEXT) | instid1(VALU_DEP_2)
	v_cmp_gt_f64_e64 s0, s[58:59], v[61:62]
	v_add_f64 v[63:64], v[55:56], 1.0
	s_delay_alu instid0(VALU_DEP_2) | instskip(NEXT) | instid1(VALU_DEP_1)
	v_cndmask_b32_e64 v60, 0x3ff00000, 2.0, s0
	v_mul_f64 v[59:60], v[61:62], v[59:60]
	s_delay_alu instid0(VALU_DEP_3) | instskip(NEXT) | instid1(VALU_DEP_1)
	v_rcp_f64_e32 v[61:62], v[63:64]
	v_add_f64 v[65:66], v[59:60], 1.0
	v_add_f64 v[75:76], v[59:60], -1.0
	s_waitcnt_depctr 0xfff
	v_fma_f64 v[67:68], -v[63:64], v[61:62], 1.0
	v_rcp_f64_e32 v[69:70], v[65:66]
	s_delay_alu instid0(VALU_DEP_1) | instskip(SKIP_3) | instid1(VALU_DEP_2)
	v_fma_f64 v[61:62], v[67:68], v[61:62], v[61:62]
	s_waitcnt_depctr 0xfff
	v_fma_f64 v[67:68], -v[65:66], v[69:70], 1.0
	v_fma_f64 v[71:72], -v[63:64], v[61:62], 1.0
	v_fma_f64 v[67:68], v[67:68], v[69:70], v[69:70]
	v_add_f64 v[69:70], v[55:56], -1.0
	s_delay_alu instid0(VALU_DEP_3) | instskip(NEXT) | instid1(VALU_DEP_3)
	v_fma_f64 v[61:62], v[71:72], v[61:62], v[61:62]
	v_fma_f64 v[71:72], -v[65:66], v[67:68], 1.0
	s_delay_alu instid0(VALU_DEP_2) | instskip(NEXT) | instid1(VALU_DEP_2)
	v_mul_f64 v[73:74], v[69:70], v[61:62]
	v_fma_f64 v[67:68], v[71:72], v[67:68], v[67:68]
	v_add_f64 v[71:72], v[63:64], -1.0
	s_delay_alu instid0(VALU_DEP_3) | instskip(NEXT) | instid1(VALU_DEP_3)
	v_mul_f64 v[77:78], v[63:64], v[73:74]
	v_mul_f64 v[79:80], v[75:76], v[67:68]
	s_delay_alu instid0(VALU_DEP_3) | instskip(SKIP_1) | instid1(VALU_DEP_4)
	v_add_f64 v[55:56], v[55:56], -v[71:72]
	v_add_f64 v[71:72], v[65:66], -1.0
	v_fma_f64 v[63:64], v[73:74], v[63:64], -v[77:78]
	s_delay_alu instid0(VALU_DEP_4) | instskip(NEXT) | instid1(VALU_DEP_3)
	v_mul_f64 v[81:82], v[65:66], v[79:80]
	v_add_f64 v[59:60], v[59:60], -v[71:72]
	s_delay_alu instid0(VALU_DEP_3) | instskip(NEXT) | instid1(VALU_DEP_3)
	v_fma_f64 v[55:56], v[73:74], v[55:56], v[63:64]
	v_fma_f64 v[63:64], v[79:80], v[65:66], -v[81:82]
	s_delay_alu instid0(VALU_DEP_2) | instskip(NEXT) | instid1(VALU_DEP_2)
	v_add_f64 v[65:66], v[77:78], v[55:56]
	v_fma_f64 v[59:60], v[79:80], v[59:60], v[63:64]
	s_delay_alu instid0(VALU_DEP_2) | instskip(SKIP_1) | instid1(VALU_DEP_3)
	v_add_f64 v[63:64], v[69:70], -v[65:66]
	v_add_f64 v[77:78], v[65:66], -v[77:78]
	v_add_f64 v[71:72], v[81:82], v[59:60]
	s_delay_alu instid0(VALU_DEP_3) | instskip(NEXT) | instid1(VALU_DEP_3)
	v_add_f64 v[69:70], v[69:70], -v[63:64]
	v_add_f64 v[55:56], v[77:78], -v[55:56]
	s_delay_alu instid0(VALU_DEP_3) | instskip(NEXT) | instid1(VALU_DEP_3)
	v_add_f64 v[83:84], v[75:76], -v[71:72]
	v_add_f64 v[65:66], v[69:70], -v[65:66]
	;; [unrolled: 1-line block ×3, first 2 shown]
	s_delay_alu instid0(VALU_DEP_3) | instskip(NEXT) | instid1(VALU_DEP_3)
	v_add_f64 v[75:76], v[75:76], -v[83:84]
	v_add_f64 v[55:56], v[55:56], v[65:66]
	s_delay_alu instid0(VALU_DEP_3) | instskip(NEXT) | instid1(VALU_DEP_3)
	v_add_f64 v[59:60], v[69:70], -v[59:60]
	v_add_f64 v[65:66], v[75:76], -v[71:72]
	s_delay_alu instid0(VALU_DEP_3) | instskip(NEXT) | instid1(VALU_DEP_2)
	v_add_f64 v[55:56], v[63:64], v[55:56]
	v_add_f64 v[59:60], v[59:60], v[65:66]
	s_delay_alu instid0(VALU_DEP_2) | instskip(NEXT) | instid1(VALU_DEP_2)
	v_mul_f64 v[55:56], v[61:62], v[55:56]
	v_add_f64 v[59:60], v[83:84], v[59:60]
	s_delay_alu instid0(VALU_DEP_2) | instskip(NEXT) | instid1(VALU_DEP_2)
	v_add_f64 v[61:62], v[73:74], v[55:56]
	v_mul_f64 v[59:60], v[67:68], v[59:60]
	s_delay_alu instid0(VALU_DEP_2) | instskip(NEXT) | instid1(VALU_DEP_2)
	v_mul_f64 v[63:64], v[61:62], v[61:62]
	v_add_f64 v[65:66], v[79:80], v[59:60]
	s_delay_alu instid0(VALU_DEP_2) | instskip(SKIP_1) | instid1(VALU_DEP_3)
	v_fma_f64 v[67:68], v[63:64], s[42:43], s[36:37]
	v_mul_f64 v[75:76], v[61:62], v[63:64]
	v_mul_f64 v[69:70], v[65:66], v[65:66]
	s_delay_alu instid0(VALU_DEP_3) | instskip(NEXT) | instid1(VALU_DEP_2)
	v_fma_f64 v[67:68], v[63:64], v[67:68], s[48:49]
	v_fma_f64 v[71:72], v[69:70], s[42:43], s[36:37]
	s_delay_alu instid0(VALU_DEP_2) | instskip(NEXT) | instid1(VALU_DEP_2)
	v_fma_f64 v[67:68], v[63:64], v[67:68], s[52:53]
	v_fma_f64 v[71:72], v[69:70], v[71:72], s[48:49]
	s_delay_alu instid0(VALU_DEP_2) | instskip(NEXT) | instid1(VALU_DEP_2)
	;; [unrolled: 3-line block ×4, first 2 shown]
	v_fma_f64 v[63:64], v[63:64], v[67:68], s[40:41]
	v_fma_f64 v[67:68], v[69:70], v[71:72], s[44:45]
	v_ldexp_f64 v[71:72], v[61:62], 1
	v_add_f64 v[61:62], v[61:62], -v[73:74]
	v_ldexp_f64 v[73:74], v[65:66], 1
	v_mul_f64 v[63:64], v[75:76], v[63:64]
	v_mul_f64 v[75:76], v[65:66], v[69:70]
	v_add_f64 v[65:66], v[65:66], -v[79:80]
	v_fma_f64 v[67:68], v[69:70], v[67:68], s[40:41]
	v_add_f64 v[55:56], v[55:56], -v[61:62]
	v_add_f64 v[69:70], v[71:72], v[63:64]
	s_delay_alu instid0(VALU_DEP_4) | instskip(NEXT) | instid1(VALU_DEP_4)
	v_add_f64 v[59:60], v[59:60], -v[65:66]
	v_mul_f64 v[67:68], v[75:76], v[67:68]
	s_delay_alu instid0(VALU_DEP_4) | instskip(NEXT) | instid1(VALU_DEP_4)
	v_ldexp_f64 v[55:56], v[55:56], 1
	v_add_f64 v[61:62], v[69:70], -v[71:72]
	s_delay_alu instid0(VALU_DEP_4) | instskip(NEXT) | instid1(VALU_DEP_4)
	v_ldexp_f64 v[59:60], v[59:60], 1
	v_add_f64 v[71:72], v[73:74], v[67:68]
	s_delay_alu instid0(VALU_DEP_3) | instskip(NEXT) | instid1(VALU_DEP_2)
	v_add_f64 v[61:62], v[63:64], -v[61:62]
	v_add_f64 v[63:64], v[71:72], -v[73:74]
	v_frexp_exp_i32_f64_e32 v73, v[57:58]
	s_delay_alu instid0(VALU_DEP_3) | instskip(NEXT) | instid1(VALU_DEP_3)
	v_add_f64 v[55:56], v[55:56], v[61:62]
	v_add_f64 v[61:62], v[67:68], -v[63:64]
	s_delay_alu instid0(VALU_DEP_2) | instskip(NEXT) | instid1(VALU_DEP_2)
	v_add_f64 v[63:64], v[69:70], v[55:56]
	v_add_f64 v[59:60], v[59:60], v[61:62]
	v_cvt_f64_i32_e32 v[61:62], v0
	v_subrev_co_ci_u32_e64 v0, vcc_lo, 0, v73, s0
	v_cmp_eq_f64_e32 vcc_lo, 0x7ff00000, v[51:52]
	s_delay_alu instid0(VALU_DEP_2) | instskip(SKIP_4) | instid1(VALU_DEP_4)
	v_cvt_f64_i32_e32 v[75:76], v0
	v_add_f64 v[65:66], v[63:64], -v[69:70]
	v_mul_f64 v[67:68], v[63:64], s[30:31]
	v_add_f64 v[69:70], v[71:72], v[59:60]
	v_mul_f64 v[73:74], v[61:62], s[34:35]
	v_add_f64 v[55:56], v[55:56], -v[65:66]
	s_delay_alu instid0(VALU_DEP_4) | instskip(NEXT) | instid1(VALU_DEP_4)
	v_fma_f64 v[65:66], v[63:64], s[30:31], -v[67:68]
	v_add_f64 v[71:72], v[69:70], -v[71:72]
	v_mul_f64 v[77:78], v[69:70], s[30:31]
	v_fma_f64 v[79:80], v[61:62], s[34:35], -v[73:74]
	s_delay_alu instid0(VALU_DEP_4)
	v_fma_f64 v[55:56], v[55:56], s[30:31], v[65:66]
	v_mul_f64 v[65:66], v[75:76], s[34:35]
	v_add_f64 v[59:60], v[59:60], -v[71:72]
	v_fma_f64 v[71:72], v[69:70], s[30:31], -v[77:78]
	v_fma_f64 v[61:62], v[61:62], s[46:47], v[79:80]
	v_fma_f64 v[55:56], v[63:64], s[54:55], v[55:56]
	v_fma_f64 v[63:64], v[75:76], s[34:35], -v[65:66]
	s_delay_alu instid0(VALU_DEP_4) | instskip(NEXT) | instid1(VALU_DEP_4)
	v_fma_f64 v[59:60], v[59:60], s[30:31], v[71:72]
	v_add_f64 v[71:72], v[73:74], v[61:62]
	s_delay_alu instid0(VALU_DEP_4) | instskip(NEXT) | instid1(VALU_DEP_4)
	v_add_f64 v[79:80], v[67:68], v[55:56]
	v_fma_f64 v[63:64], v[75:76], s[46:47], v[63:64]
	s_delay_alu instid0(VALU_DEP_4) | instskip(NEXT) | instid1(VALU_DEP_4)
	v_fma_f64 v[59:60], v[69:70], s[54:55], v[59:60]
	v_add_f64 v[73:74], v[71:72], -v[73:74]
	s_delay_alu instid0(VALU_DEP_4) | instskip(NEXT) | instid1(VALU_DEP_4)
	v_add_f64 v[69:70], v[71:72], v[79:80]
	v_add_f64 v[75:76], v[65:66], v[63:64]
	v_add_f64 v[67:68], v[79:80], -v[67:68]
	v_add_f64 v[81:82], v[77:78], v[59:60]
	v_add_f64 v[61:62], v[61:62], -v[73:74]
	v_add_f64 v[83:84], v[69:70], -v[71:72]
	v_add_f64 v[65:66], v[75:76], -v[65:66]
	v_add_f64 v[55:56], v[55:56], -v[67:68]
	v_add_f64 v[85:86], v[75:76], v[81:82]
	v_add_f64 v[73:74], v[81:82], -v[77:78]
	v_add_f64 v[87:88], v[69:70], -v[83:84]
	;; [unrolled: 1-line block ×3, first 2 shown]
	v_add_f64 v[79:80], v[61:62], v[55:56]
	v_add_f64 v[63:64], v[63:64], -v[65:66]
	v_add_f64 v[89:90], v[85:86], -v[75:76]
	;; [unrolled: 1-line block ×5, first 2 shown]
	s_delay_alu instid0(VALU_DEP_4) | instskip(SKIP_1) | instid1(VALU_DEP_4)
	v_add_f64 v[77:78], v[85:86], -v[89:90]
	v_add_f64 v[65:66], v[81:82], -v[89:90]
	v_add_f64 v[67:68], v[67:68], v[71:72]
	s_delay_alu instid0(VALU_DEP_4) | instskip(NEXT) | instid1(VALU_DEP_4)
	v_add_f64 v[55:56], v[55:56], -v[73:74]
	v_add_f64 v[71:72], v[75:76], -v[77:78]
	v_add_f64 v[75:76], v[63:64], v[59:60]
	s_delay_alu instid0(VALU_DEP_4) | instskip(NEXT) | instid1(VALU_DEP_3)
	v_add_f64 v[67:68], v[79:80], v[67:68]
	v_add_f64 v[65:66], v[65:66], v[71:72]
	v_add_f64 v[71:72], v[79:80], -v[73:74]
	s_delay_alu instid0(VALU_DEP_4) | instskip(NEXT) | instid1(VALU_DEP_4)
	v_add_f64 v[79:80], v[75:76], -v[63:64]
	v_add_f64 v[77:78], v[69:70], v[67:68]
	s_delay_alu instid0(VALU_DEP_4) | instskip(NEXT) | instid1(VALU_DEP_4)
	v_add_f64 v[65:66], v[75:76], v[65:66]
	v_add_f64 v[61:62], v[61:62], -v[71:72]
	s_delay_alu instid0(VALU_DEP_4)
	v_add_f64 v[71:72], v[75:76], -v[79:80]
	v_add_f64 v[59:60], v[59:60], -v[79:80]
	;; [unrolled: 1-line block ×3, first 2 shown]
	v_add_f64 v[73:74], v[85:86], v[65:66]
	v_add_f64 v[55:56], v[55:56], v[61:62]
	v_add_f64 v[63:64], v[63:64], -v[71:72]
	s_delay_alu instid0(VALU_DEP_4) | instskip(NEXT) | instid1(VALU_DEP_4)
	v_add_f64 v[61:62], v[67:68], -v[69:70]
	v_add_f64 v[67:68], v[73:74], -v[85:86]
	s_delay_alu instid0(VALU_DEP_3) | instskip(NEXT) | instid1(VALU_DEP_3)
	v_add_f64 v[59:60], v[59:60], v[63:64]
	v_add_f64 v[55:56], v[55:56], v[61:62]
	s_delay_alu instid0(VALU_DEP_3) | instskip(NEXT) | instid1(VALU_DEP_2)
	v_add_f64 v[61:62], v[65:66], -v[67:68]
	v_add_f64 v[55:56], v[77:78], v[55:56]
	s_delay_alu instid0(VALU_DEP_2) | instskip(NEXT) | instid1(VALU_DEP_2)
	v_add_f64 v[59:60], v[59:60], v[61:62]
	v_dual_cndmask_b32 v52, v56, v52 :: v_dual_cndmask_b32 v51, v55, v51
	v_cmp_eq_f64_e32 vcc_lo, 0x7ff00000, v[57:58]
	s_delay_alu instid0(VALU_DEP_3) | instskip(NEXT) | instid1(VALU_DEP_3)
	v_add_f64 v[55:56], v[73:74], v[59:60]
	v_fma_f64 v[59:60], v[51:52], s[68:69], s[62:63]
	s_delay_alu instid0(VALU_DEP_2) | instskip(SKIP_2) | instid1(VALU_DEP_3)
	v_dual_cndmask_b32 v56, v56, v58 :: v_dual_cndmask_b32 v55, v55, v57
	v_fma_f64 v[57:58], v[51:52], s[70:71], 0x3fe80000
	v_div_scale_f64 v[69:70], vcc_lo, 1.0, v[39:40], 1.0
	v_add_f64 v[55:56], v[55:56], -v[59:60]
	s_delay_alu instid0(VALU_DEP_1) | instskip(SKIP_1) | instid1(VALU_DEP_2)
	v_fma_f64 v[49:50], v[55:56], s[72:73], v[57:58]
	v_div_scale_f64 v[57:58], null, v[39:40], v[39:40], 1.0
	v_div_scale_f64 v[59:60], null, v[49:50], v[49:50], 1.0
	s_delay_alu instid0(VALU_DEP_2) | instskip(NEXT) | instid1(VALU_DEP_1)
	v_rcp_f64_e32 v[61:62], v[57:58]
	v_rcp_f64_e32 v[63:64], v[59:60]
	s_waitcnt_depctr 0xfff
	v_fma_f64 v[65:66], -v[57:58], v[61:62], 1.0
	v_fma_f64 v[67:68], -v[59:60], v[63:64], 1.0
	s_delay_alu instid0(VALU_DEP_2) | instskip(NEXT) | instid1(VALU_DEP_2)
	v_fma_f64 v[61:62], v[61:62], v[65:66], v[61:62]
	v_fma_f64 v[63:64], v[63:64], v[67:68], v[63:64]
	s_delay_alu instid0(VALU_DEP_2) | instskip(NEXT) | instid1(VALU_DEP_2)
	v_fma_f64 v[65:66], -v[57:58], v[61:62], 1.0
	v_fma_f64 v[67:68], -v[59:60], v[63:64], 1.0
	s_delay_alu instid0(VALU_DEP_2) | instskip(SKIP_1) | instid1(VALU_DEP_3)
	v_fma_f64 v[61:62], v[61:62], v[65:66], v[61:62]
	v_div_scale_f64 v[65:66], s0, 1.0, v[49:50], 1.0
	v_fma_f64 v[63:64], v[63:64], v[67:68], v[63:64]
	s_delay_alu instid0(VALU_DEP_3) | instskip(NEXT) | instid1(VALU_DEP_2)
	v_mul_f64 v[67:68], v[69:70], v[61:62]
	v_mul_f64 v[71:72], v[65:66], v[63:64]
	s_delay_alu instid0(VALU_DEP_2) | instskip(NEXT) | instid1(VALU_DEP_2)
	v_fma_f64 v[57:58], -v[57:58], v[67:68], v[69:70]
	v_fma_f64 v[59:60], -v[59:60], v[71:72], v[65:66]
	s_delay_alu instid0(VALU_DEP_2) | instskip(SKIP_1) | instid1(VALU_DEP_2)
	v_div_fmas_f64 v[57:58], v[57:58], v[61:62], v[67:68]
	s_mov_b32 vcc_lo, s0
	v_div_fmas_f64 v[59:60], v[59:60], v[63:64], v[71:72]
	s_delay_alu instid0(VALU_DEP_2) | instskip(NEXT) | instid1(VALU_DEP_2)
	v_div_fixup_f64 v[39:40], v[57:58], v[39:40], 1.0
	v_div_fixup_f64 v[49:50], v[59:60], v[49:50], 1.0
	s_delay_alu instid0(VALU_DEP_2) | instskip(NEXT) | instid1(VALU_DEP_2)
	v_mul_f64 v[39:40], v[53:54], v[39:40]
	v_mul_f64 v[49:50], v[55:56], v[49:50]
	s_delay_alu instid0(VALU_DEP_1) | instskip(NEXT) | instid1(VALU_DEP_1)
	v_fma_f64 v[49:50], v[49:50], v[49:50], 1.0
	v_div_scale_f64 v[55:56], null, v[49:50], v[49:50], 1.0
	v_div_scale_f64 v[63:64], vcc_lo, 1.0, v[49:50], 1.0
	s_delay_alu instid0(VALU_DEP_2) | instskip(SKIP_2) | instid1(VALU_DEP_1)
	v_rcp_f64_e32 v[59:60], v[55:56]
	s_waitcnt_depctr 0xfff
	v_fma_f64 v[61:62], -v[55:56], v[59:60], 1.0
	v_fma_f64 v[59:60], v[59:60], v[61:62], v[59:60]
	s_delay_alu instid0(VALU_DEP_1) | instskip(NEXT) | instid1(VALU_DEP_1)
	v_fma_f64 v[61:62], -v[55:56], v[59:60], 1.0
	v_fma_f64 v[59:60], v[59:60], v[61:62], v[59:60]
	s_delay_alu instid0(VALU_DEP_1) | instskip(NEXT) | instid1(VALU_DEP_1)
	v_mul_f64 v[61:62], v[63:64], v[59:60]
	v_fma_f64 v[55:56], -v[55:56], v[61:62], v[63:64]
	s_delay_alu instid0(VALU_DEP_1) | instskip(SKIP_2) | instid1(VALU_DEP_3)
	v_div_fmas_f64 v[55:56], v[55:56], v[59:60], v[61:62]
	v_mad_u64_u32 v[61:62], null, 0xffffffdc, s33, v[1:2]
	v_mov_b32_e32 v62, v2
	v_div_fixup_f64 v[49:50], v[55:56], v[49:50], 1.0
	s_delay_alu instid0(VALU_DEP_1) | instskip(NEXT) | instid1(VALU_DEP_1)
	v_mul_f64 v[49:50], v[51:52], v[49:50]
	v_mul_f64 v[51:52], v[49:50], s[38:39]
	v_cmp_nlt_f64_e32 vcc_lo, 0x40900000, v[49:50]
	v_cmp_ngt_f64_e64 s0, 0xc090cc00, v[49:50]
	s_delay_alu instid0(VALU_DEP_3) | instskip(NEXT) | instid1(VALU_DEP_1)
	v_rndne_f64_e32 v[51:52], v[51:52]
	v_fma_f64 v[55:56], v[51:52], s[56:57], v[49:50]
	v_cvt_i32_f64_e32 v0, v[51:52]
	s_delay_alu instid0(VALU_DEP_2) | instskip(NEXT) | instid1(VALU_DEP_1)
	v_fma_f64 v[55:56], v[51:52], s[50:51], v[55:56]
	v_mul_f64 v[59:60], v[55:56], s[64:65]
	s_delay_alu instid0(VALU_DEP_1) | instskip(NEXT) | instid1(VALU_DEP_1)
	v_fma_f64 v[55:56], v[55:56], s[66:67], v[59:60]
	v_fma_f64 v[59:60], v[55:56], s[18:19], s[14:15]
	s_delay_alu instid0(VALU_DEP_1) | instskip(NEXT) | instid1(VALU_DEP_1)
	v_fma_f64 v[59:60], v[55:56], v[59:60], s[20:21]
	v_fma_f64 v[59:60], v[55:56], v[59:60], s[22:23]
	;; [unrolled: 3-line block ×5, first 2 shown]
	s_delay_alu instid0(VALU_DEP_1) | instskip(NEXT) | instid1(VALU_DEP_1)
	v_fma_f64 v[59:60], v[55:56], v[59:60], 1.0
	v_fma_f64 v[51:52], v[55:56], v[59:60], 1.0
	s_delay_alu instid0(VALU_DEP_1) | instskip(NEXT) | instid1(VALU_DEP_1)
	v_ldexp_f64 v[51:52], v[51:52], v0
	v_cndmask_b32_e32 v0, 0x7ff00000, v52, vcc_lo
	s_and_b32 vcc_lo, s0, vcc_lo
	s_delay_alu instid0(VALU_DEP_2) | instskip(NEXT) | instid1(VALU_DEP_2)
	v_cndmask_b32_e32 v49, 0, v51, vcc_lo
	v_cndmask_b32_e64 v50, 0, v0, s0
	s_mov_b32 s0, 0x1a41a41a
	s_mov_b32 s1, 0xbf8a41a4
	v_mad_u64_u32 v[0:1], null, s33, 43, v[61:62]
	s_delay_alu instid0(VALU_DEP_2)
	v_mul_f64 v[39:40], v[39:40], v[49:50]
	v_mul_f64 v[53:54], v[9:10], s[0:1]
	s_mov_b32 s0, 0xe80106cd
	s_mov_b32 s1, 0xbf406cd0
	v_mov_b32_e32 v1, v2
	v_mul_f64 v[55:56], v[9:10], s[0:1]
	v_lshlrev_b64 v[61:62], 3, v[61:62]
	s_mov_b32 s0, 0x47ae147b
	s_mov_b32 s1, 0x3fd47ae1
	v_mul_f64 v[49:50], v[41:42], v[39:40]
	v_mul_f64 v[57:58], v[53:54], s[76:77]
	v_lshlrev_b64 v[41:42], 3, v[0:1]
	v_mul_f64 v[59:60], v[55:56], s[76:77]
	v_cmp_nlt_f64_e64 s2, 0x40900000, v[55:56]
	v_cmp_ngt_f64_e64 s3, 0xc090cc00, v[55:56]
	s_delay_alu instid0(VALU_DEP_4)
	v_add_co_u32 v51, vcc_lo, s8, v41
	v_add_co_ci_u32_e32 v52, vcc_lo, s9, v42, vcc_lo
	v_add_co_u32 v61, vcc_lo, s12, v61
	v_add_co_ci_u32_e32 v62, vcc_lo, s13, v62, vcc_lo
	global_load_b64 v[61:62], v[61:62], off
	global_store_b64 v[47:48], v[49:50], off
	global_load_b64 v[49:50], v[51:52], off
	v_rndne_f64_e32 v[47:48], v[57:58]
	v_mul_f64 v[57:58], 0xc0b5d600, v[19:20]
	v_rndne_f64_e32 v[59:60], v[59:60]
	s_delay_alu instid0(VALU_DEP_3) | instskip(NEXT) | instid1(VALU_DEP_3)
	v_fma_f64 v[63:64], v[47:48], s[78:79], v[53:54]
	v_mul_f64 v[65:66], v[57:58], s[76:77]
	v_cvt_i32_f64_e32 v1, v[47:48]
	s_delay_alu instid0(VALU_DEP_4) | instskip(NEXT) | instid1(VALU_DEP_4)
	v_fma_f64 v[67:68], v[59:60], s[78:79], v[55:56]
	v_fma_f64 v[63:64], v[47:48], s[74:75], v[63:64]
	s_delay_alu instid0(VALU_DEP_4) | instskip(NEXT) | instid1(VALU_DEP_3)
	v_rndne_f64_e32 v[65:66], v[65:66]
	v_fma_f64 v[67:68], v[59:60], s[74:75], v[67:68]
	s_delay_alu instid0(VALU_DEP_3) | instskip(NEXT) | instid1(VALU_DEP_3)
	v_fma_f64 v[69:70], v[63:64], s[18:19], s[14:15]
	v_fma_f64 v[71:72], v[65:66], s[78:79], v[57:58]
	s_delay_alu instid0(VALU_DEP_3) | instskip(NEXT) | instid1(VALU_DEP_3)
	v_fma_f64 v[73:74], v[67:68], s[18:19], s[14:15]
	;; [unrolled: 3-line block ×9, first 2 shown]
	v_fma_f64 v[73:74], v[67:68], v[73:74], s[28:29]
	s_waitcnt vmcnt(0)
	v_div_scale_f64 v[77:78], null, v[49:50], v[49:50], 1.0
	s_delay_alu instid0(VALU_DEP_4) | instskip(NEXT) | instid1(VALU_DEP_4)
	v_fma_f64 v[69:70], v[63:64], v[69:70], s[4:5]
	v_fma_f64 v[75:76], v[71:72], v[75:76], s[26:27]
	s_delay_alu instid0(VALU_DEP_4) | instskip(NEXT) | instid1(VALU_DEP_4)
	v_fma_f64 v[73:74], v[67:68], v[73:74], s[4:5]
	v_rcp_f64_e32 v[79:80], v[77:78]
	s_delay_alu instid0(VALU_DEP_3) | instskip(NEXT) | instid1(VALU_DEP_3)
	v_fma_f64 v[69:70], v[63:64], v[69:70], s[6:7]
	v_fma_f64 v[75:76], v[71:72], v[75:76], s[28:29]
	s_delay_alu instid0(VALU_DEP_3)
	v_fma_f64 v[73:74], v[67:68], v[73:74], s[6:7]
	s_waitcnt_depctr 0xfff
	v_fma_f64 v[81:82], -v[77:78], v[79:80], 1.0
	v_fma_f64 v[69:70], v[63:64], v[69:70], s[16:17]
	v_fma_f64 v[75:76], v[71:72], v[75:76], s[4:5]
	;; [unrolled: 1-line block ×3, first 2 shown]
	s_delay_alu instid0(VALU_DEP_4) | instskip(NEXT) | instid1(VALU_DEP_4)
	v_fma_f64 v[79:80], v[79:80], v[81:82], v[79:80]
	v_fma_f64 v[69:70], v[63:64], v[69:70], 1.0
	s_delay_alu instid0(VALU_DEP_4) | instskip(NEXT) | instid1(VALU_DEP_4)
	v_fma_f64 v[75:76], v[71:72], v[75:76], s[6:7]
	v_fma_f64 v[73:74], v[67:68], v[73:74], 1.0
	s_delay_alu instid0(VALU_DEP_4) | instskip(NEXT) | instid1(VALU_DEP_4)
	v_fma_f64 v[81:82], -v[77:78], v[79:80], 1.0
	v_fma_f64 v[47:48], v[63:64], v[69:70], 1.0
	s_delay_alu instid0(VALU_DEP_4)
	v_fma_f64 v[63:64], v[71:72], v[75:76], s[16:17]
	v_cvt_i32_f64_e32 v75, v[59:60]
	v_fma_f64 v[59:60], v[67:68], v[73:74], 1.0
	v_div_scale_f64 v[67:68], vcc_lo, 1.0, v[49:50], 1.0
	v_fma_f64 v[69:70], v[79:80], v[81:82], v[79:80]
	v_ldexp_f64 v[47:48], v[47:48], v1
	v_fma_f64 v[63:64], v[71:72], v[63:64], 1.0
	v_cvt_i32_f64_e32 v1, v[65:66]
	v_ldexp_f64 v[59:60], v[59:60], v75
	v_mul_f64 v[73:74], v[67:68], v[69:70]
	v_mul_f64 v[47:48], v[47:48], s[0:1]
	s_mov_b32 s0, 0x5c28f5c3
	s_mov_b32 s1, 0x3fe5c28f
	v_fma_f64 v[63:64], v[71:72], v[63:64], 1.0
	s_delay_alu instid0(VALU_DEP_4)
	v_mul_f64 v[59:60], v[59:60], s[0:1]
	v_cmp_nlt_f64_e64 s0, 0x40900000, v[53:54]
	v_cmp_ngt_f64_e64 s1, 0xc090cc00, v[53:54]
	v_fma_f64 v[65:66], -v[77:78], v[73:74], v[67:68]
	v_ldexp_f64 v[53:54], v[63:64], v1
	v_cndmask_b32_e64 v1, 0x7ff00000, v60, s2
	v_cndmask_b32_e64 v48, 0x7ff00000, v48, s0
	v_mov_b32_e32 v63, v2
	s_delay_alu instid0(VALU_DEP_3) | instskip(NEXT) | instid1(VALU_DEP_3)
	v_cndmask_b32_e64 v60, 0, v1, s3
	v_cndmask_b32_e64 v48, 0, v48, s1
	v_div_fmas_f64 v[55:56], v[65:66], v[69:70], v[73:74]
	s_and_b32 vcc_lo, s1, s0
	v_cmp_ngt_f64_e64 s0, 0xc090cc00, v[57:58]
	v_cndmask_b32_e32 v47, 0, v47, vcc_lo
	v_cmp_nlt_f64_e32 vcc_lo, 0x40900000, v[57:58]
	s_and_b32 s1, s3, s2
	s_delay_alu instid0(SALU_CYCLE_1) | instskip(NEXT) | instid1(VALU_DEP_1)
	v_cndmask_b32_e64 v59, 0, v59, s1
	v_add_f64 v[47:48], v[47:48], v[59:60]
	v_cndmask_b32_e32 v1, 0x7ff00000, v54, vcc_lo
	v_div_fixup_f64 v[54:55], v[55:56], v[49:50], 1.0
	s_and_b32 vcc_lo, s0, vcc_lo
	v_cndmask_b32_e32 v56, 0, v53, vcc_lo
	s_delay_alu instid0(VALU_DEP_3) | instskip(NEXT) | instid1(VALU_DEP_1)
	v_cndmask_b32_e64 v57, 0, v1, s0
	v_add_f64 v[47:48], v[56:57], v[47:48]
	s_delay_alu instid0(VALU_DEP_4) | instskip(NEXT) | instid1(VALU_DEP_2)
	v_mul_f64 v[53:54], v[7:8], v[54:55]
	v_max_f64 v[47:48], 0x38100000, v[47:48]
	s_delay_alu instid0(VALU_DEP_2) | instskip(SKIP_1) | instid1(VALU_DEP_3)
	v_mul_f64 v[55:56], v[61:62], v[53:54]
	v_fma_f64 v[53:54], v[61:62], v[53:54], 1.0
	v_frexp_mant_f64_e32 v[57:58], v[47:48]
	v_frexp_exp_i32_f64_e32 v1, v[47:48]
	s_delay_alu instid0(VALU_DEP_4) | instskip(NEXT) | instid1(VALU_DEP_4)
	v_max_f64 v[59:60], 0x38100000, v[55:56]
	v_div_scale_f64 v[61:62], null, v[53:54], v[53:54], 1.0
	s_delay_alu instid0(VALU_DEP_4) | instskip(NEXT) | instid1(VALU_DEP_3)
	v_cmp_gt_f64_e32 vcc_lo, s[58:59], v[57:58]
	v_frexp_mant_f64_e32 v[65:66], v[59:60]
	v_cndmask_b32_e64 v64, 0x3ff00000, 2.0, vcc_lo
	v_subrev_co_ci_u32_e32 v1, vcc_lo, 0, v1, vcc_lo
	s_delay_alu instid0(VALU_DEP_2) | instskip(NEXT) | instid1(VALU_DEP_4)
	v_mul_f64 v[57:58], v[57:58], v[63:64]
	v_cmp_gt_f64_e64 s0, s[58:59], v[65:66]
	s_delay_alu instid0(VALU_DEP_2) | instskip(NEXT) | instid1(VALU_DEP_2)
	v_add_f64 v[67:68], v[57:58], 1.0
	v_cndmask_b32_e64 v64, 0x3ff00000, 2.0, s0
	s_delay_alu instid0(VALU_DEP_1) | instskip(NEXT) | instid1(VALU_DEP_3)
	v_mul_f64 v[63:64], v[65:66], v[63:64]
	v_rcp_f64_e32 v[65:66], v[67:68]
	s_delay_alu instid0(VALU_DEP_1) | instskip(SKIP_4) | instid1(VALU_DEP_1)
	v_add_f64 v[69:70], v[63:64], 1.0
	v_add_f64 v[79:80], v[63:64], -1.0
	s_waitcnt_depctr 0xfff
	v_fma_f64 v[71:72], -v[67:68], v[65:66], 1.0
	v_rcp_f64_e32 v[73:74], v[69:70]
	v_fma_f64 v[65:66], v[71:72], v[65:66], v[65:66]
	s_waitcnt_depctr 0xfff
	v_fma_f64 v[71:72], -v[69:70], v[73:74], 1.0
	v_fma_f64 v[75:76], -v[67:68], v[65:66], 1.0
	s_delay_alu instid0(VALU_DEP_2) | instskip(SKIP_1) | instid1(VALU_DEP_3)
	v_fma_f64 v[71:72], v[71:72], v[73:74], v[73:74]
	v_add_f64 v[73:74], v[57:58], -1.0
	v_fma_f64 v[65:66], v[75:76], v[65:66], v[65:66]
	s_delay_alu instid0(VALU_DEP_3) | instskip(NEXT) | instid1(VALU_DEP_2)
	v_fma_f64 v[75:76], -v[69:70], v[71:72], 1.0
	v_mul_f64 v[77:78], v[73:74], v[65:66]
	s_delay_alu instid0(VALU_DEP_2) | instskip(SKIP_1) | instid1(VALU_DEP_3)
	v_fma_f64 v[71:72], v[75:76], v[71:72], v[71:72]
	v_add_f64 v[75:76], v[67:68], -1.0
	v_mul_f64 v[81:82], v[67:68], v[77:78]
	s_delay_alu instid0(VALU_DEP_3) | instskip(NEXT) | instid1(VALU_DEP_3)
	v_mul_f64 v[83:84], v[79:80], v[71:72]
	v_add_f64 v[57:58], v[57:58], -v[75:76]
	v_add_f64 v[75:76], v[69:70], -1.0
	s_delay_alu instid0(VALU_DEP_4) | instskip(NEXT) | instid1(VALU_DEP_4)
	v_fma_f64 v[67:68], v[77:78], v[67:68], -v[81:82]
	v_mul_f64 v[85:86], v[69:70], v[83:84]
	s_delay_alu instid0(VALU_DEP_3) | instskip(NEXT) | instid1(VALU_DEP_3)
	v_add_f64 v[63:64], v[63:64], -v[75:76]
	v_fma_f64 v[57:58], v[77:78], v[57:58], v[67:68]
	s_delay_alu instid0(VALU_DEP_3) | instskip(NEXT) | instid1(VALU_DEP_2)
	v_fma_f64 v[67:68], v[83:84], v[69:70], -v[85:86]
	v_add_f64 v[69:70], v[81:82], v[57:58]
	s_delay_alu instid0(VALU_DEP_2) | instskip(NEXT) | instid1(VALU_DEP_2)
	v_fma_f64 v[63:64], v[83:84], v[63:64], v[67:68]
	v_add_f64 v[67:68], v[73:74], -v[69:70]
	v_add_f64 v[81:82], v[69:70], -v[81:82]
	s_delay_alu instid0(VALU_DEP_3) | instskip(NEXT) | instid1(VALU_DEP_3)
	v_add_f64 v[75:76], v[85:86], v[63:64]
	v_add_f64 v[73:74], v[73:74], -v[67:68]
	s_delay_alu instid0(VALU_DEP_3) | instskip(NEXT) | instid1(VALU_DEP_3)
	v_add_f64 v[57:58], v[81:82], -v[57:58]
	v_add_f64 v[87:88], v[79:80], -v[75:76]
	s_delay_alu instid0(VALU_DEP_3) | instskip(SKIP_1) | instid1(VALU_DEP_3)
	v_add_f64 v[69:70], v[73:74], -v[69:70]
	v_add_f64 v[73:74], v[75:76], -v[85:86]
	;; [unrolled: 1-line block ×3, first 2 shown]
	s_delay_alu instid0(VALU_DEP_3) | instskip(NEXT) | instid1(VALU_DEP_3)
	v_add_f64 v[57:58], v[57:58], v[69:70]
	v_add_f64 v[63:64], v[73:74], -v[63:64]
	s_delay_alu instid0(VALU_DEP_3) | instskip(NEXT) | instid1(VALU_DEP_3)
	v_add_f64 v[69:70], v[79:80], -v[75:76]
	v_add_f64 v[57:58], v[67:68], v[57:58]
	s_delay_alu instid0(VALU_DEP_2) | instskip(NEXT) | instid1(VALU_DEP_2)
	v_add_f64 v[63:64], v[63:64], v[69:70]
	v_mul_f64 v[57:58], v[65:66], v[57:58]
	s_delay_alu instid0(VALU_DEP_2) | instskip(NEXT) | instid1(VALU_DEP_2)
	v_add_f64 v[63:64], v[87:88], v[63:64]
	v_add_f64 v[65:66], v[77:78], v[57:58]
	s_delay_alu instid0(VALU_DEP_2) | instskip(NEXT) | instid1(VALU_DEP_2)
	v_mul_f64 v[63:64], v[71:72], v[63:64]
	v_mul_f64 v[67:68], v[65:66], v[65:66]
	s_delay_alu instid0(VALU_DEP_2) | instskip(NEXT) | instid1(VALU_DEP_2)
	v_add_f64 v[69:70], v[83:84], v[63:64]
	v_fma_f64 v[71:72], v[67:68], s[42:43], s[36:37]
	v_mul_f64 v[79:80], v[65:66], v[67:68]
	s_delay_alu instid0(VALU_DEP_3) | instskip(NEXT) | instid1(VALU_DEP_3)
	v_mul_f64 v[73:74], v[69:70], v[69:70]
	v_fma_f64 v[71:72], v[67:68], v[71:72], s[48:49]
	s_delay_alu instid0(VALU_DEP_2) | instskip(NEXT) | instid1(VALU_DEP_2)
	v_fma_f64 v[75:76], v[73:74], s[42:43], s[36:37]
	v_fma_f64 v[71:72], v[67:68], v[71:72], s[52:53]
	s_delay_alu instid0(VALU_DEP_2) | instskip(NEXT) | instid1(VALU_DEP_2)
	v_fma_f64 v[75:76], v[73:74], v[75:76], s[48:49]
	;; [unrolled: 3-line block ×4, first 2 shown]
	v_fma_f64 v[67:68], v[67:68], v[71:72], s[40:41]
	s_delay_alu instid0(VALU_DEP_2)
	v_fma_f64 v[71:72], v[73:74], v[75:76], s[44:45]
	v_ldexp_f64 v[75:76], v[65:66], 1
	v_add_f64 v[65:66], v[65:66], -v[77:78]
	v_ldexp_f64 v[77:78], v[69:70], 1
	v_mul_f64 v[67:68], v[79:80], v[67:68]
	v_mul_f64 v[79:80], v[69:70], v[73:74]
	v_add_f64 v[69:70], v[69:70], -v[83:84]
	v_fma_f64 v[71:72], v[73:74], v[71:72], s[40:41]
	v_add_f64 v[57:58], v[57:58], -v[65:66]
	v_add_f64 v[73:74], v[75:76], v[67:68]
	s_delay_alu instid0(VALU_DEP_4) | instskip(NEXT) | instid1(VALU_DEP_4)
	v_add_f64 v[63:64], v[63:64], -v[69:70]
	v_mul_f64 v[71:72], v[79:80], v[71:72]
	s_delay_alu instid0(VALU_DEP_4) | instskip(NEXT) | instid1(VALU_DEP_4)
	v_ldexp_f64 v[57:58], v[57:58], 1
	v_add_f64 v[65:66], v[73:74], -v[75:76]
	s_delay_alu instid0(VALU_DEP_4) | instskip(NEXT) | instid1(VALU_DEP_4)
	v_ldexp_f64 v[63:64], v[63:64], 1
	v_add_f64 v[75:76], v[77:78], v[71:72]
	s_delay_alu instid0(VALU_DEP_3) | instskip(NEXT) | instid1(VALU_DEP_2)
	v_add_f64 v[65:66], v[67:68], -v[65:66]
	v_add_f64 v[67:68], v[75:76], -v[77:78]
	v_frexp_exp_i32_f64_e32 v77, v[59:60]
	s_delay_alu instid0(VALU_DEP_3) | instskip(NEXT) | instid1(VALU_DEP_3)
	v_add_f64 v[57:58], v[57:58], v[65:66]
	v_add_f64 v[65:66], v[71:72], -v[67:68]
	s_delay_alu instid0(VALU_DEP_2) | instskip(NEXT) | instid1(VALU_DEP_2)
	v_add_f64 v[67:68], v[73:74], v[57:58]
	v_add_f64 v[63:64], v[63:64], v[65:66]
	v_cvt_f64_i32_e32 v[65:66], v1
	v_subrev_co_ci_u32_e64 v1, vcc_lo, 0, v77, s0
	v_cmp_eq_f64_e32 vcc_lo, 0x7ff00000, v[47:48]
	s_delay_alu instid0(VALU_DEP_2) | instskip(SKIP_4) | instid1(VALU_DEP_4)
	v_cvt_f64_i32_e32 v[79:80], v1
	v_add_f64 v[69:70], v[67:68], -v[73:74]
	v_mul_f64 v[71:72], v[67:68], s[30:31]
	v_add_f64 v[73:74], v[75:76], v[63:64]
	v_mul_f64 v[77:78], v[65:66], s[34:35]
	v_add_f64 v[57:58], v[57:58], -v[69:70]
	s_delay_alu instid0(VALU_DEP_4) | instskip(NEXT) | instid1(VALU_DEP_4)
	v_fma_f64 v[69:70], v[67:68], s[30:31], -v[71:72]
	v_add_f64 v[75:76], v[73:74], -v[75:76]
	v_mul_f64 v[81:82], v[73:74], s[30:31]
	v_fma_f64 v[83:84], v[65:66], s[34:35], -v[77:78]
	s_delay_alu instid0(VALU_DEP_4)
	v_fma_f64 v[57:58], v[57:58], s[30:31], v[69:70]
	v_mul_f64 v[69:70], v[79:80], s[34:35]
	v_add_f64 v[63:64], v[63:64], -v[75:76]
	v_fma_f64 v[75:76], v[73:74], s[30:31], -v[81:82]
	v_fma_f64 v[65:66], v[65:66], s[46:47], v[83:84]
	v_fma_f64 v[57:58], v[67:68], s[54:55], v[57:58]
	v_fma_f64 v[67:68], v[79:80], s[34:35], -v[69:70]
	s_delay_alu instid0(VALU_DEP_4) | instskip(NEXT) | instid1(VALU_DEP_4)
	v_fma_f64 v[63:64], v[63:64], s[30:31], v[75:76]
	v_add_f64 v[75:76], v[77:78], v[65:66]
	s_delay_alu instid0(VALU_DEP_4) | instskip(NEXT) | instid1(VALU_DEP_4)
	v_add_f64 v[83:84], v[71:72], v[57:58]
	v_fma_f64 v[67:68], v[79:80], s[46:47], v[67:68]
	s_delay_alu instid0(VALU_DEP_4) | instskip(NEXT) | instid1(VALU_DEP_4)
	v_fma_f64 v[63:64], v[73:74], s[54:55], v[63:64]
	v_add_f64 v[77:78], v[75:76], -v[77:78]
	s_delay_alu instid0(VALU_DEP_4) | instskip(NEXT) | instid1(VALU_DEP_4)
	v_add_f64 v[73:74], v[75:76], v[83:84]
	v_add_f64 v[79:80], v[69:70], v[67:68]
	v_add_f64 v[71:72], v[83:84], -v[71:72]
	v_add_f64 v[85:86], v[81:82], v[63:64]
	v_add_f64 v[65:66], v[65:66], -v[77:78]
	v_add_f64 v[87:88], v[73:74], -v[75:76]
	;; [unrolled: 1-line block ×4, first 2 shown]
	v_add_f64 v[89:90], v[79:80], v[85:86]
	s_delay_alu instid0(VALU_DEP_4) | instskip(SKIP_1) | instid1(VALU_DEP_4)
	v_add_f64 v[77:78], v[73:74], -v[87:88]
	v_add_f64 v[83:84], v[83:84], -v[87:88]
	v_add_f64 v[87:88], v[65:66], v[57:58]
	v_add_f64 v[67:68], v[67:68], -v[69:70]
	v_add_f64 v[71:72], v[89:90], -v[79:80]
	;; [unrolled: 1-line block ×4, first 2 shown]
	s_delay_alu instid0(VALU_DEP_3) | instskip(SKIP_1) | instid1(VALU_DEP_4)
	v_add_f64 v[81:82], v[89:90], -v[71:72]
	v_add_f64 v[69:70], v[85:86], -v[71:72]
	v_add_f64 v[75:76], v[83:84], v[75:76]
	s_delay_alu instid0(VALU_DEP_4) | instskip(SKIP_2) | instid1(VALU_DEP_4)
	v_add_f64 v[63:64], v[63:64], -v[77:78]
	v_add_f64 v[77:78], v[87:88], -v[65:66]
	v_add_f64 v[71:72], v[79:80], -v[81:82]
	v_add_f64 v[75:76], v[87:88], v[75:76]
	s_delay_alu instid0(VALU_DEP_4) | instskip(NEXT) | instid1(VALU_DEP_4)
	v_add_f64 v[79:80], v[67:68], v[63:64]
	v_add_f64 v[57:58], v[57:58], -v[77:78]
	s_delay_alu instid0(VALU_DEP_4) | instskip(SKIP_3) | instid1(VALU_DEP_4)
	v_add_f64 v[69:70], v[69:70], v[71:72]
	v_add_f64 v[71:72], v[87:88], -v[77:78]
	v_add_f64 v[81:82], v[73:74], v[75:76]
	v_add_f64 v[83:84], v[79:80], -v[67:68]
	v_add_f64 v[69:70], v[79:80], v[69:70]
	s_delay_alu instid0(VALU_DEP_4) | instskip(NEXT) | instid1(VALU_DEP_4)
	v_add_f64 v[65:66], v[65:66], -v[71:72]
	v_add_f64 v[71:72], v[81:82], -v[73:74]
	s_delay_alu instid0(VALU_DEP_4)
	v_add_f64 v[73:74], v[79:80], -v[83:84]
	v_add_f64 v[63:64], v[63:64], -v[83:84]
	v_add_f64 v[77:78], v[89:90], v[69:70]
	v_add_f64 v[57:58], v[57:58], v[65:66]
	v_add_f64 v[65:66], v[75:76], -v[71:72]
	v_add_f64 v[67:68], v[67:68], -v[73:74]
	s_delay_alu instid0(VALU_DEP_4) | instskip(NEXT) | instid1(VALU_DEP_3)
	v_add_f64 v[71:72], v[77:78], -v[89:90]
	v_add_f64 v[57:58], v[57:58], v[65:66]
	s_delay_alu instid0(VALU_DEP_3) | instskip(NEXT) | instid1(VALU_DEP_3)
	v_add_f64 v[63:64], v[63:64], v[67:68]
	v_add_f64 v[65:66], v[69:70], -v[71:72]
	s_delay_alu instid0(VALU_DEP_3) | instskip(NEXT) | instid1(VALU_DEP_2)
	v_add_f64 v[57:58], v[81:82], v[57:58]
	v_add_f64 v[63:64], v[63:64], v[65:66]
	v_rcp_f64_e32 v[65:66], v[61:62]
	s_delay_alu instid0(VALU_DEP_2) | instskip(SKIP_1) | instid1(VALU_DEP_3)
	v_dual_cndmask_b32 v48, v58, v48 :: v_dual_cndmask_b32 v47, v57, v47
	v_cmp_eq_f64_e32 vcc_lo, 0x7ff00000, v[59:60]
	v_add_f64 v[57:58], v[77:78], v[63:64]
	s_delay_alu instid0(VALU_DEP_3) | instskip(SKIP_4) | instid1(VALU_DEP_3)
	v_fma_f64 v[63:64], v[47:48], s[68:69], s[62:63]
	s_waitcnt_depctr 0xfff
	v_fma_f64 v[69:70], -v[61:62], v[65:66], 1.0
	v_dual_cndmask_b32 v58, v58, v60 :: v_dual_cndmask_b32 v57, v57, v59
	v_fma_f64 v[59:60], v[47:48], s[70:71], 0x3fe80000
	v_fma_f64 v[65:66], v[65:66], v[69:70], v[65:66]
	v_div_scale_f64 v[73:74], vcc_lo, 1.0, v[53:54], 1.0
	s_delay_alu instid0(VALU_DEP_4) | instskip(NEXT) | instid1(VALU_DEP_3)
	v_add_f64 v[57:58], v[57:58], -v[63:64]
	v_fma_f64 v[69:70], -v[61:62], v[65:66], 1.0
	s_delay_alu instid0(VALU_DEP_2) | instskip(NEXT) | instid1(VALU_DEP_2)
	v_fma_f64 v[59:60], v[57:58], s[72:73], v[59:60]
	v_fma_f64 v[65:66], v[65:66], v[69:70], v[65:66]
	s_delay_alu instid0(VALU_DEP_2) | instskip(SKIP_1) | instid1(VALU_DEP_2)
	v_div_scale_f64 v[63:64], null, v[59:60], v[59:60], 1.0
	v_div_scale_f64 v[69:70], s0, 1.0, v[59:60], 1.0
	v_rcp_f64_e32 v[67:68], v[63:64]
	s_waitcnt_depctr 0xfff
	v_fma_f64 v[71:72], -v[63:64], v[67:68], 1.0
	s_delay_alu instid0(VALU_DEP_1) | instskip(NEXT) | instid1(VALU_DEP_1)
	v_fma_f64 v[67:68], v[67:68], v[71:72], v[67:68]
	v_fma_f64 v[71:72], -v[63:64], v[67:68], 1.0
	s_delay_alu instid0(VALU_DEP_1) | instskip(SKIP_1) | instid1(VALU_DEP_2)
	v_fma_f64 v[67:68], v[67:68], v[71:72], v[67:68]
	v_mul_f64 v[71:72], v[73:74], v[65:66]
	v_mul_f64 v[75:76], v[69:70], v[67:68]
	s_delay_alu instid0(VALU_DEP_2) | instskip(NEXT) | instid1(VALU_DEP_2)
	v_fma_f64 v[61:62], -v[61:62], v[71:72], v[73:74]
	v_fma_f64 v[63:64], -v[63:64], v[75:76], v[69:70]
	s_delay_alu instid0(VALU_DEP_2) | instskip(SKIP_1) | instid1(VALU_DEP_2)
	v_div_fmas_f64 v[61:62], v[61:62], v[65:66], v[71:72]
	s_mov_b32 vcc_lo, s0
	v_div_fmas_f64 v[63:64], v[63:64], v[67:68], v[75:76]
	s_delay_alu instid0(VALU_DEP_2) | instskip(NEXT) | instid1(VALU_DEP_2)
	v_div_fixup_f64 v[53:54], v[61:62], v[53:54], 1.0
	v_div_fixup_f64 v[59:60], v[63:64], v[59:60], 1.0
	s_delay_alu instid0(VALU_DEP_1) | instskip(NEXT) | instid1(VALU_DEP_1)
	v_mul_f64 v[57:58], v[57:58], v[59:60]
	v_fma_f64 v[57:58], v[57:58], v[57:58], 1.0
	s_delay_alu instid0(VALU_DEP_1) | instskip(SKIP_1) | instid1(VALU_DEP_2)
	v_div_scale_f64 v[59:60], null, v[57:58], v[57:58], 1.0
	v_div_scale_f64 v[67:68], vcc_lo, 1.0, v[57:58], 1.0
	v_rcp_f64_e32 v[63:64], v[59:60]
	s_waitcnt_depctr 0xfff
	v_fma_f64 v[65:66], -v[59:60], v[63:64], 1.0
	s_delay_alu instid0(VALU_DEP_1) | instskip(NEXT) | instid1(VALU_DEP_1)
	v_fma_f64 v[63:64], v[63:64], v[65:66], v[63:64]
	v_fma_f64 v[65:66], -v[59:60], v[63:64], 1.0
	s_delay_alu instid0(VALU_DEP_1) | instskip(NEXT) | instid1(VALU_DEP_1)
	v_fma_f64 v[63:64], v[63:64], v[65:66], v[63:64]
	v_mul_f64 v[65:66], v[67:68], v[63:64]
	s_delay_alu instid0(VALU_DEP_1) | instskip(NEXT) | instid1(VALU_DEP_1)
	v_fma_f64 v[59:60], -v[59:60], v[65:66], v[67:68]
	v_div_fmas_f64 v[59:60], v[59:60], v[63:64], v[65:66]
	s_delay_alu instid0(VALU_DEP_1) | instskip(NEXT) | instid1(VALU_DEP_1)
	v_div_fixup_f64 v[57:58], v[59:60], v[57:58], 1.0
	v_mul_f64 v[47:48], v[47:48], v[57:58]
	s_delay_alu instid0(VALU_DEP_1) | instskip(SKIP_2) | instid1(VALU_DEP_3)
	v_mul_f64 v[57:58], v[47:48], s[38:39]
	v_cmp_nlt_f64_e32 vcc_lo, 0x40900000, v[47:48]
	v_cmp_ngt_f64_e64 s0, 0xc090cc00, v[47:48]
	v_rndne_f64_e32 v[57:58], v[57:58]
	s_delay_alu instid0(VALU_DEP_1) | instskip(SKIP_2) | instid1(VALU_DEP_3)
	v_fma_f64 v[59:60], v[57:58], s[56:57], v[47:48]
	v_cvt_i32_f64_e32 v1, v[57:58]
	v_mul_f64 v[47:48], v[55:56], v[53:54]
	v_fma_f64 v[59:60], v[57:58], s[50:51], v[59:60]
	s_delay_alu instid0(VALU_DEP_1) | instskip(NEXT) | instid1(VALU_DEP_1)
	v_mul_f64 v[63:64], v[59:60], s[64:65]
	v_fma_f64 v[59:60], v[59:60], s[66:67], v[63:64]
	s_delay_alu instid0(VALU_DEP_1) | instskip(NEXT) | instid1(VALU_DEP_1)
	v_fma_f64 v[63:64], v[59:60], s[18:19], s[14:15]
	v_fma_f64 v[63:64], v[59:60], v[63:64], s[20:21]
	s_delay_alu instid0(VALU_DEP_1) | instskip(NEXT) | instid1(VALU_DEP_1)
	v_fma_f64 v[63:64], v[59:60], v[63:64], s[22:23]
	;; [unrolled: 3-line block ×5, first 2 shown]
	v_fma_f64 v[63:64], v[59:60], v[63:64], 1.0
	s_delay_alu instid0(VALU_DEP_1) | instskip(NEXT) | instid1(VALU_DEP_1)
	v_fma_f64 v[57:58], v[59:60], v[63:64], 1.0
	v_ldexp_f64 v[57:58], v[57:58], v1
	s_delay_alu instid0(VALU_DEP_1) | instskip(SKIP_1) | instid1(VALU_DEP_2)
	v_cndmask_b32_e32 v1, 0x7ff00000, v58, vcc_lo
	s_and_b32 vcc_lo, s0, vcc_lo
	v_cndmask_b32_e32 v53, 0, v57, vcc_lo
	s_delay_alu instid0(VALU_DEP_2)
	v_cndmask_b32_e64 v54, 0, v1, s0
	s_mov_b32 s0, 0xdca01dca
	s_mov_b32 s1, 0xbf6dca01
	v_lshl_add_u32 v1, s33, 3, v0
	v_mul_f64 v[55:56], v[9:10], s[0:1]
	v_mul_f64 v[47:48], v[47:48], v[53:54]
	s_mov_b32 s0, 0xfbd2e5b1
	s_mov_b32 s1, 0xbf4aba41
	s_delay_alu instid0(SALU_CYCLE_1) | instskip(SKIP_2) | instid1(VALU_DEP_3)
	v_mul_f64 v[57:58], v[9:10], s[0:1]
	s_mov_b32 s0, 0xa0902de0
	s_mov_b32 s1, 0x3fda31f8
	v_mul_f64 v[61:62], v[55:56], s[76:77]
	s_delay_alu instid0(VALU_DEP_3) | instskip(SKIP_1) | instid1(VALU_DEP_4)
	v_mul_f64 v[59:60], v[49:50], v[47:48]
	v_lshlrev_b64 v[49:50], 3, v[1:2]
	v_mul_f64 v[63:64], v[57:58], s[76:77]
	v_cmp_nlt_f64_e64 s2, 0x40900000, v[57:58]
	v_cmp_ngt_f64_e64 s3, 0xc090cc00, v[57:58]
	s_delay_alu instid0(VALU_DEP_4)
	v_add_co_u32 v53, vcc_lo, s8, v49
	v_add_co_ci_u32_e32 v54, vcc_lo, s9, v50, vcc_lo
	v_add_co_u32 v43, vcc_lo, s12, v43
	v_add_co_ci_u32_e32 v44, vcc_lo, s13, v44, vcc_lo
	global_load_b64 v[43:44], v[43:44], off
	global_store_b64 v[51:52], v[59:60], off
	global_load_b64 v[51:52], v[53:54], off
	v_rndne_f64_e32 v[59:60], v[61:62]
	v_mul_f64 v[61:62], 0xc0b44100, v[19:20]
	v_rndne_f64_e32 v[63:64], v[63:64]
	s_delay_alu instid0(VALU_DEP_3) | instskip(NEXT) | instid1(VALU_DEP_3)
	v_fma_f64 v[65:66], v[59:60], s[78:79], v[55:56]
	v_mul_f64 v[67:68], v[61:62], s[76:77]
	s_delay_alu instid0(VALU_DEP_3) | instskip(SKIP_1) | instid1(VALU_DEP_4)
	v_fma_f64 v[69:70], v[63:64], s[78:79], v[57:58]
	v_cvt_i32_f64_e32 v0, v[59:60]
	v_fma_f64 v[65:66], v[59:60], s[74:75], v[65:66]
	s_delay_alu instid0(VALU_DEP_4) | instskip(NEXT) | instid1(VALU_DEP_4)
	v_rndne_f64_e32 v[67:68], v[67:68]
	v_fma_f64 v[69:70], v[63:64], s[74:75], v[69:70]
	s_delay_alu instid0(VALU_DEP_3) | instskip(NEXT) | instid1(VALU_DEP_3)
	v_fma_f64 v[71:72], v[65:66], s[18:19], s[14:15]
	v_fma_f64 v[73:74], v[67:68], s[78:79], v[61:62]
	s_delay_alu instid0(VALU_DEP_3) | instskip(NEXT) | instid1(VALU_DEP_3)
	v_fma_f64 v[75:76], v[69:70], s[18:19], s[14:15]
	;; [unrolled: 3-line block ×9, first 2 shown]
	v_fma_f64 v[75:76], v[69:70], v[75:76], s[28:29]
	s_waitcnt vmcnt(0)
	v_div_scale_f64 v[79:80], null, v[51:52], v[51:52], 1.0
	s_delay_alu instid0(VALU_DEP_4) | instskip(NEXT) | instid1(VALU_DEP_4)
	v_fma_f64 v[71:72], v[65:66], v[71:72], s[4:5]
	v_fma_f64 v[77:78], v[73:74], v[77:78], s[26:27]
	s_delay_alu instid0(VALU_DEP_4) | instskip(NEXT) | instid1(VALU_DEP_4)
	v_fma_f64 v[75:76], v[69:70], v[75:76], s[4:5]
	v_rcp_f64_e32 v[81:82], v[79:80]
	s_delay_alu instid0(VALU_DEP_3) | instskip(NEXT) | instid1(VALU_DEP_3)
	v_fma_f64 v[71:72], v[65:66], v[71:72], s[6:7]
	v_fma_f64 v[77:78], v[73:74], v[77:78], s[28:29]
	s_delay_alu instid0(VALU_DEP_3)
	v_fma_f64 v[75:76], v[69:70], v[75:76], s[6:7]
	s_waitcnt_depctr 0xfff
	v_fma_f64 v[83:84], -v[79:80], v[81:82], 1.0
	v_fma_f64 v[71:72], v[65:66], v[71:72], s[16:17]
	v_fma_f64 v[77:78], v[73:74], v[77:78], s[4:5]
	;; [unrolled: 1-line block ×3, first 2 shown]
	s_delay_alu instid0(VALU_DEP_4) | instskip(NEXT) | instid1(VALU_DEP_4)
	v_fma_f64 v[81:82], v[81:82], v[83:84], v[81:82]
	v_fma_f64 v[71:72], v[65:66], v[71:72], 1.0
	s_delay_alu instid0(VALU_DEP_4) | instskip(NEXT) | instid1(VALU_DEP_4)
	v_fma_f64 v[77:78], v[73:74], v[77:78], s[6:7]
	v_fma_f64 v[75:76], v[69:70], v[75:76], 1.0
	s_delay_alu instid0(VALU_DEP_4) | instskip(NEXT) | instid1(VALU_DEP_4)
	v_fma_f64 v[83:84], -v[79:80], v[81:82], 1.0
	v_fma_f64 v[59:60], v[65:66], v[71:72], 1.0
	s_delay_alu instid0(VALU_DEP_4)
	v_fma_f64 v[65:66], v[73:74], v[77:78], s[16:17]
	v_cvt_i32_f64_e32 v77, v[63:64]
	v_fma_f64 v[63:64], v[69:70], v[75:76], 1.0
	v_div_scale_f64 v[69:70], vcc_lo, 1.0, v[51:52], 1.0
	v_fma_f64 v[71:72], v[81:82], v[83:84], v[81:82]
	v_ldexp_f64 v[59:60], v[59:60], v0
	v_fma_f64 v[65:66], v[73:74], v[65:66], 1.0
	v_cvt_i32_f64_e32 v0, v[67:68]
	v_ldexp_f64 v[63:64], v[63:64], v77
	v_mul_f64 v[75:76], v[69:70], v[71:72]
	v_mul_f64 v[59:60], v[59:60], s[0:1]
	s_mov_b32 s0, 0xafb7e910
	s_mov_b32 s1, 0x3fe2e703
	v_fma_f64 v[65:66], v[73:74], v[65:66], 1.0
	s_delay_alu instid0(VALU_DEP_4)
	v_mul_f64 v[63:64], v[63:64], s[0:1]
	v_cmp_nlt_f64_e64 s0, 0x40900000, v[55:56]
	v_cmp_ngt_f64_e64 s1, 0xc090cc00, v[55:56]
	v_fma_f64 v[67:68], -v[79:80], v[75:76], v[69:70]
	v_ldexp_f64 v[55:56], v[65:66], v0
	v_cndmask_b32_e64 v0, 0x7ff00000, v64, s2
	v_cndmask_b32_e64 v60, 0x7ff00000, v60, s0
	v_mov_b32_e32 v65, v2
	s_delay_alu instid0(VALU_DEP_3) | instskip(NEXT) | instid1(VALU_DEP_3)
	v_cndmask_b32_e64 v64, 0, v0, s3
	v_cndmask_b32_e64 v60, 0, v60, s1
	v_div_fmas_f64 v[57:58], v[67:68], v[71:72], v[75:76]
	s_and_b32 vcc_lo, s1, s0
	v_cmp_ngt_f64_e64 s0, 0xc090cc00, v[61:62]
	v_cndmask_b32_e32 v59, 0, v59, vcc_lo
	v_cmp_nlt_f64_e32 vcc_lo, 0x40900000, v[61:62]
	s_and_b32 s1, s3, s2
	s_mov_b32 s2, 0x6c53a1d5
	v_cndmask_b32_e64 v63, 0, v63, s1
	s_mov_b32 s3, 0xbf45129a
	s_delay_alu instid0(VALU_DEP_1) | instskip(SKIP_4) | instid1(VALU_DEP_3)
	v_add_f64 v[59:60], v[59:60], v[63:64]
	v_cndmask_b32_e32 v0, 0x7ff00000, v56, vcc_lo
	v_div_fixup_f64 v[56:57], v[57:58], v[51:52], 1.0
	s_and_b32 vcc_lo, s0, vcc_lo
	v_cndmask_b32_e32 v61, 0, v55, vcc_lo
	v_cndmask_b32_e64 v62, 0, v0, s0
	s_delay_alu instid0(VALU_DEP_1) | instskip(NEXT) | instid1(VALU_DEP_4)
	v_add_f64 v[58:59], v[61:62], v[59:60]
	v_mul_f64 v[55:56], v[7:8], v[56:57]
	s_delay_alu instid0(VALU_DEP_2) | instskip(NEXT) | instid1(VALU_DEP_2)
	v_max_f64 v[57:58], 0x38100000, v[58:59]
	v_mul_f64 v[59:60], v[43:44], v[55:56]
	v_fma_f64 v[43:44], v[43:44], v[55:56], 1.0
	s_delay_alu instid0(VALU_DEP_3) | instskip(SKIP_1) | instid1(VALU_DEP_4)
	v_frexp_mant_f64_e32 v[61:62], v[57:58]
	v_frexp_exp_i32_f64_e32 v0, v[57:58]
	v_max_f64 v[63:64], 0x38100000, v[59:60]
	s_delay_alu instid0(VALU_DEP_3) | instskip(NEXT) | instid1(VALU_DEP_2)
	v_cmp_gt_f64_e32 vcc_lo, s[58:59], v[61:62]
	v_frexp_mant_f64_e32 v[67:68], v[63:64]
	v_cndmask_b32_e64 v66, 0x3ff00000, 2.0, vcc_lo
	v_subrev_co_ci_u32_e32 v0, vcc_lo, 0, v0, vcc_lo
	s_delay_alu instid0(VALU_DEP_2) | instskip(NEXT) | instid1(VALU_DEP_4)
	v_mul_f64 v[61:62], v[61:62], v[65:66]
	v_cmp_gt_f64_e64 s0, s[58:59], v[67:68]
	s_delay_alu instid0(VALU_DEP_2) | instskip(NEXT) | instid1(VALU_DEP_2)
	v_add_f64 v[69:70], v[61:62], 1.0
	v_cndmask_b32_e64 v66, 0x3ff00000, 2.0, s0
	s_delay_alu instid0(VALU_DEP_1) | instskip(NEXT) | instid1(VALU_DEP_3)
	v_mul_f64 v[65:66], v[67:68], v[65:66]
	v_rcp_f64_e32 v[67:68], v[69:70]
	s_delay_alu instid0(VALU_DEP_1) | instskip(SKIP_4) | instid1(VALU_DEP_1)
	v_add_f64 v[71:72], v[65:66], 1.0
	v_add_f64 v[81:82], v[65:66], -1.0
	s_waitcnt_depctr 0xfff
	v_fma_f64 v[73:74], -v[69:70], v[67:68], 1.0
	v_rcp_f64_e32 v[75:76], v[71:72]
	v_fma_f64 v[67:68], v[73:74], v[67:68], v[67:68]
	s_waitcnt_depctr 0xfff
	v_fma_f64 v[73:74], -v[71:72], v[75:76], 1.0
	v_fma_f64 v[77:78], -v[69:70], v[67:68], 1.0
	s_delay_alu instid0(VALU_DEP_2) | instskip(SKIP_1) | instid1(VALU_DEP_3)
	v_fma_f64 v[73:74], v[73:74], v[75:76], v[75:76]
	v_add_f64 v[75:76], v[61:62], -1.0
	v_fma_f64 v[67:68], v[77:78], v[67:68], v[67:68]
	s_delay_alu instid0(VALU_DEP_3) | instskip(NEXT) | instid1(VALU_DEP_2)
	v_fma_f64 v[77:78], -v[71:72], v[73:74], 1.0
	v_mul_f64 v[79:80], v[75:76], v[67:68]
	s_delay_alu instid0(VALU_DEP_2) | instskip(SKIP_1) | instid1(VALU_DEP_3)
	v_fma_f64 v[73:74], v[77:78], v[73:74], v[73:74]
	v_add_f64 v[77:78], v[69:70], -1.0
	v_mul_f64 v[83:84], v[69:70], v[79:80]
	s_delay_alu instid0(VALU_DEP_3) | instskip(NEXT) | instid1(VALU_DEP_3)
	v_mul_f64 v[85:86], v[81:82], v[73:74]
	v_add_f64 v[61:62], v[61:62], -v[77:78]
	v_add_f64 v[77:78], v[71:72], -1.0
	s_delay_alu instid0(VALU_DEP_4) | instskip(NEXT) | instid1(VALU_DEP_4)
	v_fma_f64 v[69:70], v[79:80], v[69:70], -v[83:84]
	v_mul_f64 v[87:88], v[71:72], v[85:86]
	s_delay_alu instid0(VALU_DEP_3) | instskip(NEXT) | instid1(VALU_DEP_3)
	v_add_f64 v[65:66], v[65:66], -v[77:78]
	v_fma_f64 v[61:62], v[79:80], v[61:62], v[69:70]
	s_delay_alu instid0(VALU_DEP_3) | instskip(NEXT) | instid1(VALU_DEP_2)
	v_fma_f64 v[69:70], v[85:86], v[71:72], -v[87:88]
	v_add_f64 v[71:72], v[83:84], v[61:62]
	s_delay_alu instid0(VALU_DEP_2) | instskip(NEXT) | instid1(VALU_DEP_2)
	v_fma_f64 v[65:66], v[85:86], v[65:66], v[69:70]
	v_add_f64 v[69:70], v[75:76], -v[71:72]
	v_add_f64 v[83:84], v[71:72], -v[83:84]
	s_delay_alu instid0(VALU_DEP_3) | instskip(NEXT) | instid1(VALU_DEP_3)
	v_add_f64 v[77:78], v[87:88], v[65:66]
	v_add_f64 v[75:76], v[75:76], -v[69:70]
	s_delay_alu instid0(VALU_DEP_3) | instskip(NEXT) | instid1(VALU_DEP_3)
	v_add_f64 v[61:62], v[83:84], -v[61:62]
	v_add_f64 v[89:90], v[81:82], -v[77:78]
	s_delay_alu instid0(VALU_DEP_3) | instskip(SKIP_1) | instid1(VALU_DEP_3)
	v_add_f64 v[71:72], v[75:76], -v[71:72]
	v_add_f64 v[75:76], v[77:78], -v[87:88]
	;; [unrolled: 1-line block ×3, first 2 shown]
	s_delay_alu instid0(VALU_DEP_3) | instskip(NEXT) | instid1(VALU_DEP_3)
	v_add_f64 v[61:62], v[61:62], v[71:72]
	v_add_f64 v[65:66], v[75:76], -v[65:66]
	s_delay_alu instid0(VALU_DEP_3) | instskip(NEXT) | instid1(VALU_DEP_3)
	v_add_f64 v[71:72], v[81:82], -v[77:78]
	v_add_f64 v[61:62], v[69:70], v[61:62]
	s_delay_alu instid0(VALU_DEP_2) | instskip(NEXT) | instid1(VALU_DEP_2)
	v_add_f64 v[65:66], v[65:66], v[71:72]
	v_mul_f64 v[61:62], v[67:68], v[61:62]
	s_delay_alu instid0(VALU_DEP_2) | instskip(NEXT) | instid1(VALU_DEP_2)
	v_add_f64 v[65:66], v[89:90], v[65:66]
	v_add_f64 v[67:68], v[79:80], v[61:62]
	s_delay_alu instid0(VALU_DEP_2) | instskip(NEXT) | instid1(VALU_DEP_2)
	v_mul_f64 v[65:66], v[73:74], v[65:66]
	v_mul_f64 v[69:70], v[67:68], v[67:68]
	s_delay_alu instid0(VALU_DEP_2) | instskip(NEXT) | instid1(VALU_DEP_2)
	v_add_f64 v[71:72], v[85:86], v[65:66]
	v_fma_f64 v[73:74], v[69:70], s[42:43], s[36:37]
	v_mul_f64 v[81:82], v[67:68], v[69:70]
	s_delay_alu instid0(VALU_DEP_3) | instskip(NEXT) | instid1(VALU_DEP_3)
	v_mul_f64 v[75:76], v[71:72], v[71:72]
	v_fma_f64 v[73:74], v[69:70], v[73:74], s[48:49]
	s_delay_alu instid0(VALU_DEP_2) | instskip(NEXT) | instid1(VALU_DEP_2)
	v_fma_f64 v[77:78], v[75:76], s[42:43], s[36:37]
	v_fma_f64 v[73:74], v[69:70], v[73:74], s[52:53]
	s_delay_alu instid0(VALU_DEP_2) | instskip(NEXT) | instid1(VALU_DEP_2)
	v_fma_f64 v[77:78], v[75:76], v[77:78], s[48:49]
	;; [unrolled: 3-line block ×4, first 2 shown]
	v_fma_f64 v[69:70], v[69:70], v[73:74], s[40:41]
	s_delay_alu instid0(VALU_DEP_2)
	v_fma_f64 v[73:74], v[75:76], v[77:78], s[44:45]
	v_ldexp_f64 v[77:78], v[67:68], 1
	v_add_f64 v[67:68], v[67:68], -v[79:80]
	v_ldexp_f64 v[79:80], v[71:72], 1
	v_mul_f64 v[69:70], v[81:82], v[69:70]
	v_mul_f64 v[81:82], v[71:72], v[75:76]
	v_add_f64 v[71:72], v[71:72], -v[85:86]
	v_fma_f64 v[73:74], v[75:76], v[73:74], s[40:41]
	v_add_f64 v[61:62], v[61:62], -v[67:68]
	v_add_f64 v[75:76], v[77:78], v[69:70]
	s_delay_alu instid0(VALU_DEP_4) | instskip(NEXT) | instid1(VALU_DEP_4)
	v_add_f64 v[65:66], v[65:66], -v[71:72]
	v_mul_f64 v[73:74], v[81:82], v[73:74]
	s_delay_alu instid0(VALU_DEP_4) | instskip(NEXT) | instid1(VALU_DEP_4)
	v_ldexp_f64 v[61:62], v[61:62], 1
	v_add_f64 v[67:68], v[75:76], -v[77:78]
	s_delay_alu instid0(VALU_DEP_4) | instskip(NEXT) | instid1(VALU_DEP_4)
	v_ldexp_f64 v[65:66], v[65:66], 1
	v_add_f64 v[77:78], v[79:80], v[73:74]
	s_delay_alu instid0(VALU_DEP_3) | instskip(NEXT) | instid1(VALU_DEP_2)
	v_add_f64 v[67:68], v[69:70], -v[67:68]
	v_add_f64 v[69:70], v[77:78], -v[79:80]
	v_frexp_exp_i32_f64_e32 v79, v[63:64]
	s_delay_alu instid0(VALU_DEP_3) | instskip(NEXT) | instid1(VALU_DEP_3)
	v_add_f64 v[61:62], v[61:62], v[67:68]
	v_add_f64 v[67:68], v[73:74], -v[69:70]
	s_delay_alu instid0(VALU_DEP_2) | instskip(NEXT) | instid1(VALU_DEP_2)
	v_add_f64 v[69:70], v[75:76], v[61:62]
	v_add_f64 v[65:66], v[65:66], v[67:68]
	v_cvt_f64_i32_e32 v[67:68], v0
	v_subrev_co_ci_u32_e64 v0, vcc_lo, 0, v79, s0
	v_cmp_eq_f64_e32 vcc_lo, 0x7ff00000, v[57:58]
	s_delay_alu instid0(VALU_DEP_2) | instskip(SKIP_4) | instid1(VALU_DEP_4)
	v_cvt_f64_i32_e32 v[81:82], v0
	v_add_f64 v[71:72], v[69:70], -v[75:76]
	v_mul_f64 v[73:74], v[69:70], s[30:31]
	v_add_f64 v[75:76], v[77:78], v[65:66]
	v_mul_f64 v[79:80], v[67:68], s[34:35]
	v_add_f64 v[61:62], v[61:62], -v[71:72]
	s_delay_alu instid0(VALU_DEP_4) | instskip(NEXT) | instid1(VALU_DEP_4)
	v_fma_f64 v[71:72], v[69:70], s[30:31], -v[73:74]
	v_add_f64 v[77:78], v[75:76], -v[77:78]
	v_mul_f64 v[83:84], v[75:76], s[30:31]
	v_fma_f64 v[85:86], v[67:68], s[34:35], -v[79:80]
	s_delay_alu instid0(VALU_DEP_4)
	v_fma_f64 v[61:62], v[61:62], s[30:31], v[71:72]
	v_mul_f64 v[71:72], v[81:82], s[34:35]
	v_add_f64 v[65:66], v[65:66], -v[77:78]
	v_fma_f64 v[77:78], v[75:76], s[30:31], -v[83:84]
	v_fma_f64 v[67:68], v[67:68], s[46:47], v[85:86]
	v_fma_f64 v[61:62], v[69:70], s[54:55], v[61:62]
	v_fma_f64 v[69:70], v[81:82], s[34:35], -v[71:72]
	s_delay_alu instid0(VALU_DEP_4) | instskip(NEXT) | instid1(VALU_DEP_4)
	v_fma_f64 v[65:66], v[65:66], s[30:31], v[77:78]
	v_add_f64 v[77:78], v[79:80], v[67:68]
	s_delay_alu instid0(VALU_DEP_4) | instskip(NEXT) | instid1(VALU_DEP_4)
	v_add_f64 v[85:86], v[73:74], v[61:62]
	v_fma_f64 v[69:70], v[81:82], s[46:47], v[69:70]
	s_delay_alu instid0(VALU_DEP_4) | instskip(NEXT) | instid1(VALU_DEP_4)
	v_fma_f64 v[65:66], v[75:76], s[54:55], v[65:66]
	v_add_f64 v[79:80], v[77:78], -v[79:80]
	s_delay_alu instid0(VALU_DEP_4) | instskip(NEXT) | instid1(VALU_DEP_4)
	v_add_f64 v[75:76], v[77:78], v[85:86]
	v_add_f64 v[81:82], v[71:72], v[69:70]
	v_add_f64 v[73:74], v[85:86], -v[73:74]
	v_add_f64 v[87:88], v[83:84], v[65:66]
	v_add_f64 v[67:68], v[67:68], -v[79:80]
	v_add_f64 v[89:90], v[75:76], -v[77:78]
	;; [unrolled: 1-line block ×4, first 2 shown]
	v_add_f64 v[91:92], v[81:82], v[87:88]
	s_delay_alu instid0(VALU_DEP_4) | instskip(SKIP_1) | instid1(VALU_DEP_4)
	v_add_f64 v[79:80], v[75:76], -v[89:90]
	v_add_f64 v[85:86], v[85:86], -v[89:90]
	v_add_f64 v[89:90], v[67:68], v[61:62]
	v_add_f64 v[69:70], v[69:70], -v[71:72]
	v_add_f64 v[73:74], v[91:92], -v[81:82]
	;; [unrolled: 1-line block ×4, first 2 shown]
	s_delay_alu instid0(VALU_DEP_3) | instskip(SKIP_1) | instid1(VALU_DEP_4)
	v_add_f64 v[83:84], v[91:92], -v[73:74]
	v_add_f64 v[71:72], v[87:88], -v[73:74]
	v_add_f64 v[77:78], v[85:86], v[77:78]
	s_delay_alu instid0(VALU_DEP_4) | instskip(SKIP_2) | instid1(VALU_DEP_4)
	v_add_f64 v[65:66], v[65:66], -v[79:80]
	v_add_f64 v[79:80], v[89:90], -v[67:68]
	;; [unrolled: 1-line block ×3, first 2 shown]
	v_add_f64 v[77:78], v[89:90], v[77:78]
	s_delay_alu instid0(VALU_DEP_4) | instskip(NEXT) | instid1(VALU_DEP_4)
	v_add_f64 v[81:82], v[69:70], v[65:66]
	v_add_f64 v[61:62], v[61:62], -v[79:80]
	s_delay_alu instid0(VALU_DEP_4) | instskip(SKIP_3) | instid1(VALU_DEP_4)
	v_add_f64 v[71:72], v[71:72], v[73:74]
	v_add_f64 v[73:74], v[89:90], -v[79:80]
	v_add_f64 v[83:84], v[75:76], v[77:78]
	v_add_f64 v[85:86], v[81:82], -v[69:70]
	v_add_f64 v[71:72], v[81:82], v[71:72]
	s_delay_alu instid0(VALU_DEP_4) | instskip(NEXT) | instid1(VALU_DEP_4)
	v_add_f64 v[67:68], v[67:68], -v[73:74]
	v_add_f64 v[73:74], v[83:84], -v[75:76]
	s_delay_alu instid0(VALU_DEP_4)
	v_add_f64 v[75:76], v[81:82], -v[85:86]
	v_add_f64 v[65:66], v[65:66], -v[85:86]
	v_add_f64 v[79:80], v[91:92], v[71:72]
	v_add_f64 v[61:62], v[61:62], v[67:68]
	v_add_f64 v[67:68], v[77:78], -v[73:74]
	v_add_f64 v[69:70], v[69:70], -v[75:76]
	s_delay_alu instid0(VALU_DEP_4) | instskip(NEXT) | instid1(VALU_DEP_3)
	v_add_f64 v[73:74], v[79:80], -v[91:92]
	v_add_f64 v[61:62], v[61:62], v[67:68]
	s_delay_alu instid0(VALU_DEP_3) | instskip(NEXT) | instid1(VALU_DEP_3)
	v_add_f64 v[65:66], v[65:66], v[69:70]
	v_add_f64 v[67:68], v[71:72], -v[73:74]
	s_delay_alu instid0(VALU_DEP_3) | instskip(NEXT) | instid1(VALU_DEP_2)
	v_add_f64 v[61:62], v[83:84], v[61:62]
	v_add_f64 v[65:66], v[65:66], v[67:68]
	s_delay_alu instid0(VALU_DEP_2) | instskip(SKIP_1) | instid1(VALU_DEP_3)
	v_dual_cndmask_b32 v58, v62, v58 :: v_dual_cndmask_b32 v57, v61, v57
	v_cmp_eq_f64_e32 vcc_lo, 0x7ff00000, v[63:64]
	v_add_f64 v[61:62], v[79:80], v[65:66]
	s_delay_alu instid0(VALU_DEP_3) | instskip(NEXT) | instid1(VALU_DEP_2)
	v_fma_f64 v[65:66], v[57:58], s[68:69], s[62:63]
	v_dual_cndmask_b32 v62, v62, v64 :: v_dual_cndmask_b32 v61, v61, v63
	v_fma_f64 v[63:64], v[57:58], s[70:71], 0x3fe80000
	v_div_scale_f64 v[75:76], vcc_lo, 1.0, v[43:44], 1.0
	s_delay_alu instid0(VALU_DEP_3) | instskip(NEXT) | instid1(VALU_DEP_1)
	v_add_f64 v[61:62], v[61:62], -v[65:66]
	v_fma_f64 v[55:56], v[61:62], s[72:73], v[63:64]
	v_div_scale_f64 v[63:64], null, v[43:44], v[43:44], 1.0
	s_delay_alu instid0(VALU_DEP_2) | instskip(NEXT) | instid1(VALU_DEP_2)
	v_div_scale_f64 v[65:66], null, v[55:56], v[55:56], 1.0
	v_rcp_f64_e32 v[67:68], v[63:64]
	s_delay_alu instid0(VALU_DEP_1) | instskip(SKIP_3) | instid1(VALU_DEP_2)
	v_rcp_f64_e32 v[69:70], v[65:66]
	s_waitcnt_depctr 0xfff
	v_fma_f64 v[71:72], -v[63:64], v[67:68], 1.0
	v_fma_f64 v[73:74], -v[65:66], v[69:70], 1.0
	v_fma_f64 v[67:68], v[67:68], v[71:72], v[67:68]
	s_delay_alu instid0(VALU_DEP_2) | instskip(NEXT) | instid1(VALU_DEP_2)
	v_fma_f64 v[69:70], v[69:70], v[73:74], v[69:70]
	v_fma_f64 v[71:72], -v[63:64], v[67:68], 1.0
	s_delay_alu instid0(VALU_DEP_2) | instskip(NEXT) | instid1(VALU_DEP_2)
	v_fma_f64 v[73:74], -v[65:66], v[69:70], 1.0
	v_fma_f64 v[67:68], v[67:68], v[71:72], v[67:68]
	v_div_scale_f64 v[71:72], s0, 1.0, v[55:56], 1.0
	s_delay_alu instid0(VALU_DEP_3) | instskip(NEXT) | instid1(VALU_DEP_3)
	v_fma_f64 v[69:70], v[69:70], v[73:74], v[69:70]
	v_mul_f64 v[73:74], v[75:76], v[67:68]
	s_delay_alu instid0(VALU_DEP_2) | instskip(NEXT) | instid1(VALU_DEP_2)
	v_mul_f64 v[77:78], v[71:72], v[69:70]
	v_fma_f64 v[63:64], -v[63:64], v[73:74], v[75:76]
	s_delay_alu instid0(VALU_DEP_2) | instskip(NEXT) | instid1(VALU_DEP_2)
	v_fma_f64 v[65:66], -v[65:66], v[77:78], v[71:72]
	v_div_fmas_f64 v[63:64], v[63:64], v[67:68], v[73:74]
	s_mov_b32 vcc_lo, s0
	s_delay_alu instid0(VALU_DEP_2) | instskip(NEXT) | instid1(VALU_DEP_2)
	v_div_fmas_f64 v[65:66], v[65:66], v[69:70], v[77:78]
	v_div_fixup_f64 v[43:44], v[63:64], v[43:44], 1.0
	v_mul_f64 v[63:64], 0xc0b06800, v[19:20]
	s_delay_alu instid0(VALU_DEP_3) | instskip(NEXT) | instid1(VALU_DEP_3)
	v_div_fixup_f64 v[55:56], v[65:66], v[55:56], 1.0
	v_mul_f64 v[43:44], v[59:60], v[43:44]
	v_mul_f64 v[59:60], v[9:10], s[2:3]
	s_delay_alu instid0(VALU_DEP_4) | instskip(SKIP_2) | instid1(VALU_DEP_1)
	v_cmp_nlt_f64_e64 s2, 0x40900000, v[63:64]
	v_cmp_ngt_f64_e64 s3, 0xc090cc00, v[63:64]
	v_mul_f64 v[55:56], v[61:62], v[55:56]
	v_fma_f64 v[55:56], v[55:56], v[55:56], 1.0
	s_delay_alu instid0(VALU_DEP_1) | instskip(SKIP_1) | instid1(VALU_DEP_2)
	v_div_scale_f64 v[61:62], null, v[55:56], v[55:56], 1.0
	v_div_scale_f64 v[69:70], vcc_lo, 1.0, v[55:56], 1.0
	v_rcp_f64_e32 v[65:66], v[61:62]
	s_waitcnt_depctr 0xfff
	v_fma_f64 v[67:68], -v[61:62], v[65:66], 1.0
	s_delay_alu instid0(VALU_DEP_1) | instskip(NEXT) | instid1(VALU_DEP_1)
	v_fma_f64 v[65:66], v[65:66], v[67:68], v[65:66]
	v_fma_f64 v[67:68], -v[61:62], v[65:66], 1.0
	s_delay_alu instid0(VALU_DEP_1) | instskip(NEXT) | instid1(VALU_DEP_1)
	v_fma_f64 v[65:66], v[65:66], v[67:68], v[65:66]
	v_mul_f64 v[67:68], v[69:70], v[65:66]
	s_delay_alu instid0(VALU_DEP_1) | instskip(NEXT) | instid1(VALU_DEP_1)
	v_fma_f64 v[61:62], -v[61:62], v[67:68], v[69:70]
	v_div_fmas_f64 v[61:62], v[61:62], v[65:66], v[67:68]
	s_delay_alu instid0(VALU_DEP_1) | instskip(NEXT) | instid1(VALU_DEP_1)
	v_div_fixup_f64 v[55:56], v[61:62], v[55:56], 1.0
	v_mul_f64 v[55:56], v[57:58], v[55:56]
	s_delay_alu instid0(VALU_DEP_1) | instskip(SKIP_2) | instid1(VALU_DEP_3)
	v_mul_f64 v[57:58], v[55:56], s[38:39]
	v_cmp_nlt_f64_e32 vcc_lo, 0x40900000, v[55:56]
	v_cmp_ngt_f64_e64 s0, 0xc090cc00, v[55:56]
	v_rndne_f64_e32 v[57:58], v[57:58]
	s_delay_alu instid0(VALU_DEP_1) | instskip(SKIP_1) | instid1(VALU_DEP_2)
	v_fma_f64 v[61:62], v[57:58], s[56:57], v[55:56]
	v_cvt_i32_f64_e32 v0, v[57:58]
	v_fma_f64 v[61:62], v[57:58], s[50:51], v[61:62]
	s_delay_alu instid0(VALU_DEP_1) | instskip(NEXT) | instid1(VALU_DEP_1)
	v_mul_f64 v[65:66], v[61:62], s[64:65]
	v_fma_f64 v[61:62], v[61:62], s[66:67], v[65:66]
	s_delay_alu instid0(VALU_DEP_1) | instskip(NEXT) | instid1(VALU_DEP_1)
	v_fma_f64 v[65:66], v[61:62], s[18:19], s[14:15]
	v_fma_f64 v[65:66], v[61:62], v[65:66], s[20:21]
	s_delay_alu instid0(VALU_DEP_1) | instskip(NEXT) | instid1(VALU_DEP_1)
	v_fma_f64 v[65:66], v[61:62], v[65:66], s[22:23]
	;; [unrolled: 3-line block ×5, first 2 shown]
	v_fma_f64 v[65:66], v[61:62], v[65:66], 1.0
	s_delay_alu instid0(VALU_DEP_1) | instskip(NEXT) | instid1(VALU_DEP_1)
	v_fma_f64 v[57:58], v[61:62], v[65:66], 1.0
	v_ldexp_f64 v[57:58], v[57:58], v0
	s_delay_alu instid0(VALU_DEP_1) | instskip(SKIP_1) | instid1(VALU_DEP_2)
	v_cndmask_b32_e32 v0, 0x7ff00000, v58, vcc_lo
	s_and_b32 vcc_lo, s0, vcc_lo
	v_cndmask_b32_e32 v55, 0, v57, vcc_lo
	v_mad_u64_u32 v[57:58], null, s33, 15, v[1:2]
	s_delay_alu instid0(VALU_DEP_3) | instskip(SKIP_3) | instid1(VALU_DEP_2)
	v_cndmask_b32_e64 v56, 0, v0, s0
	v_mov_b32_e32 v58, v2
	s_mov_b32 s0, 0x374bc6a8
	s_mov_b32 s1, 0x3fe84189
	v_mul_f64 v[43:44], v[43:44], v[55:56]
	v_mul_f64 v[55:56], v[59:60], s[76:77]
	s_delay_alu instid0(VALU_DEP_2) | instskip(SKIP_1) | instid1(VALU_DEP_3)
	v_mul_f64 v[61:62], v[51:52], v[43:44]
	v_lshlrev_b64 v[51:52], 3, v[57:58]
	v_rndne_f64_e32 v[65:66], v[55:56]
	s_delay_alu instid0(VALU_DEP_2) | instskip(NEXT) | instid1(VALU_DEP_3)
	v_add_co_u32 v55, vcc_lo, s8, v51
	v_add_co_ci_u32_e32 v56, vcc_lo, s9, v52, vcc_lo
	v_add_co_u32 v37, vcc_lo, s12, v37
	v_add_co_ci_u32_e32 v38, vcc_lo, s13, v38, vcc_lo
	global_load_b64 v[37:38], v[37:38], off
	global_store_b64 v[53:54], v[61:62], off
	global_load_b64 v[0:1], v[55:56], off
	v_mul_f64 v[53:54], v[63:64], s[76:77]
	v_fma_f64 v[61:62], v[65:66], s[78:79], v[59:60]
	v_cvt_i32_f64_e32 v58, v[65:66]
	s_delay_alu instid0(VALU_DEP_3) | instskip(NEXT) | instid1(VALU_DEP_3)
	v_rndne_f64_e32 v[53:54], v[53:54]
	v_fma_f64 v[61:62], v[65:66], s[74:75], v[61:62]
	s_delay_alu instid0(VALU_DEP_2) | instskip(NEXT) | instid1(VALU_DEP_2)
	v_fma_f64 v[67:68], v[53:54], s[78:79], v[63:64]
	v_fma_f64 v[69:70], v[61:62], s[18:19], s[14:15]
	s_delay_alu instid0(VALU_DEP_2) | instskip(NEXT) | instid1(VALU_DEP_2)
	v_fma_f64 v[67:68], v[53:54], s[74:75], v[67:68]
	;; [unrolled: 3-line block ×7, first 2 shown]
	v_fma_f64 v[69:70], v[61:62], v[69:70], s[4:5]
	s_waitcnt vmcnt(0)
	v_div_scale_f64 v[73:74], null, v[0:1], v[0:1], 1.0
	s_delay_alu instid0(VALU_DEP_3) | instskip(NEXT) | instid1(VALU_DEP_3)
	v_fma_f64 v[71:72], v[67:68], v[71:72], s[28:29]
	v_fma_f64 v[69:70], v[61:62], v[69:70], s[6:7]
	s_delay_alu instid0(VALU_DEP_3) | instskip(NEXT) | instid1(VALU_DEP_2)
	v_rcp_f64_e32 v[75:76], v[73:74]
	v_fma_f64 v[71:72], v[67:68], v[71:72], s[4:5]
	s_delay_alu instid0(VALU_DEP_2) | instskip(SKIP_4) | instid1(VALU_DEP_3)
	v_fma_f64 v[69:70], v[61:62], v[69:70], s[16:17]
	s_waitcnt_depctr 0xfff
	v_fma_f64 v[77:78], -v[73:74], v[75:76], 1.0
	v_fma_f64 v[71:72], v[67:68], v[71:72], s[6:7]
	v_fma_f64 v[69:70], v[61:62], v[69:70], 1.0
	v_fma_f64 v[75:76], v[75:76], v[77:78], v[75:76]
	s_delay_alu instid0(VALU_DEP_3) | instskip(NEXT) | instid1(VALU_DEP_3)
	v_fma_f64 v[71:72], v[67:68], v[71:72], s[16:17]
	v_fma_f64 v[61:62], v[61:62], v[69:70], 1.0
	s_delay_alu instid0(VALU_DEP_3) | instskip(NEXT) | instid1(VALU_DEP_3)
	v_fma_f64 v[65:66], -v[73:74], v[75:76], 1.0
	v_fma_f64 v[69:70], v[67:68], v[71:72], 1.0
	v_div_scale_f64 v[71:72], vcc_lo, 1.0, v[0:1], 1.0
	s_delay_alu instid0(VALU_DEP_4) | instskip(SKIP_3) | instid1(VALU_DEP_4)
	v_ldexp_f64 v[61:62], v[61:62], v58
	v_cvt_i32_f64_e32 v58, v[53:54]
	v_fma_f64 v[65:66], v[75:76], v[65:66], v[75:76]
	v_fma_f64 v[53:54], v[67:68], v[69:70], 1.0
	v_mul_f64 v[61:62], v[61:62], s[0:1]
	v_cmp_nlt_f64_e64 s0, 0x40900000, v[59:60]
	v_cmp_ngt_f64_e64 s1, 0xc090cc00, v[59:60]
	v_mul_f64 v[67:68], v[71:72], v[65:66]
	v_ldexp_f64 v[53:54], v[53:54], v58
	s_delay_alu instid0(VALU_DEP_4) | instskip(NEXT) | instid1(VALU_DEP_4)
	v_cndmask_b32_e64 v62, 0x7ff00000, v62, s0
	s_and_b32 s0, s1, s0
	s_delay_alu instid0(SALU_CYCLE_1) | instskip(NEXT) | instid1(VALU_DEP_2)
	v_cndmask_b32_e64 v61, 0, v61, s0
	v_cndmask_b32_e64 v62, 0, v62, s1
	s_mov_b32 s0, 0x22d0e560
	s_mov_b32 s1, 0x3fcef9db
	s_delay_alu instid0(VALU_DEP_1) | instid1(SALU_CYCLE_1)
	v_fma_f64 v[45:46], v[45:46], s[0:1], v[61:62]
	v_mov_b32_e32 v62, v2
	v_fma_f64 v[58:59], -v[73:74], v[67:68], v[71:72]
	v_cndmask_b32_e64 v54, 0x7ff00000, v54, s2
	s_delay_alu instid0(VALU_DEP_1) | instskip(NEXT) | instid1(VALU_DEP_3)
	v_cndmask_b32_e64 v54, 0, v54, s3
	v_div_fmas_f64 v[58:59], v[58:59], v[65:66], v[67:68]
	s_and_b32 vcc_lo, s3, s2
	v_dual_mov_b32 v68, v2 :: v_dual_cndmask_b32 v53, 0, v53
	s_mov_b32 s2, 0x14c1bad0
	s_mov_b32 s3, 0xbf8bacf9
	s_delay_alu instid0(VALU_DEP_1) | instskip(NEXT) | instid1(VALU_DEP_3)
	v_add_f64 v[45:46], v[53:54], v[45:46]
	v_div_fixup_f64 v[53:54], v[58:59], v[0:1], 1.0
	s_delay_alu instid0(VALU_DEP_2) | instskip(NEXT) | instid1(VALU_DEP_2)
	v_max_f64 v[45:46], 0x38100000, v[45:46]
	v_mul_f64 v[53:54], v[7:8], v[53:54]
	s_delay_alu instid0(VALU_DEP_2) | instskip(NEXT) | instid1(VALU_DEP_2)
	v_frexp_mant_f64_e32 v[58:59], v[45:46]
	v_mul_f64 v[60:61], v[37:38], v[53:54]
	v_fma_f64 v[37:38], v[37:38], v[53:54], 1.0
	s_delay_alu instid0(VALU_DEP_3) | instskip(NEXT) | instid1(VALU_DEP_3)
	v_cmp_gt_f64_e32 vcc_lo, s[58:59], v[58:59]
	v_max_f64 v[64:65], 0x38100000, v[60:61]
	v_cndmask_b32_e64 v63, 0x3ff00000, 2.0, vcc_lo
	s_delay_alu instid0(VALU_DEP_1) | instskip(NEXT) | instid1(VALU_DEP_3)
	v_mul_f64 v[58:59], v[58:59], v[62:63]
	v_frexp_mant_f64_e32 v[62:63], v[64:65]
	s_delay_alu instid0(VALU_DEP_2) | instskip(SKIP_1) | instid1(VALU_DEP_3)
	v_add_f64 v[66:67], v[58:59], 1.0
	v_add_f64 v[78:79], v[58:59], -1.0
	v_cmp_gt_f64_e64 s0, s[58:59], v[62:63]
	s_delay_alu instid0(VALU_DEP_3) | instskip(SKIP_1) | instid1(VALU_DEP_2)
	v_rcp_f64_e32 v[70:71], v[66:67]
	v_add_f64 v[80:81], v[66:67], -1.0
	v_cndmask_b32_e64 v69, 0x3ff00000, 2.0, s0
	s_delay_alu instid0(VALU_DEP_1) | instskip(NEXT) | instid1(VALU_DEP_3)
	v_mul_f64 v[62:63], v[62:63], v[68:69]
	v_add_f64 v[58:59], v[58:59], -v[80:81]
	s_waitcnt_depctr 0xfff
	v_fma_f64 v[68:69], -v[66:67], v[70:71], 1.0
	v_add_f64 v[72:73], v[62:63], 1.0
	v_add_f64 v[84:85], v[62:63], -1.0
	s_delay_alu instid0(VALU_DEP_3) | instskip(NEXT) | instid1(VALU_DEP_3)
	v_fma_f64 v[68:69], v[68:69], v[70:71], v[70:71]
	v_rcp_f64_e32 v[70:71], v[72:73]
	s_delay_alu instid0(VALU_DEP_1) | instskip(SKIP_3) | instid1(VALU_DEP_2)
	v_fma_f64 v[74:75], -v[66:67], v[68:69], 1.0
	s_waitcnt_depctr 0xfff
	v_fma_f64 v[76:77], -v[72:73], v[70:71], 1.0
	v_fma_f64 v[68:69], v[74:75], v[68:69], v[68:69]
	v_fma_f64 v[70:71], v[76:77], v[70:71], v[70:71]
	s_delay_alu instid0(VALU_DEP_2) | instskip(NEXT) | instid1(VALU_DEP_2)
	v_mul_f64 v[74:75], v[78:79], v[68:69]
	v_fma_f64 v[76:77], -v[72:73], v[70:71], 1.0
	s_delay_alu instid0(VALU_DEP_2) | instskip(NEXT) | instid1(VALU_DEP_2)
	v_mul_f64 v[82:83], v[66:67], v[74:75]
	v_fma_f64 v[70:71], v[76:77], v[70:71], v[70:71]
	s_delay_alu instid0(VALU_DEP_2) | instskip(NEXT) | instid1(VALU_DEP_2)
	v_fma_f64 v[66:67], v[74:75], v[66:67], -v[82:83]
	v_mul_f64 v[76:77], v[84:85], v[70:71]
	s_delay_alu instid0(VALU_DEP_2) | instskip(SKIP_1) | instid1(VALU_DEP_3)
	v_fma_f64 v[58:59], v[74:75], v[58:59], v[66:67]
	v_add_f64 v[66:67], v[72:73], -1.0
	v_mul_f64 v[80:81], v[72:73], v[76:77]
	s_delay_alu instid0(VALU_DEP_3) | instskip(NEXT) | instid1(VALU_DEP_3)
	v_add_f64 v[86:87], v[82:83], v[58:59]
	v_add_f64 v[62:63], v[62:63], -v[66:67]
	s_delay_alu instid0(VALU_DEP_3) | instskip(NEXT) | instid1(VALU_DEP_3)
	v_fma_f64 v[66:67], v[76:77], v[72:73], -v[80:81]
	v_add_f64 v[72:73], v[78:79], -v[86:87]
	s_delay_alu instid0(VALU_DEP_2) | instskip(SKIP_1) | instid1(VALU_DEP_3)
	v_fma_f64 v[62:63], v[76:77], v[62:63], v[66:67]
	v_add_f64 v[66:67], v[86:87], -v[82:83]
	v_add_f64 v[78:79], v[78:79], -v[72:73]
	s_delay_alu instid0(VALU_DEP_3) | instskip(NEXT) | instid1(VALU_DEP_3)
	v_add_f64 v[82:83], v[80:81], v[62:63]
	v_add_f64 v[58:59], v[66:67], -v[58:59]
	s_delay_alu instid0(VALU_DEP_3) | instskip(NEXT) | instid1(VALU_DEP_3)
	v_add_f64 v[66:67], v[78:79], -v[86:87]
	v_add_f64 v[78:79], v[84:85], -v[82:83]
	s_delay_alu instid0(VALU_DEP_2) | instskip(SKIP_1) | instid1(VALU_DEP_3)
	v_add_f64 v[58:59], v[58:59], v[66:67]
	v_add_f64 v[66:67], v[82:83], -v[80:81]
	v_add_f64 v[80:81], v[84:85], -v[78:79]
	s_delay_alu instid0(VALU_DEP_3) | instskip(NEXT) | instid1(VALU_DEP_3)
	v_add_f64 v[58:59], v[72:73], v[58:59]
	v_add_f64 v[62:63], v[66:67], -v[62:63]
	s_delay_alu instid0(VALU_DEP_3) | instskip(NEXT) | instid1(VALU_DEP_3)
	v_add_f64 v[66:67], v[80:81], -v[82:83]
	v_mul_f64 v[58:59], v[68:69], v[58:59]
	s_delay_alu instid0(VALU_DEP_2) | instskip(NEXT) | instid1(VALU_DEP_2)
	v_add_f64 v[62:63], v[62:63], v[66:67]
	v_add_f64 v[66:67], v[74:75], v[58:59]
	s_delay_alu instid0(VALU_DEP_2) | instskip(NEXT) | instid1(VALU_DEP_2)
	v_add_f64 v[62:63], v[78:79], v[62:63]
	v_mul_f64 v[68:69], v[66:67], v[66:67]
	s_delay_alu instid0(VALU_DEP_2) | instskip(NEXT) | instid1(VALU_DEP_2)
	v_mul_f64 v[62:63], v[70:71], v[62:63]
	v_fma_f64 v[70:71], v[68:69], s[42:43], s[36:37]
	v_mul_f64 v[82:83], v[66:67], v[68:69]
	s_delay_alu instid0(VALU_DEP_3) | instskip(NEXT) | instid1(VALU_DEP_3)
	v_add_f64 v[72:73], v[76:77], v[62:63]
	v_fma_f64 v[70:71], v[68:69], v[70:71], s[48:49]
	s_delay_alu instid0(VALU_DEP_2) | instskip(NEXT) | instid1(VALU_DEP_2)
	v_mul_f64 v[78:79], v[72:73], v[72:73]
	v_fma_f64 v[70:71], v[68:69], v[70:71], s[52:53]
	s_delay_alu instid0(VALU_DEP_2) | instskip(NEXT) | instid1(VALU_DEP_2)
	v_fma_f64 v[80:81], v[78:79], s[42:43], s[36:37]
	v_fma_f64 v[70:71], v[68:69], v[70:71], s[60:61]
	s_delay_alu instid0(VALU_DEP_2) | instskip(NEXT) | instid1(VALU_DEP_2)
	v_fma_f64 v[80:81], v[78:79], v[80:81], s[48:49]
	;; [unrolled: 3-line block ×3, first 2 shown]
	v_fma_f64 v[68:69], v[68:69], v[70:71], s[40:41]
	s_delay_alu instid0(VALU_DEP_2) | instskip(SKIP_2) | instid1(VALU_DEP_4)
	v_fma_f64 v[70:71], v[78:79], v[80:81], s[60:61]
	v_ldexp_f64 v[80:81], v[66:67], 1
	v_add_f64 v[66:67], v[66:67], -v[74:75]
	v_mul_f64 v[68:69], v[82:83], v[68:69]
	v_mul_f64 v[82:83], v[72:73], v[78:79]
	v_fma_f64 v[70:71], v[78:79], v[70:71], s[44:45]
	s_delay_alu instid0(VALU_DEP_4) | instskip(NEXT) | instid1(VALU_DEP_4)
	v_add_f64 v[58:59], v[58:59], -v[66:67]
	v_add_f64 v[74:75], v[80:81], v[68:69]
	s_delay_alu instid0(VALU_DEP_3) | instskip(SKIP_1) | instid1(VALU_DEP_4)
	v_fma_f64 v[70:71], v[78:79], v[70:71], s[40:41]
	v_ldexp_f64 v[78:79], v[72:73], 1
	v_ldexp_f64 v[58:59], v[58:59], 1
	s_delay_alu instid0(VALU_DEP_4) | instskip(SKIP_2) | instid1(VALU_DEP_3)
	v_add_f64 v[66:67], v[74:75], -v[80:81]
	v_frexp_exp_i32_f64_e32 v80, v[64:65]
	v_mul_f64 v[70:71], v[82:83], v[70:71]
	v_add_f64 v[66:67], v[68:69], -v[66:67]
	v_add_f64 v[68:69], v[72:73], -v[76:77]
	v_frexp_exp_i32_f64_e32 v76, v[45:46]
	s_delay_alu instid0(VALU_DEP_4) | instskip(NEXT) | instid1(VALU_DEP_4)
	v_add_f64 v[72:73], v[78:79], v[70:71]
	v_add_f64 v[58:59], v[58:59], v[66:67]
	s_delay_alu instid0(VALU_DEP_4) | instskip(NEXT) | instid1(VALU_DEP_3)
	v_add_f64 v[62:63], v[62:63], -v[68:69]
	v_add_f64 v[66:67], v[72:73], -v[78:79]
	s_delay_alu instid0(VALU_DEP_3) | instskip(NEXT) | instid1(VALU_DEP_3)
	v_add_f64 v[68:69], v[74:75], v[58:59]
	v_ldexp_f64 v[62:63], v[62:63], 1
	s_delay_alu instid0(VALU_DEP_3) | instskip(SKIP_3) | instid1(VALU_DEP_3)
	v_add_f64 v[66:67], v[70:71], -v[66:67]
	v_subrev_co_ci_u32_e32 v70, vcc_lo, 0, v76, vcc_lo
	v_subrev_co_ci_u32_e64 v82, vcc_lo, 0, v80, s0
	v_cmp_eq_f64_e32 vcc_lo, 0x7ff00000, v[45:46]
	v_cvt_f64_i32_e32 v[70:71], v70
	v_add_f64 v[74:75], v[68:69], -v[74:75]
	v_mul_f64 v[76:77], v[68:69], s[30:31]
	v_add_f64 v[62:63], v[62:63], v[66:67]
	s_delay_alu instid0(VALU_DEP_4) | instskip(NEXT) | instid1(VALU_DEP_4)
	v_mul_f64 v[66:67], v[70:71], s[34:35]
	v_add_f64 v[58:59], v[58:59], -v[74:75]
	s_delay_alu instid0(VALU_DEP_4) | instskip(NEXT) | instid1(VALU_DEP_4)
	v_fma_f64 v[74:75], v[68:69], s[30:31], -v[76:77]
	v_add_f64 v[78:79], v[72:73], v[62:63]
	s_delay_alu instid0(VALU_DEP_4) | instskip(NEXT) | instid1(VALU_DEP_3)
	v_fma_f64 v[80:81], v[70:71], s[34:35], -v[66:67]
	v_fma_f64 v[58:59], v[58:59], s[30:31], v[74:75]
	v_cvt_f64_i32_e32 v[74:75], v82
	s_delay_alu instid0(VALU_DEP_4)
	v_add_f64 v[72:73], v[78:79], -v[72:73]
	v_mul_f64 v[82:83], v[78:79], s[30:31]
	v_fma_f64 v[70:71], v[70:71], s[46:47], v[80:81]
	v_fma_f64 v[58:59], v[68:69], s[54:55], v[58:59]
	v_mul_f64 v[68:69], v[74:75], s[34:35]
	v_add_f64 v[62:63], v[62:63], -v[72:73]
	v_fma_f64 v[72:73], v[78:79], s[30:31], -v[82:83]
	v_add_f64 v[80:81], v[66:67], v[70:71]
	v_add_f64 v[84:85], v[76:77], v[58:59]
	v_fma_f64 v[86:87], v[74:75], s[34:35], -v[68:69]
	s_delay_alu instid0(VALU_DEP_4) | instskip(NEXT) | instid1(VALU_DEP_4)
	v_fma_f64 v[62:63], v[62:63], s[30:31], v[72:73]
	v_add_f64 v[66:67], v[80:81], -v[66:67]
	s_delay_alu instid0(VALU_DEP_4) | instskip(NEXT) | instid1(VALU_DEP_4)
	v_add_f64 v[72:73], v[80:81], v[84:85]
	v_fma_f64 v[74:75], v[74:75], s[46:47], v[86:87]
	s_delay_alu instid0(VALU_DEP_4) | instskip(NEXT) | instid1(VALU_DEP_4)
	v_fma_f64 v[62:63], v[78:79], s[54:55], v[62:63]
	v_add_f64 v[66:67], v[70:71], -v[66:67]
	v_add_f64 v[70:71], v[84:85], -v[76:77]
	;; [unrolled: 1-line block ×3, first 2 shown]
	v_add_f64 v[86:87], v[68:69], v[74:75]
	v_add_f64 v[88:89], v[82:83], v[62:63]
	s_delay_alu instid0(VALU_DEP_4) | instskip(NEXT) | instid1(VALU_DEP_4)
	v_add_f64 v[58:59], v[58:59], -v[70:71]
	v_add_f64 v[76:77], v[72:73], -v[78:79]
	v_add_f64 v[78:79], v[84:85], -v[78:79]
	v_add_f64 v[68:69], v[86:87], -v[68:69]
	v_add_f64 v[84:85], v[86:87], v[88:89]
	v_add_f64 v[70:71], v[88:89], -v[82:83]
	v_add_f64 v[76:77], v[80:81], -v[76:77]
	s_delay_alu instid0(VALU_DEP_4) | instskip(NEXT) | instid1(VALU_DEP_4)
	v_add_f64 v[68:69], v[74:75], -v[68:69]
	v_add_f64 v[80:81], v[84:85], -v[86:87]
	s_delay_alu instid0(VALU_DEP_4) | instskip(NEXT) | instid1(VALU_DEP_4)
	v_add_f64 v[62:63], v[62:63], -v[70:71]
	v_add_f64 v[76:77], v[78:79], v[76:77]
	v_add_f64 v[78:79], v[66:67], v[58:59]
	s_delay_alu instid0(VALU_DEP_4) | instskip(SKIP_1) | instid1(VALU_DEP_3)
	v_add_f64 v[82:83], v[84:85], -v[80:81]
	v_add_f64 v[70:71], v[88:89], -v[80:81]
	;; [unrolled: 1-line block ×3, first 2 shown]
	v_add_f64 v[76:77], v[78:79], v[76:77]
	s_delay_alu instid0(VALU_DEP_4) | instskip(SKIP_1) | instid1(VALU_DEP_4)
	v_add_f64 v[74:75], v[86:87], -v[82:83]
	v_add_f64 v[82:83], v[68:69], v[62:63]
	v_add_f64 v[58:59], v[58:59], -v[80:81]
	s_delay_alu instid0(VALU_DEP_3) | instskip(SKIP_3) | instid1(VALU_DEP_4)
	v_add_f64 v[70:71], v[70:71], v[74:75]
	v_add_f64 v[74:75], v[78:79], -v[80:81]
	v_add_f64 v[78:79], v[72:73], v[76:77]
	v_add_f64 v[86:87], v[82:83], -v[68:69]
	v_add_f64 v[70:71], v[82:83], v[70:71]
	s_delay_alu instid0(VALU_DEP_4) | instskip(NEXT) | instid1(VALU_DEP_4)
	v_add_f64 v[66:67], v[66:67], -v[74:75]
	v_add_f64 v[72:73], v[78:79], -v[72:73]
	s_delay_alu instid0(VALU_DEP_4)
	v_add_f64 v[74:75], v[82:83], -v[86:87]
	v_add_f64 v[62:63], v[62:63], -v[86:87]
	v_add_f64 v[80:81], v[84:85], v[70:71]
	v_add_f64 v[58:59], v[58:59], v[66:67]
	v_add_f64 v[66:67], v[76:77], -v[72:73]
	v_add_f64 v[68:69], v[68:69], -v[74:75]
	s_delay_alu instid0(VALU_DEP_4) | instskip(NEXT) | instid1(VALU_DEP_3)
	v_add_f64 v[72:73], v[80:81], -v[84:85]
	v_add_f64 v[58:59], v[58:59], v[66:67]
	s_delay_alu instid0(VALU_DEP_3) | instskip(NEXT) | instid1(VALU_DEP_3)
	v_add_f64 v[62:63], v[62:63], v[68:69]
	v_add_f64 v[66:67], v[70:71], -v[72:73]
	s_delay_alu instid0(VALU_DEP_3) | instskip(NEXT) | instid1(VALU_DEP_2)
	v_add_f64 v[58:59], v[78:79], v[58:59]
	v_add_f64 v[62:63], v[62:63], v[66:67]
	s_delay_alu instid0(VALU_DEP_2) | instskip(SKIP_1) | instid1(VALU_DEP_3)
	v_dual_cndmask_b32 v46, v59, v46 :: v_dual_cndmask_b32 v45, v58, v45
	v_cmp_eq_f64_e32 vcc_lo, 0x7ff00000, v[64:65]
	v_add_f64 v[58:59], v[80:81], v[62:63]
	s_delay_alu instid0(VALU_DEP_3) | instskip(NEXT) | instid1(VALU_DEP_2)
	v_fma_f64 v[62:63], v[45:46], s[68:69], s[62:63]
	v_dual_cndmask_b32 v59, v59, v65 :: v_dual_cndmask_b32 v58, v58, v64
	v_fma_f64 v[64:65], v[45:46], s[70:71], 0x3fe80000
	v_div_scale_f64 v[74:75], vcc_lo, 1.0, v[37:38], 1.0
	s_delay_alu instid0(VALU_DEP_3) | instskip(SKIP_1) | instid1(VALU_DEP_2)
	v_add_f64 v[58:59], v[58:59], -v[62:63]
	v_div_scale_f64 v[62:63], null, v[37:38], v[37:38], 1.0
	v_fma_f64 v[53:54], v[58:59], s[72:73], v[64:65]
	s_delay_alu instid0(VALU_DEP_2) | instskip(NEXT) | instid1(VALU_DEP_1)
	v_rcp_f64_e32 v[66:67], v[62:63]
	v_div_scale_f64 v[64:65], null, v[53:54], v[53:54], 1.0
	s_waitcnt_depctr 0xfff
	v_fma_f64 v[70:71], -v[62:63], v[66:67], 1.0
	v_rcp_f64_e32 v[68:69], v[64:65]
	s_delay_alu instid0(VALU_DEP_1) | instskip(SKIP_3) | instid1(VALU_DEP_2)
	v_fma_f64 v[66:67], v[66:67], v[70:71], v[66:67]
	s_waitcnt_depctr 0xfff
	v_fma_f64 v[72:73], -v[64:65], v[68:69], 1.0
	v_fma_f64 v[70:71], -v[62:63], v[66:67], 1.0
	v_fma_f64 v[68:69], v[68:69], v[72:73], v[68:69]
	s_delay_alu instid0(VALU_DEP_2) | instskip(SKIP_1) | instid1(VALU_DEP_3)
	v_fma_f64 v[66:67], v[66:67], v[70:71], v[66:67]
	v_div_scale_f64 v[70:71], s0, 1.0, v[53:54], 1.0
	v_fma_f64 v[72:73], -v[64:65], v[68:69], 1.0
	s_delay_alu instid0(VALU_DEP_1) | instskip(NEXT) | instid1(VALU_DEP_4)
	v_fma_f64 v[68:69], v[68:69], v[72:73], v[68:69]
	v_mul_f64 v[72:73], v[74:75], v[66:67]
	s_delay_alu instid0(VALU_DEP_2) | instskip(NEXT) | instid1(VALU_DEP_2)
	v_mul_f64 v[76:77], v[70:71], v[68:69]
	v_fma_f64 v[62:63], -v[62:63], v[72:73], v[74:75]
	s_delay_alu instid0(VALU_DEP_2) | instskip(NEXT) | instid1(VALU_DEP_2)
	v_fma_f64 v[64:65], -v[64:65], v[76:77], v[70:71]
	v_div_fmas_f64 v[62:63], v[62:63], v[66:67], v[72:73]
	s_mov_b32 vcc_lo, s0
	s_delay_alu instid0(VALU_DEP_2) | instskip(NEXT) | instid1(VALU_DEP_2)
	v_div_fmas_f64 v[64:65], v[64:65], v[68:69], v[76:77]
	v_div_fixup_f64 v[37:38], v[62:63], v[37:38], 1.0
	s_delay_alu instid0(VALU_DEP_2) | instskip(NEXT) | instid1(VALU_DEP_2)
	v_div_fixup_f64 v[53:54], v[64:65], v[53:54], 1.0
	v_mul_f64 v[37:38], v[60:61], v[37:38]
	s_delay_alu instid0(VALU_DEP_2) | instskip(NEXT) | instid1(VALU_DEP_1)
	v_mul_f64 v[53:54], v[58:59], v[53:54]
	v_fma_f64 v[53:54], v[53:54], v[53:54], 1.0
	s_delay_alu instid0(VALU_DEP_1) | instskip(SKIP_1) | instid1(VALU_DEP_2)
	v_div_scale_f64 v[58:59], null, v[53:54], v[53:54], 1.0
	v_div_scale_f64 v[68:69], vcc_lo, 1.0, v[53:54], 1.0
	v_rcp_f64_e32 v[64:65], v[58:59]
	s_waitcnt_depctr 0xfff
	v_fma_f64 v[66:67], -v[58:59], v[64:65], 1.0
	s_delay_alu instid0(VALU_DEP_1) | instskip(NEXT) | instid1(VALU_DEP_1)
	v_fma_f64 v[64:65], v[64:65], v[66:67], v[64:65]
	v_fma_f64 v[66:67], -v[58:59], v[64:65], 1.0
	s_delay_alu instid0(VALU_DEP_1) | instskip(NEXT) | instid1(VALU_DEP_1)
	v_fma_f64 v[64:65], v[64:65], v[66:67], v[64:65]
	v_mul_f64 v[66:67], v[68:69], v[64:65]
	s_delay_alu instid0(VALU_DEP_1) | instskip(NEXT) | instid1(VALU_DEP_1)
	v_fma_f64 v[58:59], -v[58:59], v[66:67], v[68:69]
	v_div_fmas_f64 v[58:59], v[58:59], v[64:65], v[66:67]
	s_delay_alu instid0(VALU_DEP_1) | instskip(NEXT) | instid1(VALU_DEP_1)
	v_div_fixup_f64 v[53:54], v[58:59], v[53:54], 1.0
	v_mul_f64 v[45:46], v[45:46], v[53:54]
	s_delay_alu instid0(VALU_DEP_1) | instskip(SKIP_2) | instid1(VALU_DEP_3)
	v_mul_f64 v[53:54], v[45:46], s[38:39]
	v_cmp_nlt_f64_e32 vcc_lo, 0x40900000, v[45:46]
	v_cmp_ngt_f64_e64 s0, 0xc090cc00, v[45:46]
	v_rndne_f64_e32 v[53:54], v[53:54]
	s_delay_alu instid0(VALU_DEP_1) | instskip(SKIP_1) | instid1(VALU_DEP_2)
	v_fma_f64 v[58:59], v[53:54], s[56:57], v[45:46]
	v_cvt_i32_f64_e32 v66, v[53:54]
	v_fma_f64 v[58:59], v[53:54], s[50:51], v[58:59]
	s_delay_alu instid0(VALU_DEP_1) | instskip(NEXT) | instid1(VALU_DEP_1)
	v_mul_f64 v[64:65], v[58:59], s[64:65]
	v_fma_f64 v[58:59], v[58:59], s[66:67], v[64:65]
	s_delay_alu instid0(VALU_DEP_1) | instskip(NEXT) | instid1(VALU_DEP_1)
	v_fma_f64 v[64:65], v[58:59], s[18:19], s[14:15]
	v_fma_f64 v[64:65], v[58:59], v[64:65], s[20:21]
	s_delay_alu instid0(VALU_DEP_1) | instskip(NEXT) | instid1(VALU_DEP_1)
	v_fma_f64 v[64:65], v[58:59], v[64:65], s[22:23]
	;; [unrolled: 3-line block ×5, first 2 shown]
	v_fma_f64 v[64:65], v[58:59], v[64:65], 1.0
	s_delay_alu instid0(VALU_DEP_1) | instskip(SKIP_3) | instid1(SALU_CYCLE_1)
	v_fma_f64 v[53:54], v[58:59], v[64:65], 1.0
	v_mul_f64 v[58:59], v[9:10], s[2:3]
	s_mov_b32 s2, 0x80d3b1a9
	s_mov_b32 s3, 0xbf364898
	v_mul_f64 v[60:61], v[9:10], s[2:3]
	s_delay_alu instid0(VALU_DEP_3) | instskip(SKIP_1) | instid1(VALU_DEP_3)
	v_ldexp_f64 v[53:54], v[53:54], v66
	v_mul_f64 v[66:67], 0xc0bb3400, v[19:20]
	v_cmp_nlt_f64_e64 s2, 0x40900000, v[60:61]
	v_cmp_ngt_f64_e64 s3, 0xc090cc00, v[60:61]
	s_delay_alu instid0(VALU_DEP_4) | instskip(SKIP_2) | instid1(VALU_DEP_2)
	v_cndmask_b32_e32 v54, 0x7ff00000, v54, vcc_lo
	s_and_b32 vcc_lo, s0, vcc_lo
	v_cndmask_b32_e32 v45, 0, v53, vcc_lo
	v_cndmask_b32_e64 v46, 0, v54, s0
	v_mul_f64 v[53:54], v[60:61], s[76:77]
	s_mov_b32 s0, 0xef9db22d
	s_mov_b32 s1, 0x3fcbc6a7
	s_delay_alu instid0(VALU_DEP_2) | instskip(SKIP_1) | instid1(VALU_DEP_3)
	v_mul_f64 v[37:38], v[37:38], v[45:46]
	v_mul_f64 v[45:46], v[58:59], s[76:77]
	v_rndne_f64_e32 v[68:69], v[53:54]
	v_mad_u64_u32 v[53:54], null, s33, 7, v[57:58]
	v_mov_b32_e32 v54, v2
	v_mul_f64 v[62:63], v[0:1], v[37:38]
	v_rndne_f64_e32 v[64:65], v[45:46]
	s_delay_alu instid0(VALU_DEP_3) | instskip(NEXT) | instid1(VALU_DEP_1)
	v_lshlrev_b64 v[45:46], 3, v[53:54]
	v_add_co_u32 v0, vcc_lo, s8, v45
	s_delay_alu instid0(VALU_DEP_2)
	v_add_co_ci_u32_e32 v1, vcc_lo, s9, v46, vcc_lo
	v_add_co_u32 v31, vcc_lo, s12, v31
	v_add_co_ci_u32_e32 v32, vcc_lo, s13, v32, vcc_lo
	global_load_b64 v[86:87], v[31:32], off
	v_fma_f64 v[70:71], v[68:69], s[78:79], v[60:61]
	global_store_b64 v[55:56], v[62:63], off
	global_load_b64 v[54:55], v[0:1], off
	v_fma_f64 v[56:57], v[64:65], s[78:79], v[58:59]
	v_mul_f64 v[62:63], v[66:67], s[76:77]
	v_fma_f64 v[70:71], v[68:69], s[74:75], v[70:71]
	s_delay_alu instid0(VALU_DEP_3) | instskip(NEXT) | instid1(VALU_DEP_3)
	v_fma_f64 v[56:57], v[64:65], s[74:75], v[56:57]
	v_rndne_f64_e32 v[62:63], v[62:63]
	s_delay_alu instid0(VALU_DEP_3) | instskip(NEXT) | instid1(VALU_DEP_3)
	v_fma_f64 v[76:77], v[70:71], s[18:19], s[14:15]
	v_fma_f64 v[72:73], v[56:57], s[18:19], s[14:15]
	s_delay_alu instid0(VALU_DEP_3) | instskip(NEXT) | instid1(VALU_DEP_3)
	v_fma_f64 v[74:75], v[62:63], s[78:79], v[66:67]
	v_fma_f64 v[76:77], v[70:71], v[76:77], s[20:21]
	;; [unrolled: 3-line block ×10, first 2 shown]
	s_delay_alu instid0(VALU_DEP_3) | instskip(SKIP_2) | instid1(VALU_DEP_4)
	v_fma_f64 v[78:79], v[74:75], v[78:79], s[26:27]
	s_waitcnt vmcnt(0)
	v_div_scale_f64 v[80:81], null, v[54:55], v[54:55], 1.0
	v_fma_f64 v[76:77], v[70:71], v[76:77], s[6:7]
	s_delay_alu instid0(VALU_DEP_4) | instskip(NEXT) | instid1(VALU_DEP_4)
	v_fma_f64 v[72:73], v[56:57], v[72:73], s[6:7]
	v_fma_f64 v[78:79], v[74:75], v[78:79], s[28:29]
	s_delay_alu instid0(VALU_DEP_4) | instskip(NEXT) | instid1(VALU_DEP_3)
	v_rcp_f64_e32 v[82:83], v[80:81]
	v_fma_f64 v[76:77], v[70:71], v[76:77], s[16:17]
	s_delay_alu instid0(VALU_DEP_3) | instskip(NEXT) | instid1(VALU_DEP_3)
	v_fma_f64 v[72:73], v[56:57], v[72:73], s[16:17]
	v_fma_f64 v[78:79], v[74:75], v[78:79], s[4:5]
	s_waitcnt_depctr 0xfff
	v_fma_f64 v[84:85], -v[80:81], v[82:83], 1.0
	v_fma_f64 v[76:77], v[70:71], v[76:77], 1.0
	v_fma_f64 v[31:32], v[56:57], v[72:73], 1.0
	v_fma_f64 v[72:73], v[74:75], v[78:79], s[6:7]
	s_delay_alu instid0(VALU_DEP_4)
	v_fma_f64 v[78:79], v[82:83], v[84:85], v[82:83]
	v_cvt_i32_f64_e32 v82, v[64:65]
	v_fma_f64 v[64:65], v[70:71], v[76:77], 1.0
	v_div_scale_f64 v[70:71], vcc_lo, 1.0, v[54:55], 1.0
	v_fma_f64 v[31:32], v[56:57], v[31:32], 1.0
	v_fma_f64 v[56:57], v[74:75], v[72:73], s[16:17]
	v_cvt_i32_f64_e32 v72, v[68:69]
	v_fma_f64 v[68:69], -v[80:81], v[78:79], 1.0
	s_delay_alu instid0(VALU_DEP_4) | instskip(NEXT) | instid1(VALU_DEP_4)
	v_ldexp_f64 v[31:32], v[31:32], v82
	v_fma_f64 v[56:57], v[74:75], v[56:57], 1.0
	s_delay_alu instid0(VALU_DEP_4)
	v_ldexp_f64 v[64:65], v[64:65], v72
	v_cvt_i32_f64_e32 v72, v[62:63]
	v_fma_f64 v[68:69], v[78:79], v[68:69], v[78:79]
	v_mul_f64 v[31:32], v[31:32], s[0:1]
	s_mov_b32 s0, 0x4189375
	s_mov_b32 s1, 0x3fe90e56
	v_fma_f64 v[56:57], v[74:75], v[56:57], 1.0
	v_mul_f64 v[62:63], v[64:65], s[0:1]
	v_cmp_nlt_f64_e64 s0, 0x40900000, v[58:59]
	v_cmp_ngt_f64_e64 s1, 0xc090cc00, v[58:59]
	v_mul_f64 v[64:65], v[70:71], v[68:69]
	v_ldexp_f64 v[56:57], v[56:57], v72
	v_cndmask_b32_e64 v63, 0x7ff00000, v63, s2
	v_cndmask_b32_e64 v32, 0x7ff00000, v32, s0
	s_and_b32 s0, s1, s0
	s_and_b32 s2, s3, s2
	v_cndmask_b32_e64 v31, 0, v31, s0
	v_cmp_nlt_f64_e64 s0, 0x40900000, v[66:67]
	v_cndmask_b32_e64 v32, 0, v32, s1
	v_cmp_ngt_f64_e64 s1, 0xc090cc00, v[66:67]
	v_cndmask_b32_e64 v61, 0, v63, s3
	v_cndmask_b32_e64 v60, 0, v62, s2
	v_mov_b32_e32 v62, v2
	v_fma_f64 v[58:59], -v[80:81], v[64:65], v[70:71]
	s_delay_alu instid0(VALU_DEP_3) | instskip(SKIP_1) | instid1(VALU_DEP_1)
	v_add_f64 v[31:32], v[31:32], v[60:61]
	v_cndmask_b32_e64 v63, 0x7ff00000, v57, s0
	v_cndmask_b32_e64 v60, 0, v63, s1
	s_delay_alu instid0(VALU_DEP_4) | instskip(SKIP_2) | instid1(VALU_DEP_1)
	v_div_fmas_f64 v[57:58], v[58:59], v[68:69], v[64:65]
	s_and_b32 vcc_lo, s1, s0
	v_dual_mov_b32 v68, v2 :: v_dual_cndmask_b32 v59, 0, v56
	v_add_f64 v[31:32], v[59:60], v[31:32]
	s_delay_alu instid0(VALU_DEP_3) | instskip(NEXT) | instid1(VALU_DEP_2)
	v_div_fixup_f64 v[56:57], v[57:58], v[54:55], 1.0
	v_max_f64 v[58:59], 0x38100000, v[31:32]
	s_delay_alu instid0(VALU_DEP_2) | instskip(NEXT) | instid1(VALU_DEP_2)
	v_mul_f64 v[56:57], v[7:8], v[56:57]
	v_frexp_mant_f64_e32 v[60:61], v[58:59]
	s_delay_alu instid0(VALU_DEP_2)
	v_mul_f64 v[31:32], v[86:87], v[56:57]
	v_fma_f64 v[56:57], v[86:87], v[56:57], 1.0
	v_mad_u64_u32 v[86:87], null, 0xffffffbb, s33, v[53:54]
	v_mov_b32_e32 v87, v2
	v_cmp_gt_f64_e32 vcc_lo, s[58:59], v[60:61]
	v_max_f64 v[64:65], 0x38100000, v[31:32]
	v_cndmask_b32_e64 v63, 0x3ff00000, 2.0, vcc_lo
	s_delay_alu instid0(VALU_DEP_1) | instskip(NEXT) | instid1(VALU_DEP_3)
	v_mul_f64 v[60:61], v[60:61], v[62:63]
	v_frexp_mant_f64_e32 v[62:63], v[64:65]
	s_delay_alu instid0(VALU_DEP_2) | instskip(SKIP_1) | instid1(VALU_DEP_3)
	v_add_f64 v[66:67], v[60:61], 1.0
	v_add_f64 v[78:79], v[60:61], -1.0
	v_cmp_gt_f64_e64 s0, s[58:59], v[62:63]
	s_delay_alu instid0(VALU_DEP_3) | instskip(SKIP_1) | instid1(VALU_DEP_2)
	v_rcp_f64_e32 v[70:71], v[66:67]
	v_add_f64 v[80:81], v[66:67], -1.0
	v_cndmask_b32_e64 v69, 0x3ff00000, 2.0, s0
	s_delay_alu instid0(VALU_DEP_1) | instskip(NEXT) | instid1(VALU_DEP_3)
	v_mul_f64 v[62:63], v[62:63], v[68:69]
	v_add_f64 v[60:61], v[60:61], -v[80:81]
	s_waitcnt_depctr 0xfff
	v_fma_f64 v[68:69], -v[66:67], v[70:71], 1.0
	v_add_f64 v[72:73], v[62:63], 1.0
	v_add_f64 v[84:85], v[62:63], -1.0
	s_delay_alu instid0(VALU_DEP_3) | instskip(NEXT) | instid1(VALU_DEP_3)
	v_fma_f64 v[68:69], v[68:69], v[70:71], v[70:71]
	v_rcp_f64_e32 v[70:71], v[72:73]
	s_delay_alu instid0(VALU_DEP_1) | instskip(SKIP_3) | instid1(VALU_DEP_2)
	v_fma_f64 v[74:75], -v[66:67], v[68:69], 1.0
	s_waitcnt_depctr 0xfff
	v_fma_f64 v[76:77], -v[72:73], v[70:71], 1.0
	v_fma_f64 v[68:69], v[74:75], v[68:69], v[68:69]
	v_fma_f64 v[70:71], v[76:77], v[70:71], v[70:71]
	s_delay_alu instid0(VALU_DEP_2) | instskip(NEXT) | instid1(VALU_DEP_2)
	v_mul_f64 v[74:75], v[78:79], v[68:69]
	v_fma_f64 v[76:77], -v[72:73], v[70:71], 1.0
	s_delay_alu instid0(VALU_DEP_2) | instskip(NEXT) | instid1(VALU_DEP_2)
	v_mul_f64 v[82:83], v[66:67], v[74:75]
	v_fma_f64 v[70:71], v[76:77], v[70:71], v[70:71]
	s_delay_alu instid0(VALU_DEP_2) | instskip(NEXT) | instid1(VALU_DEP_2)
	v_fma_f64 v[66:67], v[74:75], v[66:67], -v[82:83]
	v_mul_f64 v[76:77], v[84:85], v[70:71]
	s_delay_alu instid0(VALU_DEP_2) | instskip(SKIP_1) | instid1(VALU_DEP_3)
	v_fma_f64 v[60:61], v[74:75], v[60:61], v[66:67]
	v_add_f64 v[66:67], v[72:73], -1.0
	v_mul_f64 v[80:81], v[72:73], v[76:77]
	s_delay_alu instid0(VALU_DEP_3) | instskip(NEXT) | instid1(VALU_DEP_3)
	v_add_f64 v[88:89], v[82:83], v[60:61]
	v_add_f64 v[62:63], v[62:63], -v[66:67]
	s_delay_alu instid0(VALU_DEP_3) | instskip(NEXT) | instid1(VALU_DEP_3)
	v_fma_f64 v[66:67], v[76:77], v[72:73], -v[80:81]
	v_add_f64 v[72:73], v[78:79], -v[88:89]
	s_delay_alu instid0(VALU_DEP_2) | instskip(SKIP_1) | instid1(VALU_DEP_3)
	v_fma_f64 v[62:63], v[76:77], v[62:63], v[66:67]
	v_add_f64 v[66:67], v[88:89], -v[82:83]
	v_add_f64 v[78:79], v[78:79], -v[72:73]
	s_delay_alu instid0(VALU_DEP_3) | instskip(NEXT) | instid1(VALU_DEP_3)
	v_add_f64 v[82:83], v[80:81], v[62:63]
	v_add_f64 v[60:61], v[66:67], -v[60:61]
	s_delay_alu instid0(VALU_DEP_3) | instskip(NEXT) | instid1(VALU_DEP_3)
	v_add_f64 v[66:67], v[78:79], -v[88:89]
	v_add_f64 v[78:79], v[84:85], -v[82:83]
	s_delay_alu instid0(VALU_DEP_2) | instskip(SKIP_1) | instid1(VALU_DEP_3)
	v_add_f64 v[60:61], v[60:61], v[66:67]
	v_add_f64 v[66:67], v[82:83], -v[80:81]
	v_add_f64 v[80:81], v[84:85], -v[78:79]
	s_delay_alu instid0(VALU_DEP_3) | instskip(NEXT) | instid1(VALU_DEP_3)
	v_add_f64 v[60:61], v[72:73], v[60:61]
	v_add_f64 v[62:63], v[66:67], -v[62:63]
	s_delay_alu instid0(VALU_DEP_3) | instskip(NEXT) | instid1(VALU_DEP_3)
	v_add_f64 v[66:67], v[80:81], -v[82:83]
	v_mul_f64 v[60:61], v[68:69], v[60:61]
	s_delay_alu instid0(VALU_DEP_2) | instskip(NEXT) | instid1(VALU_DEP_2)
	v_add_f64 v[62:63], v[62:63], v[66:67]
	v_add_f64 v[66:67], v[74:75], v[60:61]
	s_delay_alu instid0(VALU_DEP_2) | instskip(NEXT) | instid1(VALU_DEP_2)
	v_add_f64 v[62:63], v[78:79], v[62:63]
	v_mul_f64 v[68:69], v[66:67], v[66:67]
	s_delay_alu instid0(VALU_DEP_2) | instskip(NEXT) | instid1(VALU_DEP_2)
	v_mul_f64 v[62:63], v[70:71], v[62:63]
	v_fma_f64 v[70:71], v[68:69], s[42:43], s[36:37]
	v_mul_f64 v[82:83], v[66:67], v[68:69]
	s_delay_alu instid0(VALU_DEP_3) | instskip(NEXT) | instid1(VALU_DEP_3)
	v_add_f64 v[72:73], v[76:77], v[62:63]
	v_fma_f64 v[70:71], v[68:69], v[70:71], s[48:49]
	s_delay_alu instid0(VALU_DEP_2) | instskip(NEXT) | instid1(VALU_DEP_2)
	v_mul_f64 v[78:79], v[72:73], v[72:73]
	v_fma_f64 v[70:71], v[68:69], v[70:71], s[52:53]
	s_delay_alu instid0(VALU_DEP_2) | instskip(NEXT) | instid1(VALU_DEP_2)
	v_fma_f64 v[80:81], v[78:79], s[42:43], s[36:37]
	v_fma_f64 v[70:71], v[68:69], v[70:71], s[60:61]
	s_delay_alu instid0(VALU_DEP_2) | instskip(NEXT) | instid1(VALU_DEP_2)
	v_fma_f64 v[80:81], v[78:79], v[80:81], s[48:49]
	;; [unrolled: 3-line block ×3, first 2 shown]
	v_fma_f64 v[68:69], v[68:69], v[70:71], s[40:41]
	s_delay_alu instid0(VALU_DEP_2) | instskip(SKIP_2) | instid1(VALU_DEP_4)
	v_fma_f64 v[70:71], v[78:79], v[80:81], s[60:61]
	v_ldexp_f64 v[80:81], v[66:67], 1
	v_add_f64 v[66:67], v[66:67], -v[74:75]
	v_mul_f64 v[68:69], v[82:83], v[68:69]
	v_mul_f64 v[82:83], v[72:73], v[78:79]
	v_fma_f64 v[70:71], v[78:79], v[70:71], s[44:45]
	s_delay_alu instid0(VALU_DEP_4) | instskip(NEXT) | instid1(VALU_DEP_4)
	v_add_f64 v[60:61], v[60:61], -v[66:67]
	v_add_f64 v[74:75], v[80:81], v[68:69]
	s_delay_alu instid0(VALU_DEP_3) | instskip(SKIP_1) | instid1(VALU_DEP_4)
	v_fma_f64 v[70:71], v[78:79], v[70:71], s[40:41]
	v_ldexp_f64 v[78:79], v[72:73], 1
	v_ldexp_f64 v[60:61], v[60:61], 1
	s_delay_alu instid0(VALU_DEP_4) | instskip(SKIP_2) | instid1(VALU_DEP_3)
	v_add_f64 v[66:67], v[74:75], -v[80:81]
	v_frexp_exp_i32_f64_e32 v80, v[64:65]
	v_mul_f64 v[70:71], v[82:83], v[70:71]
	v_add_f64 v[66:67], v[68:69], -v[66:67]
	v_add_f64 v[68:69], v[72:73], -v[76:77]
	v_frexp_exp_i32_f64_e32 v76, v[58:59]
	s_delay_alu instid0(VALU_DEP_4) | instskip(NEXT) | instid1(VALU_DEP_4)
	v_add_f64 v[72:73], v[78:79], v[70:71]
	v_add_f64 v[60:61], v[60:61], v[66:67]
	s_delay_alu instid0(VALU_DEP_4) | instskip(NEXT) | instid1(VALU_DEP_3)
	v_add_f64 v[62:63], v[62:63], -v[68:69]
	v_add_f64 v[66:67], v[72:73], -v[78:79]
	s_delay_alu instid0(VALU_DEP_3) | instskip(NEXT) | instid1(VALU_DEP_3)
	v_add_f64 v[68:69], v[74:75], v[60:61]
	v_ldexp_f64 v[62:63], v[62:63], 1
	s_delay_alu instid0(VALU_DEP_3) | instskip(SKIP_3) | instid1(VALU_DEP_3)
	v_add_f64 v[66:67], v[70:71], -v[66:67]
	v_subrev_co_ci_u32_e32 v70, vcc_lo, 0, v76, vcc_lo
	v_subrev_co_ci_u32_e64 v82, vcc_lo, 0, v80, s0
	v_cmp_eq_f64_e32 vcc_lo, 0x7ff00000, v[58:59]
	v_cvt_f64_i32_e32 v[70:71], v70
	v_add_f64 v[74:75], v[68:69], -v[74:75]
	v_mul_f64 v[76:77], v[68:69], s[30:31]
	v_add_f64 v[62:63], v[62:63], v[66:67]
	s_delay_alu instid0(VALU_DEP_4) | instskip(NEXT) | instid1(VALU_DEP_4)
	v_mul_f64 v[66:67], v[70:71], s[34:35]
	v_add_f64 v[60:61], v[60:61], -v[74:75]
	s_delay_alu instid0(VALU_DEP_4) | instskip(NEXT) | instid1(VALU_DEP_4)
	v_fma_f64 v[74:75], v[68:69], s[30:31], -v[76:77]
	v_add_f64 v[78:79], v[72:73], v[62:63]
	s_delay_alu instid0(VALU_DEP_4) | instskip(NEXT) | instid1(VALU_DEP_3)
	v_fma_f64 v[80:81], v[70:71], s[34:35], -v[66:67]
	v_fma_f64 v[60:61], v[60:61], s[30:31], v[74:75]
	v_cvt_f64_i32_e32 v[74:75], v82
	s_delay_alu instid0(VALU_DEP_4)
	v_add_f64 v[72:73], v[78:79], -v[72:73]
	v_mul_f64 v[82:83], v[78:79], s[30:31]
	v_fma_f64 v[70:71], v[70:71], s[46:47], v[80:81]
	v_fma_f64 v[60:61], v[68:69], s[54:55], v[60:61]
	v_mul_f64 v[68:69], v[74:75], s[34:35]
	v_add_f64 v[62:63], v[62:63], -v[72:73]
	v_fma_f64 v[72:73], v[78:79], s[30:31], -v[82:83]
	v_add_f64 v[80:81], v[66:67], v[70:71]
	v_add_f64 v[84:85], v[76:77], v[60:61]
	v_fma_f64 v[88:89], v[74:75], s[34:35], -v[68:69]
	s_delay_alu instid0(VALU_DEP_4) | instskip(NEXT) | instid1(VALU_DEP_4)
	v_fma_f64 v[62:63], v[62:63], s[30:31], v[72:73]
	v_add_f64 v[66:67], v[80:81], -v[66:67]
	s_delay_alu instid0(VALU_DEP_4) | instskip(NEXT) | instid1(VALU_DEP_4)
	v_add_f64 v[72:73], v[80:81], v[84:85]
	v_fma_f64 v[74:75], v[74:75], s[46:47], v[88:89]
	s_delay_alu instid0(VALU_DEP_4) | instskip(NEXT) | instid1(VALU_DEP_4)
	v_fma_f64 v[62:63], v[78:79], s[54:55], v[62:63]
	v_add_f64 v[66:67], v[70:71], -v[66:67]
	v_add_f64 v[70:71], v[84:85], -v[76:77]
	;; [unrolled: 1-line block ×3, first 2 shown]
	v_add_f64 v[78:79], v[68:69], v[74:75]
	v_add_f64 v[88:89], v[82:83], v[62:63]
	s_delay_alu instid0(VALU_DEP_4) | instskip(NEXT) | instid1(VALU_DEP_4)
	v_add_f64 v[60:61], v[60:61], -v[70:71]
	v_add_f64 v[70:71], v[72:73], -v[76:77]
	;; [unrolled: 1-line block ×4, first 2 shown]
	v_add_f64 v[84:85], v[78:79], v[88:89]
	v_add_f64 v[82:83], v[88:89], -v[82:83]
	v_add_f64 v[70:71], v[80:81], -v[70:71]
	s_delay_alu instid0(VALU_DEP_4) | instskip(SKIP_4) | instid1(VALU_DEP_3)
	v_add_f64 v[68:69], v[74:75], -v[68:69]
	v_add_f64 v[74:75], v[66:67], v[60:61]
	v_add_f64 v[80:81], v[84:85], -v[78:79]
	v_add_f64 v[62:63], v[62:63], -v[82:83]
	v_add_f64 v[70:71], v[76:77], v[70:71]
	v_add_f64 v[76:77], v[84:85], -v[80:81]
	v_add_f64 v[80:81], v[88:89], -v[80:81]
	s_delay_alu instid0(VALU_DEP_4) | instskip(NEXT) | instid1(VALU_DEP_4)
	v_add_f64 v[82:83], v[68:69], v[62:63]
	v_add_f64 v[70:71], v[74:75], v[70:71]
	s_delay_alu instid0(VALU_DEP_4) | instskip(SKIP_1) | instid1(VALU_DEP_4)
	v_add_f64 v[76:77], v[78:79], -v[76:77]
	v_add_f64 v[78:79], v[74:75], -v[66:67]
	v_add_f64 v[88:89], v[82:83], -v[68:69]
	s_delay_alu instid0(VALU_DEP_3) | instskip(NEXT) | instid1(VALU_DEP_3)
	v_add_f64 v[76:77], v[80:81], v[76:77]
	v_add_f64 v[74:75], v[74:75], -v[78:79]
	v_add_f64 v[80:81], v[72:73], v[70:71]
	v_add_f64 v[60:61], v[60:61], -v[78:79]
	v_add_f64 v[62:63], v[62:63], -v[88:89]
	v_add_f64 v[76:77], v[82:83], v[76:77]
	v_add_f64 v[66:67], v[66:67], -v[74:75]
	v_add_f64 v[72:73], v[80:81], -v[72:73]
	;; [unrolled: 1-line block ×3, first 2 shown]
	s_delay_alu instid0(VALU_DEP_4) | instskip(NEXT) | instid1(VALU_DEP_4)
	v_add_f64 v[78:79], v[84:85], v[76:77]
	v_add_f64 v[60:61], v[60:61], v[66:67]
	s_delay_alu instid0(VALU_DEP_4) | instskip(NEXT) | instid1(VALU_DEP_4)
	v_add_f64 v[66:67], v[70:71], -v[72:73]
	v_add_f64 v[68:69], v[68:69], -v[74:75]
	s_delay_alu instid0(VALU_DEP_4) | instskip(NEXT) | instid1(VALU_DEP_3)
	v_add_f64 v[70:71], v[78:79], -v[84:85]
	v_add_f64 v[60:61], v[60:61], v[66:67]
	s_delay_alu instid0(VALU_DEP_3) | instskip(NEXT) | instid1(VALU_DEP_3)
	v_add_f64 v[62:63], v[62:63], v[68:69]
	v_add_f64 v[66:67], v[76:77], -v[70:71]
	s_delay_alu instid0(VALU_DEP_3) | instskip(NEXT) | instid1(VALU_DEP_2)
	v_add_f64 v[60:61], v[80:81], v[60:61]
	v_add_f64 v[62:63], v[62:63], v[66:67]
	s_delay_alu instid0(VALU_DEP_2) | instskip(SKIP_1) | instid1(VALU_DEP_3)
	v_dual_cndmask_b32 v59, v61, v59 :: v_dual_cndmask_b32 v58, v60, v58
	v_cmp_eq_f64_e32 vcc_lo, 0x7ff00000, v[64:65]
	v_add_f64 v[60:61], v[78:79], v[62:63]
	s_delay_alu instid0(VALU_DEP_3) | instskip(NEXT) | instid1(VALU_DEP_2)
	v_fma_f64 v[62:63], v[58:59], s[68:69], s[62:63]
	v_dual_cndmask_b32 v61, v61, v65 :: v_dual_cndmask_b32 v60, v60, v64
	v_fma_f64 v[64:65], v[58:59], s[70:71], 0x3fe80000
	v_div_scale_f64 v[76:77], vcc_lo, 1.0, v[56:57], 1.0
	s_delay_alu instid0(VALU_DEP_3) | instskip(NEXT) | instid1(VALU_DEP_1)
	v_add_f64 v[60:61], v[60:61], -v[62:63]
	v_fma_f64 v[62:63], v[60:61], s[72:73], v[64:65]
	v_div_scale_f64 v[64:65], null, v[56:57], v[56:57], 1.0
	s_delay_alu instid0(VALU_DEP_2) | instskip(NEXT) | instid1(VALU_DEP_2)
	v_div_scale_f64 v[66:67], null, v[62:63], v[62:63], 1.0
	v_rcp_f64_e32 v[68:69], v[64:65]
	s_delay_alu instid0(VALU_DEP_1) | instskip(SKIP_3) | instid1(VALU_DEP_2)
	v_rcp_f64_e32 v[70:71], v[66:67]
	s_waitcnt_depctr 0xfff
	v_fma_f64 v[72:73], -v[64:65], v[68:69], 1.0
	v_fma_f64 v[74:75], -v[66:67], v[70:71], 1.0
	v_fma_f64 v[68:69], v[68:69], v[72:73], v[68:69]
	s_delay_alu instid0(VALU_DEP_2) | instskip(NEXT) | instid1(VALU_DEP_2)
	v_fma_f64 v[70:71], v[70:71], v[74:75], v[70:71]
	v_fma_f64 v[72:73], -v[64:65], v[68:69], 1.0
	s_delay_alu instid0(VALU_DEP_2) | instskip(NEXT) | instid1(VALU_DEP_2)
	v_fma_f64 v[74:75], -v[66:67], v[70:71], 1.0
	v_fma_f64 v[68:69], v[68:69], v[72:73], v[68:69]
	v_div_scale_f64 v[72:73], s0, 1.0, v[62:63], 1.0
	s_delay_alu instid0(VALU_DEP_3) | instskip(NEXT) | instid1(VALU_DEP_3)
	v_fma_f64 v[70:71], v[70:71], v[74:75], v[70:71]
	v_mul_f64 v[74:75], v[76:77], v[68:69]
	s_delay_alu instid0(VALU_DEP_2) | instskip(NEXT) | instid1(VALU_DEP_2)
	v_mul_f64 v[78:79], v[72:73], v[70:71]
	v_fma_f64 v[64:65], -v[64:65], v[74:75], v[76:77]
	v_mul_f64 v[76:77], 0xc0b3e500, v[19:20]
	s_delay_alu instid0(VALU_DEP_3) | instskip(NEXT) | instid1(VALU_DEP_3)
	v_fma_f64 v[66:67], -v[66:67], v[78:79], v[72:73]
	v_div_fmas_f64 v[64:65], v[64:65], v[68:69], v[74:75]
	s_mov_b32 vcc_lo, s0
	s_mov_b32 s0, 0x251e9ea8
	s_mov_b32 s1, 0xbfb393ee
	s_delay_alu instid0(VALU_DEP_2) | instskip(NEXT) | instid1(VALU_DEP_2)
	v_div_fmas_f64 v[66:67], v[66:67], v[70:71], v[78:79]
	v_div_fixup_f64 v[56:57], v[64:65], v[56:57], 1.0
	s_delay_alu instid0(VALU_DEP_2) | instskip(NEXT) | instid1(VALU_DEP_2)
	v_div_fixup_f64 v[62:63], v[66:67], v[62:63], 1.0
	v_mul_f64 v[31:32], v[31:32], v[56:57]
	s_delay_alu instid0(VALU_DEP_2) | instskip(NEXT) | instid1(VALU_DEP_1)
	v_mul_f64 v[60:61], v[60:61], v[62:63]
	v_fma_f64 v[60:61], v[60:61], v[60:61], 1.0
	s_delay_alu instid0(VALU_DEP_1) | instskip(SKIP_1) | instid1(VALU_DEP_2)
	v_div_scale_f64 v[62:63], null, v[60:61], v[60:61], 1.0
	v_div_scale_f64 v[70:71], vcc_lo, 1.0, v[60:61], 1.0
	v_rcp_f64_e32 v[66:67], v[62:63]
	s_waitcnt_depctr 0xfff
	v_fma_f64 v[68:69], -v[62:63], v[66:67], 1.0
	s_delay_alu instid0(VALU_DEP_1) | instskip(NEXT) | instid1(VALU_DEP_1)
	v_fma_f64 v[66:67], v[66:67], v[68:69], v[66:67]
	v_fma_f64 v[68:69], -v[62:63], v[66:67], 1.0
	s_delay_alu instid0(VALU_DEP_1) | instskip(NEXT) | instid1(VALU_DEP_1)
	v_fma_f64 v[66:67], v[66:67], v[68:69], v[66:67]
	v_mul_f64 v[68:69], v[70:71], v[66:67]
	s_delay_alu instid0(VALU_DEP_1) | instskip(NEXT) | instid1(VALU_DEP_1)
	v_fma_f64 v[62:63], -v[62:63], v[68:69], v[70:71]
	v_div_fmas_f64 v[62:63], v[62:63], v[66:67], v[68:69]
	v_mul_f64 v[68:69], v[9:10], s[0:1]
	s_mov_b32 s0, 0x80dcc421
	s_mov_b32 s1, 0xbf3f89bb
	s_delay_alu instid0(SALU_CYCLE_1) | instskip(NEXT) | instid1(VALU_DEP_3)
	v_mul_f64 v[70:71], v[9:10], s[0:1]
	v_div_fixup_f64 v[60:61], v[62:63], v[60:61], 1.0
	s_delay_alu instid0(VALU_DEP_3) | instskip(NEXT) | instid1(VALU_DEP_3)
	v_mul_f64 v[72:73], v[68:69], s[76:77]
	v_mul_f64 v[74:75], v[70:71], s[76:77]
	v_cmp_ngt_f64_e64 s2, 0xc090cc00, v[70:71]
	s_delay_alu instid0(VALU_DEP_4) | instskip(NEXT) | instid1(VALU_DEP_4)
	v_mul_f64 v[58:59], v[58:59], v[60:61]
	v_rndne_f64_e32 v[72:73], v[72:73]
	s_delay_alu instid0(VALU_DEP_4) | instskip(NEXT) | instid1(VALU_DEP_3)
	v_rndne_f64_e32 v[74:75], v[74:75]
	v_mul_f64 v[60:61], v[58:59], s[38:39]
	v_cmp_nlt_f64_e32 vcc_lo, 0x40900000, v[58:59]
	v_cmp_ngt_f64_e64 s0, 0xc090cc00, v[58:59]
	s_delay_alu instid0(VALU_DEP_4) | instskip(NEXT) | instid1(VALU_DEP_4)
	v_fma_f64 v[78:79], v[74:75], s[78:79], v[70:71]
	v_rndne_f64_e32 v[60:61], v[60:61]
	s_delay_alu instid0(VALU_DEP_1) | instskip(SKIP_1) | instid1(VALU_DEP_2)
	v_fma_f64 v[62:63], v[60:61], s[56:57], v[58:59]
	v_cvt_i32_f64_e32 v80, v[60:61]
	v_fma_f64 v[62:63], v[60:61], s[50:51], v[62:63]
	s_delay_alu instid0(VALU_DEP_1) | instskip(NEXT) | instid1(VALU_DEP_1)
	v_mul_f64 v[66:67], v[62:63], s[64:65]
	v_fma_f64 v[62:63], v[62:63], s[66:67], v[66:67]
	s_delay_alu instid0(VALU_DEP_1) | instskip(NEXT) | instid1(VALU_DEP_1)
	v_fma_f64 v[66:67], v[62:63], s[18:19], s[14:15]
	v_fma_f64 v[66:67], v[62:63], v[66:67], s[20:21]
	s_delay_alu instid0(VALU_DEP_1) | instskip(NEXT) | instid1(VALU_DEP_1)
	v_fma_f64 v[66:67], v[62:63], v[66:67], s[22:23]
	;; [unrolled: 3-line block ×5, first 2 shown]
	v_fma_f64 v[66:67], v[62:63], v[66:67], 1.0
	s_delay_alu instid0(VALU_DEP_1) | instskip(SKIP_2) | instid1(VALU_DEP_3)
	v_fma_f64 v[60:61], v[62:63], v[66:67], 1.0
	v_fma_f64 v[62:63], v[72:73], s[78:79], v[68:69]
	v_mul_f64 v[66:67], v[76:77], s[76:77]
	v_ldexp_f64 v[60:61], v[60:61], v80
	s_delay_alu instid0(VALU_DEP_3) | instskip(NEXT) | instid1(VALU_DEP_3)
	v_fma_f64 v[62:63], v[72:73], s[74:75], v[62:63]
	v_rndne_f64_e32 v[64:65], v[66:67]
	v_fma_f64 v[66:67], v[74:75], s[74:75], v[78:79]
	s_delay_alu instid0(VALU_DEP_4) | instskip(NEXT) | instid1(VALU_DEP_4)
	v_cndmask_b32_e32 v61, 0x7ff00000, v61, vcc_lo
	v_fma_f64 v[56:57], v[62:63], s[18:19], s[14:15]
	s_delay_alu instid0(VALU_DEP_4) | instskip(NEXT) | instid1(VALU_DEP_4)
	v_fma_f64 v[58:59], v[64:65], s[78:79], v[76:77]
	v_fma_f64 v[78:79], v[66:67], s[18:19], s[14:15]
	s_and_b32 vcc_lo, s0, vcc_lo
	v_cndmask_b32_e64 v61, 0, v61, s0
	v_cndmask_b32_e32 v60, 0, v60, vcc_lo
	s_mov_b32 s0, 0x240b7803
	s_mov_b32 s1, 0x3fd87e28
	s_delay_alu instid0(VALU_DEP_1) | instskip(SKIP_3) | instid1(VALU_DEP_4)
	v_mul_f64 v[31:32], v[31:32], v[60:61]
	v_fma_f64 v[56:57], v[62:63], v[56:57], s[20:21]
	v_fma_f64 v[80:81], v[64:65], s[74:75], v[58:59]
	;; [unrolled: 1-line block ×3, first 2 shown]
	v_mul_f64 v[78:79], v[54:55], v[31:32]
	s_delay_alu instid0(VALU_DEP_4) | instskip(NEXT) | instid1(VALU_DEP_4)
	v_fma_f64 v[55:56], v[62:63], v[56:57], s[22:23]
	v_fma_f64 v[82:83], v[80:81], s[18:19], s[14:15]
	s_delay_alu instid0(VALU_DEP_4)
	v_fma_f64 v[84:85], v[66:67], v[58:59], s[22:23]
	v_mad_u64_u32 v[57:58], null, 0x50, s33, v[86:87]
	v_mov_b32_e32 v58, v2
	global_store_b64 v[0:1], v[78:79], off
	v_lshlrev_b64 v[53:54], 3, v[57:58]
	v_cvt_i32_f64_e32 v58, v[72:73]
	s_delay_alu instid0(VALU_DEP_2) | instskip(NEXT) | instid1(VALU_DEP_3)
	v_add_co_u32 v59, vcc_lo, s8, v53
	v_add_co_ci_u32_e32 v60, vcc_lo, s9, v54, vcc_lo
	v_cmp_nlt_f64_e32 vcc_lo, 0x40900000, v[68:69]
	global_load_b64 v[0:1], v[59:60], off
	v_fma_f64 v[55:56], v[62:63], v[55:56], s[24:25]
	v_fma_f64 v[78:79], v[80:81], v[82:83], s[20:21]
	;; [unrolled: 1-line block ×3, first 2 shown]
	s_delay_alu instid0(VALU_DEP_3) | instskip(NEXT) | instid1(VALU_DEP_3)
	v_fma_f64 v[55:56], v[62:63], v[55:56], s[26:27]
	v_fma_f64 v[78:79], v[80:81], v[78:79], s[22:23]
	s_delay_alu instid0(VALU_DEP_3) | instskip(NEXT) | instid1(VALU_DEP_3)
	v_fma_f64 v[82:83], v[66:67], v[82:83], s[26:27]
	v_fma_f64 v[55:56], v[62:63], v[55:56], s[28:29]
	;; [unrolled: 3-line block ×7, first 2 shown]
	s_delay_alu instid0(VALU_DEP_3) | instskip(NEXT) | instid1(VALU_DEP_3)
	v_fma_f64 v[82:83], v[66:67], v[82:83], s[16:17]
	v_fma_f64 v[55:56], v[62:63], v[55:56], 1.0
	s_delay_alu instid0(VALU_DEP_3) | instskip(NEXT) | instid1(VALU_DEP_3)
	v_fma_f64 v[78:79], v[80:81], v[78:79], s[6:7]
	v_fma_f64 v[82:83], v[66:67], v[82:83], 1.0
	s_delay_alu instid0(VALU_DEP_3) | instskip(SKIP_1) | instid1(VALU_DEP_3)
	v_fma_f64 v[55:56], v[62:63], v[55:56], 1.0
	v_cvt_i32_f64_e32 v63, v[74:75]
	v_fma_f64 v[66:67], v[66:67], v[82:83], 1.0
	v_fma_f64 v[61:62], v[80:81], v[78:79], s[16:17]
	s_delay_alu instid0(VALU_DEP_4) | instskip(SKIP_1) | instid1(VALU_DEP_4)
	v_ldexp_f64 v[55:56], v[55:56], v58
	v_cvt_i32_f64_e32 v58, v[64:65]
	v_ldexp_f64 v[66:67], v[66:67], v63
	s_waitcnt vmcnt(0)
	v_div_scale_f64 v[72:73], null, v[0:1], v[0:1], 1.0
	v_fma_f64 v[61:62], v[80:81], v[61:62], 1.0
	v_mul_f64 v[55:56], v[55:56], s[0:1]
	s_mov_b32 s0, 0xedfa43fe
	s_mov_b32 s1, 0x3fe3c0eb
	s_delay_alu instid0(VALU_DEP_4) | instid1(SALU_CYCLE_1)
	v_mul_f64 v[63:64], v[66:67], s[0:1]
	s_delay_alu instid0(VALU_DEP_4) | instskip(SKIP_1) | instid1(VALU_DEP_4)
	v_rcp_f64_e32 v[65:66], v[72:73]
	v_cmp_ngt_f64_e64 s0, 0xc090cc00, v[68:69]
	v_fma_f64 v[61:62], v[80:81], v[61:62], 1.0
	v_cmp_nlt_f64_e64 s1, 0x40900000, v[70:71]
	v_lshlrev_b64 v[69:70], 3, v[86:87]
	s_delay_alu instid0(VALU_DEP_1) | instskip(NEXT) | instid1(VALU_DEP_1)
	v_add_co_u32 v69, s3, s12, v69
	v_add_co_ci_u32_e64 v70, s3, s13, v70, s3
	v_add_co_u32 v21, s3, s12, v21
	s_delay_alu instid0(VALU_DEP_1)
	v_add_co_ci_u32_e64 v22, s3, s13, v22, s3
	s_clause 0x1
	global_load_b64 v[69:70], v[69:70], off
	global_load_b64 v[21:22], v[21:22], off
	v_cndmask_b32_e32 v56, 0x7ff00000, v56, vcc_lo
	s_and_b32 vcc_lo, s0, vcc_lo
	v_ldexp_f64 v[61:62], v[61:62], v58
	v_fma_f64 v[67:68], -v[72:73], v[65:66], 1.0
	v_cndmask_b32_e32 v55, 0, v55, vcc_lo
	v_cmp_nlt_f64_e32 vcc_lo, 0x40900000, v[76:77]
	v_cndmask_b32_e64 v58, 0x7ff00000, v64, s1
	v_cndmask_b32_e64 v56, 0, v56, s0
	v_cmp_ngt_f64_e64 s0, 0xc090cc00, v[76:77]
	s_and_b32 s1, s2, s1
	v_mov_b32_e32 v76, v2
	v_cndmask_b32_e64 v64, 0, v58, s2
	v_cndmask_b32_e64 v63, 0, v63, s1
	s_delay_alu instid0(VALU_DEP_1) | instskip(SKIP_3) | instid1(VALU_DEP_2)
	v_add_f64 v[55:56], v[55:56], v[63:64]
	v_cndmask_b32_e32 v58, 0x7ff00000, v62, vcc_lo
	v_fma_f64 v[62:63], v[65:66], v[67:68], v[65:66]
	s_and_b32 vcc_lo, s0, vcc_lo
	v_cndmask_b32_e64 v65, 0, v58, s0
	v_cndmask_b32_e32 v64, 0, v61, vcc_lo
	s_delay_alu instid0(VALU_DEP_1) | instskip(NEXT) | instid1(VALU_DEP_4)
	v_add_f64 v[55:56], v[64:65], v[55:56]
	v_fma_f64 v[64:65], -v[72:73], v[62:63], 1.0
	s_delay_alu instid0(VALU_DEP_2) | instskip(SKIP_1) | instid1(VALU_DEP_3)
	v_max_f64 v[66:67], 0x38100000, v[55:56]
	v_div_scale_f64 v[55:56], vcc_lo, 1.0, v[0:1], 1.0
	v_fma_f64 v[61:62], v[62:63], v[64:65], v[62:63]
	s_delay_alu instid0(VALU_DEP_3) | instskip(SKIP_1) | instid1(VALU_DEP_3)
	v_frexp_mant_f64_e32 v[63:64], v[66:67]
	v_frexp_exp_i32_f64_e32 v58, v[66:67]
	v_mul_f64 v[74:75], v[55:56], v[61:62]
	s_delay_alu instid0(VALU_DEP_3) | instskip(NEXT) | instid1(VALU_DEP_2)
	v_cmp_gt_f64_e64 s0, s[58:59], v[63:64]
	v_fma_f64 v[55:56], -v[72:73], v[74:75], v[55:56]
	s_delay_alu instid0(VALU_DEP_2) | instskip(SKIP_1) | instid1(VALU_DEP_2)
	v_cndmask_b32_e64 v77, 0x3ff00000, 2.0, s0
	v_subrev_co_ci_u32_e64 v58, s0, 0, v58, s0
	v_mul_f64 v[63:64], v[63:64], v[76:77]
	s_delay_alu instid0(VALU_DEP_4) | instskip(NEXT) | instid1(VALU_DEP_2)
	v_div_fmas_f64 v[55:56], v[55:56], v[61:62], v[74:75]
	v_add_f64 v[61:62], v[63:64], 1.0
	v_add_f64 v[81:82], v[63:64], -1.0
	s_delay_alu instid0(VALU_DEP_3) | instskip(NEXT) | instid1(VALU_DEP_3)
	v_div_fixup_f64 v[55:56], v[55:56], v[0:1], 1.0
	v_rcp_f64_e32 v[71:72], v[61:62]
	v_add_f64 v[83:84], v[61:62], -1.0
	s_delay_alu instid0(VALU_DEP_2) | instskip(NEXT) | instid1(VALU_DEP_2)
	v_mul_f64 v[73:74], v[7:8], v[55:56]
	v_add_f64 v[63:64], v[63:64], -v[83:84]
	s_waitcnt_depctr 0xfff
	v_fma_f64 v[75:76], -v[61:62], v[71:72], 1.0
	s_waitcnt vmcnt(1)
	v_mul_f64 v[55:56], v[69:70], v[73:74]
	s_delay_alu instid0(VALU_DEP_2) | instskip(NEXT) | instid1(VALU_DEP_2)
	v_fma_f64 v[71:72], v[75:76], v[71:72], v[71:72]
	v_max_f64 v[75:76], 0x38100000, v[55:56]
	s_delay_alu instid0(VALU_DEP_2) | instskip(NEXT) | instid1(VALU_DEP_2)
	v_fma_f64 v[77:78], -v[61:62], v[71:72], 1.0
	v_frexp_mant_f64_e32 v[79:80], v[75:76]
	s_delay_alu instid0(VALU_DEP_2) | instskip(SKIP_1) | instid1(VALU_DEP_3)
	v_fma_f64 v[71:72], v[77:78], v[71:72], v[71:72]
	v_mov_b32_e32 v77, v2
	v_cmp_gt_f64_e32 vcc_lo, s[58:59], v[79:80]
	v_cndmask_b32_e64 v78, 0x3ff00000, 2.0, vcc_lo
	s_delay_alu instid0(VALU_DEP_1) | instskip(SKIP_1) | instid1(VALU_DEP_2)
	v_mul_f64 v[77:78], v[79:80], v[77:78]
	v_mul_f64 v[79:80], v[81:82], v[71:72]
	v_add_f64 v[85:86], v[77:78], 1.0
	s_delay_alu instid0(VALU_DEP_2) | instskip(NEXT) | instid1(VALU_DEP_2)
	v_mul_f64 v[87:88], v[61:62], v[79:80]
	v_rcp_f64_e32 v[83:84], v[85:86]
	s_delay_alu instid0(VALU_DEP_1) | instskip(NEXT) | instid1(VALU_DEP_1)
	v_fma_f64 v[61:62], v[79:80], v[61:62], -v[87:88]
	v_fma_f64 v[61:62], v[79:80], v[63:64], v[61:62]
	s_waitcnt_depctr 0xfff
	v_fma_f64 v[63:64], -v[85:86], v[83:84], 1.0
	v_add_f64 v[89:90], v[87:88], v[61:62]
	s_delay_alu instid0(VALU_DEP_2) | instskip(NEXT) | instid1(VALU_DEP_2)
	v_fma_f64 v[63:64], v[63:64], v[83:84], v[83:84]
	v_add_f64 v[83:84], v[81:82], -v[89:90]
	s_delay_alu instid0(VALU_DEP_2) | instskip(SKIP_1) | instid1(VALU_DEP_3)
	v_fma_f64 v[91:92], -v[85:86], v[63:64], 1.0
	v_add_f64 v[87:88], v[89:90], -v[87:88]
	v_add_f64 v[81:82], v[81:82], -v[83:84]
	s_delay_alu instid0(VALU_DEP_3) | instskip(SKIP_1) | instid1(VALU_DEP_4)
	v_fma_f64 v[63:64], v[91:92], v[63:64], v[63:64]
	v_add_f64 v[91:92], v[77:78], -1.0
	v_add_f64 v[61:62], v[87:88], -v[61:62]
	s_delay_alu instid0(VALU_DEP_4) | instskip(NEXT) | instid1(VALU_DEP_3)
	v_add_f64 v[81:82], v[81:82], -v[89:90]
	v_mul_f64 v[87:88], v[91:92], v[63:64]
	s_delay_alu instid0(VALU_DEP_2) | instskip(SKIP_1) | instid1(VALU_DEP_3)
	v_add_f64 v[61:62], v[61:62], v[81:82]
	v_add_f64 v[81:82], v[85:86], -1.0
	v_mul_f64 v[89:90], v[85:86], v[87:88]
	s_delay_alu instid0(VALU_DEP_3) | instskip(NEXT) | instid1(VALU_DEP_3)
	v_add_f64 v[61:62], v[83:84], v[61:62]
	v_add_f64 v[77:78], v[77:78], -v[81:82]
	s_delay_alu instid0(VALU_DEP_3) | instskip(NEXT) | instid1(VALU_DEP_3)
	v_fma_f64 v[81:82], v[87:88], v[85:86], -v[89:90]
	v_mul_f64 v[61:62], v[71:72], v[61:62]
	s_delay_alu instid0(VALU_DEP_2) | instskip(NEXT) | instid1(VALU_DEP_2)
	v_fma_f64 v[77:78], v[87:88], v[77:78], v[81:82]
	v_add_f64 v[81:82], v[79:80], v[61:62]
	s_delay_alu instid0(VALU_DEP_2) | instskip(NEXT) | instid1(VALU_DEP_2)
	v_add_f64 v[71:72], v[89:90], v[77:78]
	v_add_f64 v[79:80], v[81:82], -v[79:80]
	s_delay_alu instid0(VALU_DEP_2) | instskip(SKIP_2) | instid1(VALU_DEP_4)
	v_add_f64 v[83:84], v[91:92], -v[71:72]
	v_add_f64 v[85:86], v[71:72], -v[89:90]
	v_mul_f64 v[89:90], v[81:82], v[81:82]
	v_add_f64 v[61:62], v[61:62], -v[79:80]
	s_delay_alu instid0(VALU_DEP_4) | instskip(NEXT) | instid1(VALU_DEP_4)
	v_add_f64 v[91:92], v[91:92], -v[83:84]
	v_add_f64 v[77:78], v[85:86], -v[77:78]
	s_delay_alu instid0(VALU_DEP_4) | instskip(NEXT) | instid1(VALU_DEP_4)
	v_fma_f64 v[85:86], v[89:90], s[42:43], s[36:37]
	v_ldexp_f64 v[61:62], v[61:62], 1
	s_delay_alu instid0(VALU_DEP_4) | instskip(NEXT) | instid1(VALU_DEP_3)
	v_add_f64 v[71:72], v[91:92], -v[71:72]
	v_fma_f64 v[85:86], v[89:90], v[85:86], s[48:49]
	s_delay_alu instid0(VALU_DEP_2) | instskip(NEXT) | instid1(VALU_DEP_2)
	v_add_f64 v[71:72], v[77:78], v[71:72]
	v_fma_f64 v[77:78], v[89:90], v[85:86], s[52:53]
	s_delay_alu instid0(VALU_DEP_2) | instskip(SKIP_1) | instid1(VALU_DEP_3)
	v_add_f64 v[71:72], v[83:84], v[71:72]
	v_mul_f64 v[83:84], v[81:82], v[89:90]
	v_fma_f64 v[77:78], v[89:90], v[77:78], s[60:61]
	s_delay_alu instid0(VALU_DEP_3) | instskip(NEXT) | instid1(VALU_DEP_2)
	v_mul_f64 v[63:64], v[63:64], v[71:72]
	v_fma_f64 v[71:72], v[89:90], v[77:78], s[44:45]
	s_delay_alu instid0(VALU_DEP_2) | instskip(NEXT) | instid1(VALU_DEP_2)
	v_add_f64 v[77:78], v[87:88], v[63:64]
	v_fma_f64 v[71:72], v[89:90], v[71:72], s[40:41]
	v_ldexp_f64 v[89:90], v[81:82], 1
	s_delay_alu instid0(VALU_DEP_3) | instskip(SKIP_1) | instid1(VALU_DEP_4)
	v_mul_f64 v[85:86], v[77:78], v[77:78]
	v_ldexp_f64 v[91:92], v[77:78], 1
	v_mul_f64 v[71:72], v[83:84], v[71:72]
	s_delay_alu instid0(VALU_DEP_3) | instskip(NEXT) | instid1(VALU_DEP_2)
	v_fma_f64 v[83:84], v[85:86], s[42:43], s[36:37]
	v_add_f64 v[81:82], v[89:90], v[71:72]
	s_delay_alu instid0(VALU_DEP_2) | instskip(NEXT) | instid1(VALU_DEP_2)
	v_fma_f64 v[83:84], v[85:86], v[83:84], s[48:49]
	v_add_f64 v[79:80], v[81:82], -v[89:90]
	v_cvt_f64_i32_e32 v[89:90], v58
	v_frexp_exp_i32_f64_e32 v58, v[75:76]
	s_delay_alu instid0(VALU_DEP_4) | instskip(NEXT) | instid1(VALU_DEP_4)
	v_fma_f64 v[83:84], v[85:86], v[83:84], s[52:53]
	v_add_f64 v[71:72], v[71:72], -v[79:80]
	s_delay_alu instid0(VALU_DEP_3) | instskip(SKIP_1) | instid1(VALU_DEP_4)
	v_subrev_co_ci_u32_e32 v58, vcc_lo, 0, v58, vcc_lo
	v_cmp_eq_f64_e32 vcc_lo, 0x7ff00000, v[66:67]
	v_fma_f64 v[79:80], v[85:86], v[83:84], s[60:61]
	v_mul_f64 v[83:84], v[77:78], v[85:86]
	v_add_f64 v[61:62], v[61:62], v[71:72]
	v_add_f64 v[77:78], v[77:78], -v[87:88]
	s_delay_alu instid0(VALU_DEP_4) | instskip(NEXT) | instid1(VALU_DEP_3)
	v_fma_f64 v[71:72], v[85:86], v[79:80], s[44:45]
	v_add_f64 v[79:80], v[81:82], v[61:62]
	s_delay_alu instid0(VALU_DEP_3) | instskip(NEXT) | instid1(VALU_DEP_3)
	v_add_f64 v[63:64], v[63:64], -v[77:78]
	v_fma_f64 v[71:72], v[85:86], v[71:72], s[40:41]
	s_delay_alu instid0(VALU_DEP_3) | instskip(SKIP_1) | instid1(VALU_DEP_4)
	v_add_f64 v[81:82], v[79:80], -v[81:82]
	v_mul_f64 v[85:86], v[79:80], s[30:31]
	v_ldexp_f64 v[63:64], v[63:64], 1
	s_delay_alu instid0(VALU_DEP_4) | instskip(SKIP_3) | instid1(VALU_DEP_4)
	v_mul_f64 v[71:72], v[83:84], v[71:72]
	v_mul_f64 v[83:84], v[89:90], s[34:35]
	v_add_f64 v[61:62], v[61:62], -v[81:82]
	v_fma_f64 v[81:82], v[79:80], s[30:31], -v[85:86]
	v_add_f64 v[87:88], v[91:92], v[71:72]
	s_delay_alu instid0(VALU_DEP_2) | instskip(SKIP_1) | instid1(VALU_DEP_3)
	v_fma_f64 v[61:62], v[61:62], s[30:31], v[81:82]
	v_fma_f64 v[81:82], v[89:90], s[34:35], -v[83:84]
	v_add_f64 v[77:78], v[87:88], -v[91:92]
	s_delay_alu instid0(VALU_DEP_3) | instskip(NEXT) | instid1(VALU_DEP_3)
	v_fma_f64 v[61:62], v[79:80], s[54:55], v[61:62]
	v_fma_f64 v[81:82], v[89:90], s[46:47], v[81:82]
	v_cvt_f64_i32_e32 v[89:90], v58
	s_delay_alu instid0(VALU_DEP_4) | instskip(NEXT) | instid1(VALU_DEP_4)
	v_add_f64 v[71:72], v[71:72], -v[77:78]
	v_add_f64 v[79:80], v[85:86], v[61:62]
	s_delay_alu instid0(VALU_DEP_4) | instskip(NEXT) | instid1(VALU_DEP_3)
	v_add_f64 v[77:78], v[83:84], v[81:82]
	v_add_f64 v[63:64], v[63:64], v[71:72]
	s_delay_alu instid0(VALU_DEP_2) | instskip(NEXT) | instid1(VALU_DEP_4)
	v_add_f64 v[71:72], v[77:78], -v[83:84]
	v_add_f64 v[83:84], v[79:80], -v[85:86]
	v_mul_f64 v[85:86], v[89:90], s[34:35]
	s_delay_alu instid0(VALU_DEP_4) | instskip(NEXT) | instid1(VALU_DEP_4)
	v_add_f64 v[91:92], v[87:88], v[63:64]
	v_add_f64 v[71:72], v[81:82], -v[71:72]
	s_delay_alu instid0(VALU_DEP_4) | instskip(NEXT) | instid1(VALU_DEP_4)
	v_add_f64 v[61:62], v[61:62], -v[83:84]
	v_fma_f64 v[81:82], v[89:90], s[34:35], -v[85:86]
	s_delay_alu instid0(VALU_DEP_4) | instskip(SKIP_1) | instid1(VALU_DEP_3)
	v_add_f64 v[83:84], v[91:92], -v[87:88]
	v_mul_f64 v[87:88], v[91:92], s[30:31]
	v_fma_f64 v[81:82], v[89:90], s[46:47], v[81:82]
	v_add_f64 v[89:90], v[77:78], v[79:80]
	s_delay_alu instid0(VALU_DEP_4) | instskip(NEXT) | instid1(VALU_DEP_4)
	v_add_f64 v[63:64], v[63:64], -v[83:84]
	v_fma_f64 v[83:84], v[91:92], s[30:31], -v[87:88]
	s_delay_alu instid0(VALU_DEP_1) | instskip(NEXT) | instid1(VALU_DEP_4)
	v_fma_f64 v[63:64], v[63:64], s[30:31], v[83:84]
	v_add_f64 v[83:84], v[89:90], -v[77:78]
	s_delay_alu instid0(VALU_DEP_2) | instskip(NEXT) | instid1(VALU_DEP_2)
	v_fma_f64 v[63:64], v[91:92], s[54:55], v[63:64]
	v_add_f64 v[91:92], v[89:90], -v[83:84]
	v_add_f64 v[79:80], v[79:80], -v[83:84]
	v_add_f64 v[83:84], v[85:86], v[81:82]
	s_delay_alu instid0(VALU_DEP_3) | instskip(SKIP_1) | instid1(VALU_DEP_3)
	v_add_f64 v[77:78], v[77:78], -v[91:92]
	v_add_f64 v[91:92], v[87:88], v[63:64]
	v_add_f64 v[85:86], v[83:84], -v[85:86]
	s_delay_alu instid0(VALU_DEP_3) | instskip(NEXT) | instid1(VALU_DEP_3)
	v_add_f64 v[77:78], v[79:80], v[77:78]
	v_add_f64 v[79:80], v[83:84], v[91:92]
	s_delay_alu instid0(VALU_DEP_3) | instskip(SKIP_1) | instid1(VALU_DEP_3)
	v_add_f64 v[81:82], v[81:82], -v[85:86]
	v_add_f64 v[85:86], v[91:92], -v[87:88]
	;; [unrolled: 1-line block ×3, first 2 shown]
	s_delay_alu instid0(VALU_DEP_2) | instskip(NEXT) | instid1(VALU_DEP_2)
	v_add_f64 v[63:64], v[63:64], -v[85:86]
	v_add_f64 v[85:86], v[79:80], -v[87:88]
	;; [unrolled: 1-line block ×3, first 2 shown]
	v_add_f64 v[91:92], v[71:72], v[61:62]
	s_delay_alu instid0(VALU_DEP_3) | instskip(NEXT) | instid1(VALU_DEP_2)
	v_add_f64 v[83:84], v[83:84], -v[85:86]
	v_add_f64 v[85:86], v[91:92], -v[71:72]
	v_add_f64 v[77:78], v[91:92], v[77:78]
	s_delay_alu instid0(VALU_DEP_3) | instskip(SKIP_1) | instid1(VALU_DEP_4)
	v_add_f64 v[83:84], v[87:88], v[83:84]
	v_add_f64 v[87:88], v[81:82], v[63:64]
	v_add_f64 v[91:92], v[91:92], -v[85:86]
	v_add_f64 v[61:62], v[61:62], -v[85:86]
	v_add_f64 v[85:86], v[89:90], v[77:78]
	s_delay_alu instid0(VALU_DEP_4) | instskip(NEXT) | instid1(VALU_DEP_4)
	v_add_f64 v[83:84], v[87:88], v[83:84]
	v_add_f64 v[71:72], v[71:72], -v[91:92]
	v_add_f64 v[91:92], v[87:88], -v[81:82]
	s_delay_alu instid0(VALU_DEP_4) | instskip(NEXT) | instid1(VALU_DEP_3)
	v_add_f64 v[89:90], v[85:86], -v[89:90]
	v_add_f64 v[61:62], v[61:62], v[71:72]
	s_delay_alu instid0(VALU_DEP_3) | instskip(SKIP_1) | instid1(VALU_DEP_4)
	v_add_f64 v[71:72], v[87:88], -v[91:92]
	v_add_f64 v[87:88], v[79:80], v[83:84]
	v_add_f64 v[77:78], v[77:78], -v[89:90]
	v_add_f64 v[63:64], v[63:64], -v[91:92]
	s_delay_alu instid0(VALU_DEP_4) | instskip(NEXT) | instid1(VALU_DEP_4)
	v_add_f64 v[71:72], v[81:82], -v[71:72]
	v_add_f64 v[79:80], v[87:88], -v[79:80]
	s_delay_alu instid0(VALU_DEP_4) | instskip(NEXT) | instid1(VALU_DEP_3)
	v_add_f64 v[61:62], v[61:62], v[77:78]
	v_add_f64 v[63:64], v[63:64], v[71:72]
	s_delay_alu instid0(VALU_DEP_3) | instskip(NEXT) | instid1(VALU_DEP_3)
	v_add_f64 v[71:72], v[83:84], -v[79:80]
	v_add_f64 v[61:62], v[85:86], v[61:62]
	s_delay_alu instid0(VALU_DEP_2) | instskip(NEXT) | instid1(VALU_DEP_2)
	v_add_f64 v[63:64], v[63:64], v[71:72]
	v_dual_cndmask_b32 v62, v62, v67 :: v_dual_cndmask_b32 v61, v61, v66
	v_cmp_eq_f64_e32 vcc_lo, 0x7ff00000, v[75:76]
	s_delay_alu instid0(VALU_DEP_2) | instskip(SKIP_2) | instid1(VALU_DEP_1)
	v_fma_f64 v[65:66], v[61:62], s[68:69], s[62:63]
	v_fma_f64 v[67:68], v[61:62], s[70:71], 0x3fe80000
	v_add_f64 v[63:64], v[87:88], v[63:64]
	v_dual_cndmask_b32 v64, v64, v76 :: v_dual_cndmask_b32 v63, v63, v75
	s_delay_alu instid0(VALU_DEP_1) | instskip(SKIP_1) | instid1(VALU_DEP_2)
	v_add_f64 v[63:64], v[63:64], -v[65:66]
	v_fma_f64 v[65:66], v[69:70], v[73:74], 1.0
	v_fma_f64 v[67:68], v[63:64], s[72:73], v[67:68]
	s_delay_alu instid0(VALU_DEP_2) | instskip(SKIP_1) | instid1(VALU_DEP_3)
	v_div_scale_f64 v[69:70], null, v[65:66], v[65:66], 1.0
	v_div_scale_f64 v[81:82], vcc_lo, 1.0, v[65:66], 1.0
	v_div_scale_f64 v[71:72], null, v[67:68], v[67:68], 1.0
	s_delay_alu instid0(VALU_DEP_3) | instskip(NEXT) | instid1(VALU_DEP_1)
	v_rcp_f64_e32 v[73:74], v[69:70]
	v_rcp_f64_e32 v[75:76], v[71:72]
	s_waitcnt_depctr 0xfff
	v_fma_f64 v[77:78], -v[69:70], v[73:74], 1.0
	v_fma_f64 v[79:80], -v[71:72], v[75:76], 1.0
	s_delay_alu instid0(VALU_DEP_2) | instskip(NEXT) | instid1(VALU_DEP_2)
	v_fma_f64 v[73:74], v[73:74], v[77:78], v[73:74]
	v_fma_f64 v[75:76], v[75:76], v[79:80], v[75:76]
	s_delay_alu instid0(VALU_DEP_2) | instskip(NEXT) | instid1(VALU_DEP_2)
	v_fma_f64 v[77:78], -v[69:70], v[73:74], 1.0
	v_fma_f64 v[79:80], -v[71:72], v[75:76], 1.0
	s_delay_alu instid0(VALU_DEP_2) | instskip(SKIP_1) | instid1(VALU_DEP_3)
	v_fma_f64 v[73:74], v[73:74], v[77:78], v[73:74]
	v_div_scale_f64 v[77:78], s0, 1.0, v[67:68], 1.0
	v_fma_f64 v[75:76], v[75:76], v[79:80], v[75:76]
	s_delay_alu instid0(VALU_DEP_3) | instskip(NEXT) | instid1(VALU_DEP_2)
	v_mul_f64 v[79:80], v[81:82], v[73:74]
	v_mul_f64 v[83:84], v[77:78], v[75:76]
	s_delay_alu instid0(VALU_DEP_2) | instskip(SKIP_1) | instid1(VALU_DEP_3)
	v_fma_f64 v[69:70], -v[69:70], v[79:80], v[81:82]
	v_mul_f64 v[81:82], 0xc0b36a00, v[19:20]
	v_fma_f64 v[71:72], -v[71:72], v[83:84], v[77:78]
	s_delay_alu instid0(VALU_DEP_3) | instskip(SKIP_3) | instid1(VALU_DEP_2)
	v_div_fmas_f64 v[69:70], v[69:70], v[73:74], v[79:80]
	s_mov_b32 vcc_lo, s0
	s_mov_b32 s0, 0x406c80d9
	s_mov_b32 s1, 0xbf7b2036
	v_div_fmas_f64 v[71:72], v[71:72], v[75:76], v[83:84]
	s_delay_alu instid0(VALU_DEP_2) | instskip(NEXT) | instid1(VALU_DEP_2)
	v_div_fixup_f64 v[65:66], v[69:70], v[65:66], 1.0
	v_div_fixup_f64 v[67:68], v[71:72], v[67:68], 1.0
	s_delay_alu instid0(VALU_DEP_2) | instskip(NEXT) | instid1(VALU_DEP_2)
	v_mul_f64 v[55:56], v[55:56], v[65:66]
	v_mul_f64 v[63:64], v[63:64], v[67:68]
	s_delay_alu instid0(VALU_DEP_1) | instskip(NEXT) | instid1(VALU_DEP_1)
	v_fma_f64 v[63:64], v[63:64], v[63:64], 1.0
	v_div_scale_f64 v[67:68], null, v[63:64], v[63:64], 1.0
	v_div_scale_f64 v[75:76], vcc_lo, 1.0, v[63:64], 1.0
	s_delay_alu instid0(VALU_DEP_2) | instskip(SKIP_2) | instid1(VALU_DEP_1)
	v_rcp_f64_e32 v[71:72], v[67:68]
	s_waitcnt_depctr 0xfff
	v_fma_f64 v[73:74], -v[67:68], v[71:72], 1.0
	v_fma_f64 v[71:72], v[71:72], v[73:74], v[71:72]
	s_delay_alu instid0(VALU_DEP_1) | instskip(NEXT) | instid1(VALU_DEP_1)
	v_fma_f64 v[73:74], -v[67:68], v[71:72], 1.0
	v_fma_f64 v[71:72], v[71:72], v[73:74], v[71:72]
	s_delay_alu instid0(VALU_DEP_1) | instskip(NEXT) | instid1(VALU_DEP_1)
	v_mul_f64 v[73:74], v[75:76], v[71:72]
	v_fma_f64 v[67:68], -v[67:68], v[73:74], v[75:76]
	s_delay_alu instid0(VALU_DEP_1) | instskip(SKIP_3) | instid1(SALU_CYCLE_1)
	v_div_fmas_f64 v[67:68], v[67:68], v[71:72], v[73:74]
	v_mul_f64 v[73:74], v[9:10], s[0:1]
	s_mov_b32 s0, 0xb6813baf
	s_mov_b32 s1, 0xbf4f9182
	v_mul_f64 v[75:76], v[9:10], s[0:1]
	s_mov_b32 s1, 0x3fddeb85
	s_delay_alu instid0(VALU_DEP_3) | instskip(NEXT) | instid1(VALU_DEP_3)
	v_div_fixup_f64 v[63:64], v[67:68], v[63:64], 1.0
	v_mul_f64 v[77:78], v[73:74], s[76:77]
	s_delay_alu instid0(VALU_DEP_3) | instskip(SKIP_1) | instid1(VALU_DEP_4)
	v_mul_f64 v[79:80], v[75:76], s[76:77]
	v_cmp_ngt_f64_e64 s2, 0xc090cc00, v[75:76]
	v_mul_f64 v[61:62], v[61:62], v[63:64]
	s_delay_alu instid0(VALU_DEP_4) | instskip(NEXT) | instid1(VALU_DEP_4)
	v_rndne_f64_e32 v[77:78], v[77:78]
	v_rndne_f64_e32 v[79:80], v[79:80]
	s_delay_alu instid0(VALU_DEP_3) | instskip(SKIP_2) | instid1(VALU_DEP_4)
	v_mul_f64 v[63:64], v[61:62], s[38:39]
	v_cmp_nlt_f64_e32 vcc_lo, 0x40900000, v[61:62]
	v_cmp_ngt_f64_e64 s0, 0xc090cc00, v[61:62]
	v_fma_f64 v[83:84], v[79:80], s[78:79], v[75:76]
	s_delay_alu instid0(VALU_DEP_4) | instskip(NEXT) | instid1(VALU_DEP_1)
	v_rndne_f64_e32 v[63:64], v[63:64]
	v_fma_f64 v[67:68], v[63:64], s[56:57], v[61:62]
	v_cvt_i32_f64_e32 v58, v[63:64]
	s_delay_alu instid0(VALU_DEP_2) | instskip(NEXT) | instid1(VALU_DEP_1)
	v_fma_f64 v[67:68], v[63:64], s[50:51], v[67:68]
	v_mul_f64 v[71:72], v[67:68], s[64:65]
	s_delay_alu instid0(VALU_DEP_1) | instskip(NEXT) | instid1(VALU_DEP_1)
	v_fma_f64 v[67:68], v[67:68], s[66:67], v[71:72]
	v_fma_f64 v[71:72], v[67:68], s[18:19], s[14:15]
	s_delay_alu instid0(VALU_DEP_1) | instskip(NEXT) | instid1(VALU_DEP_1)
	v_fma_f64 v[71:72], v[67:68], v[71:72], s[20:21]
	v_fma_f64 v[71:72], v[67:68], v[71:72], s[22:23]
	;; [unrolled: 3-line block ×5, first 2 shown]
	s_delay_alu instid0(VALU_DEP_1) | instskip(NEXT) | instid1(VALU_DEP_1)
	v_fma_f64 v[71:72], v[67:68], v[71:72], 1.0
	v_fma_f64 v[63:64], v[67:68], v[71:72], 1.0
	v_fma_f64 v[67:68], v[77:78], s[78:79], v[73:74]
	v_mul_f64 v[71:72], v[81:82], s[76:77]
	s_delay_alu instid0(VALU_DEP_3) | instskip(NEXT) | instid1(VALU_DEP_3)
	v_ldexp_f64 v[63:64], v[63:64], v58
	v_fma_f64 v[67:68], v[77:78], s[74:75], v[67:68]
	s_delay_alu instid0(VALU_DEP_3)
	v_rndne_f64_e32 v[69:70], v[71:72]
	v_fma_f64 v[71:72], v[79:80], s[74:75], v[83:84]
	v_cvt_i32_f64_e32 v79, v[79:80]
	v_cndmask_b32_e32 v58, 0x7ff00000, v64, vcc_lo
	v_fma_f64 v[61:62], v[67:68], s[18:19], s[14:15]
	v_fma_f64 v[64:65], v[69:70], s[78:79], v[81:82]
	;; [unrolled: 1-line block ×3, first 2 shown]
	s_and_b32 vcc_lo, s0, vcc_lo
	v_cndmask_b32_e64 v86, 0, v58, s0
	v_cndmask_b32_e32 v85, 0, v63, vcc_lo
	s_mov_b32 s0, s72
	s_delay_alu instid0(VALU_DEP_1) | instskip(SKIP_3) | instid1(VALU_DEP_4)
	v_mul_f64 v[55:56], v[55:56], v[85:86]
	v_fma_f64 v[61:62], v[67:68], v[61:62], s[20:21]
	v_fma_f64 v[63:64], v[69:70], s[74:75], v[64:65]
	;; [unrolled: 1-line block ×3, first 2 shown]
	v_mul_f64 v[83:84], v[0:1], v[55:56]
	v_lshl_add_u32 v1, s33, 2, v57
	v_cvt_i32_f64_e32 v0, v[77:78]
	s_delay_alu instid0(VALU_DEP_2) | instskip(SKIP_3) | instid1(VALU_DEP_4)
	v_lshlrev_b64 v[57:58], 3, v[1:2]
	v_fma_f64 v[85:86], v[67:68], v[61:62], s[22:23]
	v_fma_f64 v[87:88], v[63:64], s[18:19], s[14:15]
	;; [unrolled: 1-line block ×3, first 2 shown]
	v_add_co_u32 v61, vcc_lo, s8, v57
	v_add_co_ci_u32_e32 v62, vcc_lo, s9, v58, vcc_lo
	v_cmp_nlt_f64_e32 vcc_lo, 0x40900000, v[73:74]
	global_store_b64 v[59:60], v[83:84], off
	global_load_b64 v[59:60], v[61:62], off
	v_fma_f64 v[83:84], v[67:68], v[85:86], s[24:25]
	v_fma_f64 v[85:86], v[63:64], v[87:88], s[20:21]
	;; [unrolled: 1-line block ×3, first 2 shown]
	s_delay_alu instid0(VALU_DEP_3) | instskip(NEXT) | instid1(VALU_DEP_3)
	v_fma_f64 v[83:84], v[67:68], v[83:84], s[26:27]
	v_fma_f64 v[85:86], v[63:64], v[85:86], s[22:23]
	s_delay_alu instid0(VALU_DEP_3) | instskip(NEXT) | instid1(VALU_DEP_3)
	v_fma_f64 v[65:66], v[71:72], v[65:66], s[26:27]
	v_fma_f64 v[83:84], v[67:68], v[83:84], s[28:29]
	;; [unrolled: 3-line block ×7, first 2 shown]
	s_delay_alu instid0(VALU_DEP_3) | instskip(NEXT) | instid1(VALU_DEP_3)
	v_fma_f64 v[65:66], v[71:72], v[65:66], s[16:17]
	v_fma_f64 v[83:84], v[67:68], v[83:84], 1.0
	s_delay_alu instid0(VALU_DEP_3) | instskip(NEXT) | instid1(VALU_DEP_3)
	v_fma_f64 v[85:86], v[63:64], v[85:86], s[6:7]
	v_fma_f64 v[65:66], v[71:72], v[65:66], 1.0
	s_delay_alu instid0(VALU_DEP_3) | instskip(NEXT) | instid1(VALU_DEP_3)
	v_fma_f64 v[67:68], v[67:68], v[83:84], 1.0
	v_fma_f64 v[77:78], v[63:64], v[85:86], s[16:17]
	s_delay_alu instid0(VALU_DEP_3) | instskip(NEXT) | instid1(VALU_DEP_3)
	v_fma_f64 v[65:66], v[71:72], v[65:66], 1.0
	v_ldexp_f64 v[67:68], v[67:68], v0
	s_delay_alu instid0(VALU_DEP_3) | instskip(NEXT) | instid1(VALU_DEP_3)
	v_fma_f64 v[71:72], v[63:64], v[77:78], 1.0
	v_ldexp_f64 v[65:66], v[65:66], v79
	s_waitcnt vmcnt(0)
	v_div_scale_f64 v[77:78], null, v[59:60], v[59:60], 1.0
	v_cvt_i32_f64_e32 v0, v[69:70]
	v_mul_f64 v[67:68], v[67:68], s[0:1]
	s_mov_b32 s0, 0x70a3d70a
	s_mov_b32 s1, 0x3fe10a3d
	v_fma_f64 v[63:64], v[63:64], v[71:72], 1.0
	v_mul_f64 v[65:66], v[65:66], s[0:1]
	v_cmp_ngt_f64_e64 s0, 0xc090cc00, v[73:74]
	v_rcp_f64_e32 v[69:70], v[77:78]
	v_cmp_nlt_f64_e64 s1, 0x40900000, v[75:76]
	v_mov_b32_e32 v74, v2
	v_cndmask_b32_e32 v68, 0x7ff00000, v68, vcc_lo
	v_ldexp_f64 v[63:64], v[63:64], v0
	s_and_b32 vcc_lo, s0, vcc_lo
	s_delay_alu instid0(VALU_DEP_2) | instskip(SKIP_2) | instid1(TRANS32_DEP_1)
	v_cndmask_b32_e64 v68, 0, v68, s0
	v_cndmask_b32_e32 v67, 0, v67, vcc_lo
	v_cmp_nlt_f64_e32 vcc_lo, 0x40900000, v[81:82]
	v_fma_f64 v[71:72], -v[77:78], v[69:70], 1.0
	v_cndmask_b32_e64 v0, 0x7ff00000, v66, s1
	v_cmp_ngt_f64_e64 s0, 0xc090cc00, v[81:82]
	s_and_b32 s1, s2, s1
	s_delay_alu instid0(SALU_CYCLE_1) | instskip(NEXT) | instid1(VALU_DEP_3)
	v_cndmask_b32_e64 v65, 0, v65, s1
	v_cndmask_b32_e64 v66, 0, v0, s2
	s_mov_b32 s2, 0x1068f29
	s_mov_b32 s3, 0xbfcdd089
	v_cndmask_b32_e32 v0, 0x7ff00000, v64, vcc_lo
	s_delay_alu instid0(VALU_DEP_2) | instskip(SKIP_2) | instid1(VALU_DEP_3)
	v_add_f64 v[64:65], v[67:68], v[65:66]
	v_fma_f64 v[66:67], v[69:70], v[71:72], v[69:70]
	s_and_b32 vcc_lo, s0, vcc_lo
	v_cndmask_b32_e64 v69, 0, v0, s0
	v_cndmask_b32_e32 v68, 0, v63, vcc_lo
	v_div_scale_f64 v[70:71], vcc_lo, 1.0, v[59:60], 1.0
	s_delay_alu instid0(VALU_DEP_2) | instskip(SKIP_1) | instid1(VALU_DEP_2)
	v_add_f64 v[63:64], v[68:69], v[64:65]
	v_fma_f64 v[68:69], -v[77:78], v[66:67], 1.0
	v_max_f64 v[63:64], 0x38100000, v[63:64]
	s_delay_alu instid0(VALU_DEP_2) | instskip(NEXT) | instid1(VALU_DEP_2)
	v_fma_f64 v[65:66], v[66:67], v[68:69], v[66:67]
	v_frexp_mant_f64_e32 v[67:68], v[63:64]
	s_delay_alu instid0(VALU_DEP_2) | instskip(SKIP_1) | instid1(VALU_DEP_3)
	v_mul_f64 v[72:73], v[70:71], v[65:66]
	v_frexp_exp_i32_f64_e32 v0, v[63:64]
	v_cmp_gt_f64_e64 s0, s[58:59], v[67:68]
	s_delay_alu instid0(VALU_DEP_3) | instskip(NEXT) | instid1(VALU_DEP_2)
	v_fma_f64 v[69:70], -v[77:78], v[72:73], v[70:71]
	v_cndmask_b32_e64 v75, 0x3ff00000, 2.0, s0
	s_delay_alu instid0(VALU_DEP_2) | instskip(SKIP_1) | instid1(VALU_DEP_3)
	v_div_fmas_f64 v[65:66], v[69:70], v[65:66], v[72:73]
	v_subrev_co_ci_u32_e64 v0, s0, 0, v0, s0
	v_mul_f64 v[67:68], v[67:68], v[74:75]
	s_delay_alu instid0(VALU_DEP_3) | instskip(NEXT) | instid1(VALU_DEP_2)
	v_div_fixup_f64 v[65:66], v[65:66], v[59:60], 1.0
	v_add_f64 v[69:70], v[67:68], 1.0
	v_add_f64 v[81:82], v[67:68], -1.0
	s_delay_alu instid0(VALU_DEP_3) | instskip(NEXT) | instid1(VALU_DEP_3)
	v_mul_f64 v[65:66], v[7:8], v[65:66]
	v_rcp_f64_e32 v[71:72], v[69:70]
	v_add_f64 v[83:84], v[69:70], -1.0
	s_delay_alu instid0(VALU_DEP_2) | instskip(SKIP_1) | instid1(VALU_DEP_3)
	v_mul_f64 v[75:76], v[21:22], v[65:66]
	v_fma_f64 v[21:22], v[21:22], v[65:66], 1.0
	v_add_f64 v[67:68], v[67:68], -v[83:84]
	s_waitcnt_depctr 0xfff
	v_fma_f64 v[73:74], -v[69:70], v[71:72], 1.0
	s_delay_alu instid0(VALU_DEP_1) | instskip(SKIP_1) | instid1(VALU_DEP_2)
	v_fma_f64 v[71:72], v[73:74], v[71:72], v[71:72]
	v_max_f64 v[73:74], 0x38100000, v[75:76]
	v_fma_f64 v[77:78], -v[69:70], v[71:72], 1.0
	s_delay_alu instid0(VALU_DEP_2) | instskip(NEXT) | instid1(VALU_DEP_2)
	v_frexp_mant_f64_e32 v[79:80], v[73:74]
	v_fma_f64 v[71:72], v[77:78], v[71:72], v[71:72]
	s_delay_alu instid0(VALU_DEP_2) | instskip(SKIP_2) | instid1(VALU_DEP_1)
	v_cmp_gt_f64_e32 vcc_lo, s[58:59], v[79:80]
	v_mov_b32_e32 v77, v2
	v_cndmask_b32_e64 v78, 0x3ff00000, 2.0, vcc_lo
	v_mul_f64 v[77:78], v[79:80], v[77:78]
	v_mul_f64 v[79:80], v[81:82], v[71:72]
	s_delay_alu instid0(VALU_DEP_2) | instskip(NEXT) | instid1(VALU_DEP_2)
	v_add_f64 v[85:86], v[77:78], 1.0
	v_mul_f64 v[87:88], v[69:70], v[79:80]
	s_delay_alu instid0(VALU_DEP_2) | instskip(NEXT) | instid1(VALU_DEP_1)
	v_rcp_f64_e32 v[83:84], v[85:86]
	v_fma_f64 v[69:70], v[79:80], v[69:70], -v[87:88]
	s_delay_alu instid0(VALU_DEP_1) | instskip(SKIP_3) | instid1(VALU_DEP_2)
	v_fma_f64 v[67:68], v[79:80], v[67:68], v[69:70]
	s_waitcnt_depctr 0xfff
	v_fma_f64 v[69:70], -v[85:86], v[83:84], 1.0
	v_add_f64 v[89:90], v[87:88], v[67:68]
	v_fma_f64 v[69:70], v[69:70], v[83:84], v[83:84]
	s_delay_alu instid0(VALU_DEP_2) | instskip(NEXT) | instid1(VALU_DEP_2)
	v_add_f64 v[83:84], v[81:82], -v[89:90]
	v_fma_f64 v[91:92], -v[85:86], v[69:70], 1.0
	v_add_f64 v[87:88], v[89:90], -v[87:88]
	s_delay_alu instid0(VALU_DEP_3) | instskip(NEXT) | instid1(VALU_DEP_3)
	v_add_f64 v[81:82], v[81:82], -v[83:84]
	v_fma_f64 v[69:70], v[91:92], v[69:70], v[69:70]
	v_add_f64 v[91:92], v[77:78], -1.0
	s_delay_alu instid0(VALU_DEP_4) | instskip(NEXT) | instid1(VALU_DEP_4)
	v_add_f64 v[67:68], v[87:88], -v[67:68]
	v_add_f64 v[81:82], v[81:82], -v[89:90]
	s_delay_alu instid0(VALU_DEP_3) | instskip(NEXT) | instid1(VALU_DEP_2)
	v_mul_f64 v[87:88], v[91:92], v[69:70]
	v_add_f64 v[67:68], v[67:68], v[81:82]
	v_add_f64 v[81:82], v[85:86], -1.0
	s_delay_alu instid0(VALU_DEP_3) | instskip(NEXT) | instid1(VALU_DEP_3)
	v_mul_f64 v[89:90], v[85:86], v[87:88]
	v_add_f64 v[67:68], v[83:84], v[67:68]
	s_delay_alu instid0(VALU_DEP_3) | instskip(NEXT) | instid1(VALU_DEP_3)
	v_add_f64 v[77:78], v[77:78], -v[81:82]
	v_fma_f64 v[81:82], v[87:88], v[85:86], -v[89:90]
	s_delay_alu instid0(VALU_DEP_3) | instskip(NEXT) | instid1(VALU_DEP_2)
	v_mul_f64 v[67:68], v[71:72], v[67:68]
	v_fma_f64 v[77:78], v[87:88], v[77:78], v[81:82]
	s_delay_alu instid0(VALU_DEP_2) | instskip(NEXT) | instid1(VALU_DEP_2)
	v_add_f64 v[81:82], v[79:80], v[67:68]
	v_add_f64 v[71:72], v[89:90], v[77:78]
	s_delay_alu instid0(VALU_DEP_2) | instskip(NEXT) | instid1(VALU_DEP_2)
	v_add_f64 v[79:80], v[81:82], -v[79:80]
	v_add_f64 v[83:84], v[91:92], -v[71:72]
	;; [unrolled: 1-line block ×3, first 2 shown]
	v_mul_f64 v[89:90], v[81:82], v[81:82]
	s_delay_alu instid0(VALU_DEP_4) | instskip(NEXT) | instid1(VALU_DEP_4)
	v_add_f64 v[67:68], v[67:68], -v[79:80]
	v_add_f64 v[91:92], v[91:92], -v[83:84]
	s_delay_alu instid0(VALU_DEP_4) | instskip(NEXT) | instid1(VALU_DEP_4)
	v_add_f64 v[77:78], v[85:86], -v[77:78]
	v_fma_f64 v[85:86], v[89:90], s[42:43], s[36:37]
	s_delay_alu instid0(VALU_DEP_4) | instskip(NEXT) | instid1(VALU_DEP_4)
	v_ldexp_f64 v[67:68], v[67:68], 1
	v_add_f64 v[71:72], v[91:92], -v[71:72]
	s_delay_alu instid0(VALU_DEP_3) | instskip(NEXT) | instid1(VALU_DEP_2)
	v_fma_f64 v[85:86], v[89:90], v[85:86], s[48:49]
	v_add_f64 v[71:72], v[77:78], v[71:72]
	s_delay_alu instid0(VALU_DEP_2) | instskip(NEXT) | instid1(VALU_DEP_2)
	v_fma_f64 v[77:78], v[89:90], v[85:86], s[52:53]
	v_add_f64 v[71:72], v[83:84], v[71:72]
	v_mul_f64 v[83:84], v[81:82], v[89:90]
	s_delay_alu instid0(VALU_DEP_3) | instskip(NEXT) | instid1(VALU_DEP_3)
	v_fma_f64 v[77:78], v[89:90], v[77:78], s[60:61]
	v_mul_f64 v[69:70], v[69:70], v[71:72]
	s_delay_alu instid0(VALU_DEP_2) | instskip(NEXT) | instid1(VALU_DEP_2)
	v_fma_f64 v[71:72], v[89:90], v[77:78], s[44:45]
	v_add_f64 v[77:78], v[87:88], v[69:70]
	s_delay_alu instid0(VALU_DEP_2) | instskip(SKIP_1) | instid1(VALU_DEP_3)
	v_fma_f64 v[71:72], v[89:90], v[71:72], s[40:41]
	v_ldexp_f64 v[89:90], v[81:82], 1
	v_mul_f64 v[85:86], v[77:78], v[77:78]
	v_ldexp_f64 v[91:92], v[77:78], 1
	s_delay_alu instid0(VALU_DEP_4) | instskip(NEXT) | instid1(VALU_DEP_3)
	v_mul_f64 v[71:72], v[83:84], v[71:72]
	v_fma_f64 v[83:84], v[85:86], s[42:43], s[36:37]
	s_delay_alu instid0(VALU_DEP_2) | instskip(NEXT) | instid1(VALU_DEP_2)
	v_add_f64 v[81:82], v[89:90], v[71:72]
	v_fma_f64 v[83:84], v[85:86], v[83:84], s[48:49]
	s_delay_alu instid0(VALU_DEP_2) | instskip(SKIP_2) | instid1(VALU_DEP_4)
	v_add_f64 v[79:80], v[81:82], -v[89:90]
	v_cvt_f64_i32_e32 v[89:90], v0
	v_frexp_exp_i32_f64_e32 v0, v[73:74]
	v_fma_f64 v[83:84], v[85:86], v[83:84], s[52:53]
	s_delay_alu instid0(VALU_DEP_4) | instskip(NEXT) | instid1(VALU_DEP_3)
	v_add_f64 v[71:72], v[71:72], -v[79:80]
	v_subrev_co_ci_u32_e32 v0, vcc_lo, 0, v0, vcc_lo
	v_cmp_eq_f64_e32 vcc_lo, 0x7ff00000, v[63:64]
	s_delay_alu instid0(VALU_DEP_4) | instskip(SKIP_3) | instid1(VALU_DEP_4)
	v_fma_f64 v[79:80], v[85:86], v[83:84], s[60:61]
	v_mul_f64 v[83:84], v[77:78], v[85:86]
	v_add_f64 v[67:68], v[67:68], v[71:72]
	v_add_f64 v[77:78], v[77:78], -v[87:88]
	v_fma_f64 v[71:72], v[85:86], v[79:80], s[44:45]
	s_delay_alu instid0(VALU_DEP_3) | instskip(NEXT) | instid1(VALU_DEP_3)
	v_add_f64 v[79:80], v[81:82], v[67:68]
	v_add_f64 v[69:70], v[69:70], -v[77:78]
	s_delay_alu instid0(VALU_DEP_3) | instskip(NEXT) | instid1(VALU_DEP_3)
	v_fma_f64 v[71:72], v[85:86], v[71:72], s[40:41]
	v_add_f64 v[81:82], v[79:80], -v[81:82]
	v_mul_f64 v[85:86], v[79:80], s[30:31]
	s_delay_alu instid0(VALU_DEP_4) | instskip(NEXT) | instid1(VALU_DEP_4)
	v_ldexp_f64 v[69:70], v[69:70], 1
	v_mul_f64 v[71:72], v[83:84], v[71:72]
	v_mul_f64 v[83:84], v[89:90], s[34:35]
	v_add_f64 v[67:68], v[67:68], -v[81:82]
	v_fma_f64 v[81:82], v[79:80], s[30:31], -v[85:86]
	s_delay_alu instid0(VALU_DEP_4) | instskip(NEXT) | instid1(VALU_DEP_2)
	v_add_f64 v[87:88], v[91:92], v[71:72]
	v_fma_f64 v[67:68], v[67:68], s[30:31], v[81:82]
	v_fma_f64 v[81:82], v[89:90], s[34:35], -v[83:84]
	s_delay_alu instid0(VALU_DEP_3) | instskip(NEXT) | instid1(VALU_DEP_3)
	v_add_f64 v[77:78], v[87:88], -v[91:92]
	v_fma_f64 v[67:68], v[79:80], s[54:55], v[67:68]
	s_delay_alu instid0(VALU_DEP_3) | instskip(SKIP_1) | instid1(VALU_DEP_4)
	v_fma_f64 v[81:82], v[89:90], s[46:47], v[81:82]
	v_cvt_f64_i32_e32 v[89:90], v0
	v_add_f64 v[71:72], v[71:72], -v[77:78]
	s_delay_alu instid0(VALU_DEP_4) | instskip(NEXT) | instid1(VALU_DEP_4)
	v_add_f64 v[79:80], v[85:86], v[67:68]
	v_add_f64 v[77:78], v[83:84], v[81:82]
	s_delay_alu instid0(VALU_DEP_3) | instskip(NEXT) | instid1(VALU_DEP_2)
	v_add_f64 v[69:70], v[69:70], v[71:72]
	v_add_f64 v[71:72], v[77:78], -v[83:84]
	s_delay_alu instid0(VALU_DEP_4) | instskip(SKIP_1) | instid1(VALU_DEP_4)
	v_add_f64 v[83:84], v[79:80], -v[85:86]
	v_mul_f64 v[85:86], v[89:90], s[34:35]
	v_add_f64 v[91:92], v[87:88], v[69:70]
	s_delay_alu instid0(VALU_DEP_4) | instskip(NEXT) | instid1(VALU_DEP_4)
	v_add_f64 v[71:72], v[81:82], -v[71:72]
	v_add_f64 v[67:68], v[67:68], -v[83:84]
	s_delay_alu instid0(VALU_DEP_4) | instskip(NEXT) | instid1(VALU_DEP_4)
	v_fma_f64 v[81:82], v[89:90], s[34:35], -v[85:86]
	v_add_f64 v[83:84], v[91:92], -v[87:88]
	v_mul_f64 v[87:88], v[91:92], s[30:31]
	s_delay_alu instid0(VALU_DEP_3) | instskip(SKIP_1) | instid1(VALU_DEP_4)
	v_fma_f64 v[81:82], v[89:90], s[46:47], v[81:82]
	v_add_f64 v[89:90], v[77:78], v[79:80]
	v_add_f64 v[69:70], v[69:70], -v[83:84]
	s_delay_alu instid0(VALU_DEP_4) | instskip(NEXT) | instid1(VALU_DEP_1)
	v_fma_f64 v[83:84], v[91:92], s[30:31], -v[87:88]
	v_fma_f64 v[69:70], v[69:70], s[30:31], v[83:84]
	s_delay_alu instid0(VALU_DEP_4) | instskip(NEXT) | instid1(VALU_DEP_2)
	v_add_f64 v[83:84], v[89:90], -v[77:78]
	v_fma_f64 v[69:70], v[91:92], s[54:55], v[69:70]
	s_delay_alu instid0(VALU_DEP_2) | instskip(SKIP_2) | instid1(VALU_DEP_3)
	v_add_f64 v[91:92], v[89:90], -v[83:84]
	v_add_f64 v[79:80], v[79:80], -v[83:84]
	v_add_f64 v[83:84], v[85:86], v[81:82]
	v_add_f64 v[77:78], v[77:78], -v[91:92]
	v_add_f64 v[91:92], v[87:88], v[69:70]
	s_delay_alu instid0(VALU_DEP_3) | instskip(NEXT) | instid1(VALU_DEP_3)
	v_add_f64 v[85:86], v[83:84], -v[85:86]
	v_add_f64 v[77:78], v[79:80], v[77:78]
	s_delay_alu instid0(VALU_DEP_3) | instskip(NEXT) | instid1(VALU_DEP_3)
	v_add_f64 v[79:80], v[83:84], v[91:92]
	v_add_f64 v[81:82], v[81:82], -v[85:86]
	v_add_f64 v[85:86], v[91:92], -v[87:88]
	s_delay_alu instid0(VALU_DEP_3) | instskip(NEXT) | instid1(VALU_DEP_2)
	v_add_f64 v[87:88], v[79:80], -v[83:84]
	v_add_f64 v[69:70], v[69:70], -v[85:86]
	s_delay_alu instid0(VALU_DEP_2) | instskip(SKIP_2) | instid1(VALU_DEP_3)
	v_add_f64 v[85:86], v[79:80], -v[87:88]
	v_add_f64 v[87:88], v[91:92], -v[87:88]
	v_add_f64 v[91:92], v[71:72], v[67:68]
	v_add_f64 v[83:84], v[83:84], -v[85:86]
	s_delay_alu instid0(VALU_DEP_2) | instskip(SKIP_1) | instid1(VALU_DEP_3)
	v_add_f64 v[85:86], v[91:92], -v[71:72]
	v_add_f64 v[77:78], v[91:92], v[77:78]
	v_add_f64 v[83:84], v[87:88], v[83:84]
	v_add_f64 v[87:88], v[81:82], v[69:70]
	s_delay_alu instid0(VALU_DEP_4) | instskip(SKIP_2) | instid1(VALU_DEP_4)
	v_add_f64 v[91:92], v[91:92], -v[85:86]
	v_add_f64 v[67:68], v[67:68], -v[85:86]
	v_add_f64 v[85:86], v[89:90], v[77:78]
	v_add_f64 v[83:84], v[87:88], v[83:84]
	s_delay_alu instid0(VALU_DEP_4) | instskip(SKIP_1) | instid1(VALU_DEP_4)
	v_add_f64 v[71:72], v[71:72], -v[91:92]
	v_add_f64 v[91:92], v[87:88], -v[81:82]
	;; [unrolled: 1-line block ×3, first 2 shown]
	s_delay_alu instid0(VALU_DEP_3) | instskip(NEXT) | instid1(VALU_DEP_3)
	v_add_f64 v[67:68], v[67:68], v[71:72]
	v_add_f64 v[71:72], v[87:88], -v[91:92]
	v_add_f64 v[87:88], v[79:80], v[83:84]
	s_delay_alu instid0(VALU_DEP_4) | instskip(SKIP_1) | instid1(VALU_DEP_4)
	v_add_f64 v[77:78], v[77:78], -v[89:90]
	v_add_f64 v[69:70], v[69:70], -v[91:92]
	;; [unrolled: 1-line block ×3, first 2 shown]
	s_delay_alu instid0(VALU_DEP_4) | instskip(NEXT) | instid1(VALU_DEP_4)
	v_add_f64 v[79:80], v[87:88], -v[79:80]
	v_add_f64 v[67:68], v[67:68], v[77:78]
	s_delay_alu instid0(VALU_DEP_3) | instskip(NEXT) | instid1(VALU_DEP_3)
	v_add_f64 v[69:70], v[69:70], v[71:72]
	v_add_f64 v[71:72], v[83:84], -v[79:80]
	s_delay_alu instid0(VALU_DEP_3) | instskip(NEXT) | instid1(VALU_DEP_2)
	v_add_f64 v[67:68], v[85:86], v[67:68]
	v_add_f64 v[69:70], v[69:70], v[71:72]
	s_delay_alu instid0(VALU_DEP_2) | instskip(SKIP_1) | instid1(VALU_DEP_2)
	v_dual_cndmask_b32 v64, v68, v64 :: v_dual_cndmask_b32 v63, v67, v63
	v_cmp_eq_f64_e32 vcc_lo, 0x7ff00000, v[73:74]
	v_fma_f64 v[71:72], v[63:64], s[70:71], 0x3fe80000
	s_delay_alu instid0(VALU_DEP_4) | instskip(SKIP_1) | instid1(VALU_DEP_2)
	v_add_f64 v[67:68], v[87:88], v[69:70]
	v_fma_f64 v[69:70], v[63:64], s[68:69], s[62:63]
	v_dual_cndmask_b32 v68, v68, v74 :: v_dual_cndmask_b32 v67, v67, v73
	v_div_scale_f64 v[83:84], vcc_lo, 1.0, v[21:22], 1.0
	s_delay_alu instid0(VALU_DEP_2) | instskip(SKIP_1) | instid1(VALU_DEP_2)
	v_add_f64 v[67:68], v[67:68], -v[69:70]
	v_div_scale_f64 v[69:70], null, v[21:22], v[21:22], 1.0
	v_fma_f64 v[65:66], v[67:68], s[72:73], v[71:72]
	s_delay_alu instid0(VALU_DEP_2) | instskip(NEXT) | instid1(VALU_DEP_1)
	v_rcp_f64_e32 v[73:74], v[69:70]
	v_div_scale_f64 v[71:72], null, v[65:66], v[65:66], 1.0
	s_waitcnt_depctr 0xfff
	v_fma_f64 v[79:80], -v[69:70], v[73:74], 1.0
	v_rcp_f64_e32 v[77:78], v[71:72]
	s_delay_alu instid0(VALU_DEP_1) | instskip(SKIP_3) | instid1(VALU_DEP_2)
	v_fma_f64 v[73:74], v[73:74], v[79:80], v[73:74]
	s_waitcnt_depctr 0xfff
	v_fma_f64 v[81:82], -v[71:72], v[77:78], 1.0
	v_fma_f64 v[79:80], -v[69:70], v[73:74], 1.0
	v_fma_f64 v[77:78], v[77:78], v[81:82], v[77:78]
	s_delay_alu instid0(VALU_DEP_2) | instskip(SKIP_1) | instid1(VALU_DEP_3)
	v_fma_f64 v[73:74], v[73:74], v[79:80], v[73:74]
	v_div_scale_f64 v[79:80], s0, 1.0, v[65:66], 1.0
	v_fma_f64 v[81:82], -v[71:72], v[77:78], 1.0
	s_delay_alu instid0(VALU_DEP_1) | instskip(NEXT) | instid1(VALU_DEP_4)
	v_fma_f64 v[77:78], v[77:78], v[81:82], v[77:78]
	v_mul_f64 v[81:82], v[83:84], v[73:74]
	s_delay_alu instid0(VALU_DEP_2) | instskip(NEXT) | instid1(VALU_DEP_2)
	v_mul_f64 v[85:86], v[79:80], v[77:78]
	v_fma_f64 v[69:70], -v[69:70], v[81:82], v[83:84]
	s_delay_alu instid0(VALU_DEP_2) | instskip(NEXT) | instid1(VALU_DEP_2)
	v_fma_f64 v[71:72], -v[71:72], v[85:86], v[79:80]
	v_div_fmas_f64 v[69:70], v[69:70], v[73:74], v[81:82]
	s_mov_b32 vcc_lo, s0
	s_delay_alu instid0(VALU_DEP_2) | instskip(NEXT) | instid1(VALU_DEP_2)
	v_div_fmas_f64 v[71:72], v[71:72], v[77:78], v[85:86]
	v_div_fixup_f64 v[21:22], v[69:70], v[21:22], 1.0
	s_delay_alu instid0(VALU_DEP_2) | instskip(NEXT) | instid1(VALU_DEP_2)
	v_div_fixup_f64 v[65:66], v[71:72], v[65:66], 1.0
	v_mul_f64 v[21:22], v[75:76], v[21:22]
	s_delay_alu instid0(VALU_DEP_2) | instskip(NEXT) | instid1(VALU_DEP_1)
	v_mul_f64 v[65:66], v[67:68], v[65:66]
	v_fma_f64 v[65:66], v[65:66], v[65:66], 1.0
	s_delay_alu instid0(VALU_DEP_1) | instskip(SKIP_1) | instid1(VALU_DEP_2)
	v_div_scale_f64 v[67:68], null, v[65:66], v[65:66], 1.0
	v_div_scale_f64 v[77:78], vcc_lo, 1.0, v[65:66], 1.0
	v_rcp_f64_e32 v[71:72], v[67:68]
	s_waitcnt_depctr 0xfff
	v_fma_f64 v[73:74], -v[67:68], v[71:72], 1.0
	s_delay_alu instid0(VALU_DEP_1) | instskip(NEXT) | instid1(VALU_DEP_1)
	v_fma_f64 v[71:72], v[71:72], v[73:74], v[71:72]
	v_fma_f64 v[73:74], -v[67:68], v[71:72], 1.0
	s_delay_alu instid0(VALU_DEP_1) | instskip(NEXT) | instid1(VALU_DEP_1)
	v_fma_f64 v[71:72], v[71:72], v[73:74], v[71:72]
	v_mul_f64 v[73:74], v[77:78], v[71:72]
	s_delay_alu instid0(VALU_DEP_1) | instskip(NEXT) | instid1(VALU_DEP_1)
	v_fma_f64 v[67:68], -v[67:68], v[73:74], v[77:78]
	v_div_fmas_f64 v[67:68], v[67:68], v[71:72], v[73:74]
	s_delay_alu instid0(VALU_DEP_1) | instskip(NEXT) | instid1(VALU_DEP_1)
	v_div_fixup_f64 v[65:66], v[67:68], v[65:66], 1.0
	v_mul_f64 v[63:64], v[63:64], v[65:66]
	s_delay_alu instid0(VALU_DEP_1) | instskip(SKIP_2) | instid1(VALU_DEP_3)
	v_mul_f64 v[65:66], v[63:64], s[38:39]
	v_cmp_nlt_f64_e32 vcc_lo, 0x40900000, v[63:64]
	v_cmp_ngt_f64_e64 s0, 0xc090cc00, v[63:64]
	v_rndne_f64_e32 v[65:66], v[65:66]
	s_delay_alu instid0(VALU_DEP_1) | instskip(SKIP_1) | instid1(VALU_DEP_2)
	v_fma_f64 v[67:68], v[65:66], s[56:57], v[63:64]
	v_cvt_i32_f64_e32 v0, v[65:66]
	v_fma_f64 v[67:68], v[65:66], s[50:51], v[67:68]
	s_delay_alu instid0(VALU_DEP_1) | instskip(NEXT) | instid1(VALU_DEP_1)
	v_mul_f64 v[71:72], v[67:68], s[64:65]
	v_fma_f64 v[67:68], v[67:68], s[66:67], v[71:72]
	s_delay_alu instid0(VALU_DEP_1) | instskip(NEXT) | instid1(VALU_DEP_1)
	v_fma_f64 v[71:72], v[67:68], s[18:19], s[14:15]
	v_fma_f64 v[71:72], v[67:68], v[71:72], s[20:21]
	s_delay_alu instid0(VALU_DEP_1) | instskip(NEXT) | instid1(VALU_DEP_1)
	v_fma_f64 v[71:72], v[67:68], v[71:72], s[22:23]
	;; [unrolled: 3-line block ×5, first 2 shown]
	v_fma_f64 v[71:72], v[67:68], v[71:72], 1.0
	s_delay_alu instid0(VALU_DEP_1) | instskip(NEXT) | instid1(VALU_DEP_1)
	v_fma_f64 v[65:66], v[67:68], v[71:72], 1.0
	v_ldexp_f64 v[65:66], v[65:66], v0
	s_delay_alu instid0(VALU_DEP_1) | instskip(SKIP_1) | instid1(VALU_DEP_2)
	v_cndmask_b32_e32 v0, 0x7ff00000, v66, vcc_lo
	s_and_b32 vcc_lo, s0, vcc_lo
	v_cndmask_b32_e32 v63, 0, v65, vcc_lo
	v_mad_u64_u32 v[65:66], null, s33, 21, v[1:2]
	s_delay_alu instid0(VALU_DEP_3) | instskip(SKIP_3) | instid1(VALU_DEP_2)
	v_cndmask_b32_e64 v64, 0, v0, s0
	v_mov_b32_e32 v66, v2
	s_mov_b32 s0, 0xcf48b83b
	s_mov_b32 s1, 0xbf285898
	v_mul_f64 v[21:22], v[21:22], v[63:64]
	s_delay_alu instid0(VALU_DEP_1) | instskip(SKIP_1) | instid1(VALU_DEP_1)
	v_mul_f64 v[63:64], v[59:60], v[21:22]
	v_lshlrev_b64 v[59:60], 3, v[65:66]
	v_add_co_u32 v66, vcc_lo, s8, v59
	s_delay_alu instid0(VALU_DEP_2)
	v_add_co_ci_u32_e32 v67, vcc_lo, s9, v60, vcc_lo
	v_add_co_u32 v11, vcc_lo, s12, v11
	v_add_co_ci_u32_e32 v12, vcc_lo, s13, v12, vcc_lo
	global_load_b64 v[11:12], v[11:12], off
	global_store_b64 v[61:62], v[63:64], off
	global_load_b64 v[0:1], v[66:67], off
	s_waitcnt vmcnt(0)
	v_div_scale_f64 v[61:62], null, v[0:1], v[0:1], 1.0
	v_div_scale_f64 v[70:71], vcc_lo, 1.0, v[0:1], 1.0
	s_delay_alu instid0(VALU_DEP_2) | instskip(SKIP_2) | instid1(VALU_DEP_1)
	v_rcp_f64_e32 v[63:64], v[61:62]
	s_waitcnt_depctr 0xfff
	v_fma_f64 v[68:69], -v[61:62], v[63:64], 1.0
	v_fma_f64 v[63:64], v[63:64], v[68:69], v[63:64]
	s_delay_alu instid0(VALU_DEP_1) | instskip(NEXT) | instid1(VALU_DEP_1)
	v_fma_f64 v[68:69], -v[61:62], v[63:64], 1.0
	v_fma_f64 v[63:64], v[63:64], v[68:69], v[63:64]
	s_delay_alu instid0(VALU_DEP_1) | instskip(NEXT) | instid1(VALU_DEP_1)
	v_mul_f64 v[68:69], v[70:71], v[63:64]
	v_fma_f64 v[61:62], -v[61:62], v[68:69], v[70:71]
	s_delay_alu instid0(VALU_DEP_1) | instskip(NEXT) | instid1(VALU_DEP_1)
	v_div_fmas_f64 v[17:18], v[61:62], v[63:64], v[68:69]
	v_div_fixup_f64 v[15:16], v[17:18], v[0:1], 1.0
	s_delay_alu instid0(VALU_DEP_1) | instskip(NEXT) | instid1(VALU_DEP_1)
	v_mul_f64 v[13:14], v[13:14], v[15:16]
	v_fma_f64 v[15:16], v[11:12], v[13:14], 1.0
	v_mul_f64 v[11:12], v[11:12], v[13:14]
	s_delay_alu instid0(VALU_DEP_2) | instskip(SKIP_1) | instid1(VALU_DEP_2)
	v_div_scale_f64 v[17:18], null, v[15:16], v[15:16], 1.0
	v_div_scale_f64 v[68:69], vcc_lo, 1.0, v[15:16], 1.0
	v_rcp_f64_e32 v[61:62], v[17:18]
	s_waitcnt_depctr 0xfff
	v_fma_f64 v[63:64], -v[17:18], v[61:62], 1.0
	s_delay_alu instid0(VALU_DEP_1) | instskip(NEXT) | instid1(VALU_DEP_1)
	v_fma_f64 v[61:62], v[61:62], v[63:64], v[61:62]
	v_fma_f64 v[63:64], -v[17:18], v[61:62], 1.0
	s_delay_alu instid0(VALU_DEP_1) | instskip(NEXT) | instid1(VALU_DEP_1)
	v_fma_f64 v[61:62], v[61:62], v[63:64], v[61:62]
	v_mul_f64 v[63:64], v[68:69], v[61:62]
	s_delay_alu instid0(VALU_DEP_1) | instskip(NEXT) | instid1(VALU_DEP_1)
	v_fma_f64 v[17:18], -v[17:18], v[63:64], v[68:69]
	v_div_fmas_f64 v[17:18], v[17:18], v[61:62], v[63:64]
	s_delay_alu instid0(VALU_DEP_1) | instskip(SKIP_4) | instid1(SALU_CYCLE_1)
	v_div_fixup_f64 v[13:14], v[17:18], v[15:16], 1.0
	v_mul_f64 v[15:16], v[9:10], s[0:1]
	v_mul_f64 v[17:18], v[9:10], s[2:3]
	s_mov_b32 s0, 0xac083127
	s_mov_b32 s1, 0x3fb45a1c
	v_mul_f64 v[19:20], v[19:20], s[0:1]
	s_mov_b32 s0, 0x67381d7e
	s_mov_b32 s1, 0xbfef6944
	s_delay_alu instid0(VALU_DEP_4) | instskip(NEXT) | instid1(VALU_DEP_4)
	v_mul_f64 v[11:12], v[11:12], v[13:14]
	v_mul_f64 v[13:14], v[15:16], s[76:77]
	s_delay_alu instid0(VALU_DEP_4)
	v_mul_f64 v[63:64], v[17:18], s[76:77]
	v_cmp_nlt_f64_e64 s2, 0x40900000, v[17:18]
	v_cmp_ngt_f64_e64 s3, 0xc090cc00, v[17:18]
	v_mul_f64 v[70:71], v[19:20], s[76:77]
	v_mul_f64 v[61:62], v[0:1], v[11:12]
	v_add_nc_u32_e32 v1, s33, v65
	v_rndne_f64_e32 v[68:69], v[13:14]
	s_delay_alu instid0(VALU_DEP_2) | instskip(SKIP_1) | instid1(VALU_DEP_2)
	v_lshlrev_b64 v[9:10], 3, v[1:2]
	v_rndne_f64_e32 v[70:71], v[70:71]
	v_add_co_u32 v0, vcc_lo, s8, v9
	s_delay_alu instid0(VALU_DEP_3)
	v_add_co_ci_u32_e32 v1, vcc_lo, s9, v10, vcc_lo
	v_add_co_u32 v5, vcc_lo, s10, v5
	v_add_co_ci_u32_e32 v6, vcc_lo, s11, v6, vcc_lo
	v_add_co_u32 v3, vcc_lo, s12, v3
	v_add_co_ci_u32_e32 v4, vcc_lo, s13, v4, vcc_lo
	global_load_b64 v[78:79], v[5:6], off
	v_add_co_u32 v25, vcc_lo, s10, v25
	global_load_b64 v[3:4], v[3:4], off
	v_add_co_ci_u32_e32 v26, vcc_lo, s11, v26, vcc_lo
	global_store_b64 v[66:67], v[61:62], off
	global_load_b64 v[13:14], v[0:1], off
	v_rndne_f64_e32 v[61:62], v[63:64]
	v_fma_f64 v[63:64], v[68:69], s[78:79], v[15:16]
	v_fma_f64 v[76:77], v[70:71], s[78:79], v[19:20]
	s_delay_alu instid0(VALU_DEP_3) | instskip(NEXT) | instid1(VALU_DEP_3)
	v_fma_f64 v[65:66], v[61:62], s[78:79], v[17:18]
	v_fma_f64 v[63:64], v[68:69], s[74:75], v[63:64]
	v_cvt_i32_f64_e32 v69, v[68:69]
	s_delay_alu instid0(VALU_DEP_4) | instskip(NEXT) | instid1(VALU_DEP_4)
	v_fma_f64 v[76:77], v[70:71], s[74:75], v[76:77]
	v_fma_f64 v[65:66], v[61:62], s[74:75], v[65:66]
	s_delay_alu instid0(VALU_DEP_4) | instskip(NEXT) | instid1(VALU_DEP_3)
	v_fma_f64 v[72:73], v[63:64], s[18:19], s[14:15]
	v_fma_f64 v[80:81], v[76:77], s[18:19], s[14:15]
	s_delay_alu instid0(VALU_DEP_3) | instskip(NEXT) | instid1(VALU_DEP_3)
	v_fma_f64 v[74:75], v[65:66], s[18:19], s[14:15]
	v_fma_f64 v[72:73], v[63:64], v[72:73], s[20:21]
	s_delay_alu instid0(VALU_DEP_3) | instskip(NEXT) | instid1(VALU_DEP_3)
	;; [unrolled: 3-line block ×8, first 2 shown]
	v_fma_f64 v[80:81], v[76:77], v[80:81], s[28:29]
	v_fma_f64 v[74:75], v[65:66], v[74:75], s[28:29]
	s_delay_alu instid0(VALU_DEP_3) | instskip(SKIP_2) | instid1(VALU_DEP_4)
	v_fma_f64 v[72:73], v[63:64], v[72:73], s[4:5]
	s_waitcnt vmcnt(2)
	v_mul_f64 v[23:24], v[78:79], v[23:24]
	v_fma_f64 v[80:81], v[76:77], v[80:81], s[4:5]
	s_waitcnt vmcnt(0)
	v_div_scale_f64 v[82:83], null, v[13:14], v[13:14], 1.0
	v_fma_f64 v[74:75], v[65:66], v[74:75], s[4:5]
	v_fma_f64 v[72:73], v[63:64], v[72:73], s[6:7]
	global_store_b64 v[5:6], v[23:24], off
	v_div_scale_f64 v[23:24], vcc_lo, 1.0, v[13:14], 1.0
	v_fma_f64 v[80:81], v[76:77], v[80:81], s[6:7]
	global_load_b64 v[5:6], v[25:26], off
	v_rcp_f64_e32 v[84:85], v[82:83]
	v_fma_f64 v[74:75], v[65:66], v[74:75], s[6:7]
	v_fma_f64 v[72:73], v[63:64], v[72:73], s[16:17]
	s_waitcnt_depctr 0xfff
	v_fma_f64 v[86:87], -v[82:83], v[84:85], 1.0
	v_fma_f64 v[74:75], v[65:66], v[74:75], s[16:17]
	v_fma_f64 v[72:73], v[63:64], v[72:73], 1.0
	s_delay_alu instid0(VALU_DEP_3) | instskip(NEXT) | instid1(VALU_DEP_3)
	v_fma_f64 v[84:85], v[84:85], v[86:87], v[84:85]
	v_fma_f64 v[74:75], v[65:66], v[74:75], 1.0
	s_delay_alu instid0(VALU_DEP_3) | instskip(SKIP_1) | instid1(VALU_DEP_4)
	v_fma_f64 v[63:64], v[63:64], v[72:73], 1.0
	v_cvt_i32_f64_e32 v72, v[61:62]
	v_fma_f64 v[78:79], -v[82:83], v[84:85], 1.0
	s_delay_alu instid0(VALU_DEP_4)
	v_fma_f64 v[61:62], v[65:66], v[74:75], 1.0
	v_fma_f64 v[65:66], v[76:77], v[80:81], s[16:17]
	v_ldexp_f64 v[63:64], v[63:64], v69
	v_cvt_i32_f64_e32 v69, v[70:71]
	v_fma_f64 v[67:68], v[84:85], v[78:79], v[84:85]
	v_ldexp_f64 v[61:62], v[61:62], v72
	v_fma_f64 v[65:66], v[76:77], v[65:66], 1.0
	v_mul_f64 v[63:64], v[63:64], s[0:1]
	s_mov_b32 s0, 0x339c0ebf
	s_mov_b32 s1, 0x3fffb4a2
	s_delay_alu instid0(VALU_DEP_4) | instskip(NEXT) | instid1(VALU_DEP_4)
	v_mul_f64 v[72:73], v[23:24], v[67:68]
	v_mul_f64 v[61:62], v[61:62], s[0:1]
	v_cmp_nlt_f64_e64 s0, 0x40900000, v[15:16]
	v_cmp_ngt_f64_e64 s1, 0xc090cc00, v[15:16]
	v_fma_f64 v[65:66], v[76:77], v[65:66], 1.0
	v_fma_f64 v[23:24], -v[82:83], v[72:73], v[23:24]
	v_cndmask_b32_e64 v62, 0x7ff00000, v62, s2
	v_cndmask_b32_e64 v64, 0xfff00000, v64, s0
	s_delay_alu instid0(VALU_DEP_4) | instskip(NEXT) | instid1(VALU_DEP_3)
	v_ldexp_f64 v[15:16], v[65:66], v69
	v_cndmask_b32_e64 v62, 0, v62, s3
	v_div_fmas_f64 v[17:18], v[23:24], v[67:68], v[72:73]
	s_and_b32 vcc_lo, s1, s0
	v_cndmask_b32_e64 v24, 0x80000000, v64, s1
	v_cndmask_b32_e32 v23, 0, v63, vcc_lo
	v_cmp_nlt_f64_e32 vcc_lo, 0x40900000, v[19:20]
	v_cmp_ngt_f64_e64 s0, 0xc090cc00, v[19:20]
	s_and_b32 s1, s3, s2
	s_delay_alu instid0(SALU_CYCLE_1) | instskip(SKIP_1) | instid1(VALU_DEP_1)
	v_cndmask_b32_e64 v61, 0, v61, s1
	v_add_co_u32 v29, s1, s10, v29
	v_add_co_ci_u32_e64 v30, s1, s11, v30, s1
	s_delay_alu instid0(VALU_DEP_3) | instskip(SKIP_2) | instid1(VALU_DEP_1)
	v_add_f64 v[19:20], v[23:24], v[61:62]
	v_mov_b32_e32 v61, v2
	v_add_co_u32 v35, s1, s10, v35
	v_add_co_ci_u32_e64 v36, s1, s11, v36, s1
	v_cndmask_b32_e32 v63, 0x7ff00000, v16, vcc_lo
	s_and_b32 vcc_lo, s0, vcc_lo
	v_div_fixup_f64 v[16:17], v[17:18], v[13:14], 1.0
	v_cndmask_b32_e32 v23, 0, v15, vcc_lo
	s_waitcnt vmcnt(0)
	v_mul_f64 v[5:6], v[5:6], v[27:28]
	v_mov_b32_e32 v27, v2
	v_cndmask_b32_e64 v24, 0, v63, s0
	s_delay_alu instid0(VALU_DEP_1)
	v_add_f64 v[18:19], v[23:24], v[19:20]
	v_mul_f64 v[7:8], v[7:8], v[16:17]
	global_store_b64 v[25:26], v[5:6], off
	global_load_b64 v[5:6], v[29:30], off
	v_max_f64 v[15:16], 0x38100000, v[18:19]
	v_mul_f64 v[17:18], v[3:4], v[7:8]
	s_delay_alu instid0(VALU_DEP_2) | instskip(SKIP_1) | instid1(VALU_DEP_3)
	v_frexp_mant_f64_e32 v[19:20], v[15:16]
	v_frexp_exp_i32_f64_e32 v2, v[15:16]
	v_max_f64 v[23:24], 0x38100000, v[17:18]
	s_delay_alu instid0(VALU_DEP_3) | instskip(SKIP_1) | instid1(VALU_DEP_4)
	v_cmp_gt_f64_e32 vcc_lo, s[58:59], v[19:20]
	v_cndmask_b32_e64 v62, 0x3ff00000, 2.0, vcc_lo
	v_subrev_co_ci_u32_e32 v2, vcc_lo, 0, v2, vcc_lo
	s_delay_alu instid0(VALU_DEP_2) | instskip(SKIP_1) | instid1(VALU_DEP_2)
	v_mul_f64 v[19:20], v[19:20], v[61:62]
	v_frexp_mant_f64_e32 v[61:62], v[23:24]
	v_add_f64 v[63:64], v[19:20], 1.0
	s_delay_alu instid0(VALU_DEP_2) | instskip(NEXT) | instid1(VALU_DEP_2)
	v_cmp_gt_f64_e64 s0, s[58:59], v[61:62]
	v_rcp_f64_e32 v[25:26], v[63:64]
	s_delay_alu instid0(VALU_DEP_1) | instskip(NEXT) | instid1(VALU_DEP_1)
	v_cndmask_b32_e64 v28, 0x3ff00000, 2.0, s0
	v_mul_f64 v[27:28], v[61:62], v[27:28]
	s_waitcnt_depctr 0xfff
	v_fma_f64 v[65:66], -v[63:64], v[25:26], 1.0
	v_add_f64 v[61:62], v[27:28], 1.0
	v_add_f64 v[73:74], v[27:28], -1.0
	s_delay_alu instid0(VALU_DEP_3) | instskip(NEXT) | instid1(VALU_DEP_3)
	v_fma_f64 v[25:26], v[65:66], v[25:26], v[25:26]
	v_rcp_f64_e32 v[67:68], v[61:62]
	s_delay_alu instid0(VALU_DEP_1)
	v_fma_f64 v[69:70], -v[63:64], v[25:26], 1.0
	s_waitcnt vmcnt(0)
	v_mul_f64 v[5:6], v[5:6], v[33:34]
	s_waitcnt_depctr 0xfff
	v_fma_f64 v[65:66], -v[61:62], v[67:68], 1.0
	v_fma_f64 v[25:26], v[69:70], v[25:26], v[25:26]
	global_store_b64 v[29:30], v[5:6], off
	global_load_b64 v[5:6], v[35:36], off
	v_fma_f64 v[65:66], v[65:66], v[67:68], v[67:68]
	v_add_f64 v[67:68], v[19:20], -1.0
	s_delay_alu instid0(VALU_DEP_2) | instskip(NEXT) | instid1(VALU_DEP_2)
	v_fma_f64 v[69:70], -v[61:62], v[65:66], 1.0
	v_mul_f64 v[71:72], v[67:68], v[25:26]
	s_delay_alu instid0(VALU_DEP_2) | instskip(SKIP_1) | instid1(VALU_DEP_3)
	v_fma_f64 v[65:66], v[69:70], v[65:66], v[65:66]
	v_add_f64 v[69:70], v[63:64], -1.0
	v_mul_f64 v[75:76], v[63:64], v[71:72]
	s_delay_alu instid0(VALU_DEP_3) | instskip(NEXT) | instid1(VALU_DEP_3)
	v_mul_f64 v[77:78], v[73:74], v[65:66]
	v_add_f64 v[19:20], v[19:20], -v[69:70]
	s_delay_alu instid0(VALU_DEP_3) | instskip(SKIP_1) | instid1(VALU_DEP_4)
	v_fma_f64 v[63:64], v[71:72], v[63:64], -v[75:76]
	v_add_f64 v[69:70], v[61:62], -1.0
	v_mul_f64 v[79:80], v[61:62], v[77:78]
	s_delay_alu instid0(VALU_DEP_3) | instskip(NEXT) | instid1(VALU_DEP_3)
	v_fma_f64 v[19:20], v[71:72], v[19:20], v[63:64]
	v_add_f64 v[27:28], v[27:28], -v[69:70]
	s_delay_alu instid0(VALU_DEP_3) | instskip(NEXT) | instid1(VALU_DEP_3)
	v_fma_f64 v[33:34], v[77:78], v[61:62], -v[79:80]
	v_add_f64 v[29:30], v[75:76], v[19:20]
	s_delay_alu instid0(VALU_DEP_2) | instskip(NEXT) | instid1(VALU_DEP_2)
	v_fma_f64 v[27:28], v[77:78], v[27:28], v[33:34]
	v_add_f64 v[33:34], v[67:68], -v[29:30]
	v_add_f64 v[63:64], v[29:30], -v[75:76]
	s_delay_alu instid0(VALU_DEP_3) | instskip(NEXT) | instid1(VALU_DEP_3)
	v_add_f64 v[61:62], v[79:80], v[27:28]
	v_add_f64 v[67:68], v[67:68], -v[33:34]
	s_delay_alu instid0(VALU_DEP_3) | instskip(NEXT) | instid1(VALU_DEP_3)
	v_add_f64 v[19:20], v[63:64], -v[19:20]
	v_add_f64 v[69:70], v[73:74], -v[61:62]
	;; [unrolled: 1-line block ×3, first 2 shown]
	s_delay_alu instid0(VALU_DEP_4) | instskip(SKIP_3) | instid1(VALU_DEP_1)
	v_add_f64 v[29:30], v[67:68], -v[29:30]
	s_waitcnt vmcnt(0)
	v_mul_f64 v[5:6], v[5:6], v[39:40]
	v_add_co_u32 v39, s1, s10, v41
	v_add_co_ci_u32_e64 v40, s1, s11, v42, s1
	v_add_f64 v[67:68], v[73:74], -v[69:70]
	v_add_f64 v[27:28], v[63:64], -v[27:28]
	v_add_f64 v[19:20], v[19:20], v[29:30]
	global_store_b64 v[35:36], v[5:6], off
	global_load_b64 v[5:6], v[39:40], off
	v_add_f64 v[29:30], v[67:68], -v[61:62]
	v_add_f64 v[19:20], v[33:34], v[19:20]
	s_delay_alu instid0(VALU_DEP_2) | instskip(NEXT) | instid1(VALU_DEP_2)
	v_add_f64 v[27:28], v[27:28], v[29:30]
	v_mul_f64 v[19:20], v[25:26], v[19:20]
	s_delay_alu instid0(VALU_DEP_2) | instskip(NEXT) | instid1(VALU_DEP_2)
	v_add_f64 v[25:26], v[69:70], v[27:28]
	v_add_f64 v[27:28], v[71:72], v[19:20]
	s_delay_alu instid0(VALU_DEP_2) | instskip(NEXT) | instid1(VALU_DEP_2)
	v_mul_f64 v[25:26], v[65:66], v[25:26]
	v_mul_f64 v[29:30], v[27:28], v[27:28]
	s_delay_alu instid0(VALU_DEP_2) | instskip(NEXT) | instid1(VALU_DEP_2)
	v_add_f64 v[33:34], v[77:78], v[25:26]
	v_fma_f64 v[41:42], v[29:30], s[42:43], s[36:37]
	v_mul_f64 v[63:64], v[27:28], v[29:30]
	s_delay_alu instid0(VALU_DEP_3) | instskip(SKIP_1) | instid1(VALU_DEP_4)
	v_mul_f64 v[35:36], v[33:34], v[33:34]
	v_ldexp_f64 v[65:66], v[33:34], 1
	v_fma_f64 v[41:42], v[29:30], v[41:42], s[48:49]
	s_delay_alu instid0(VALU_DEP_3) | instskip(NEXT) | instid1(VALU_DEP_2)
	v_fma_f64 v[61:62], v[35:36], s[42:43], s[36:37]
	v_fma_f64 v[41:42], v[29:30], v[41:42], s[52:53]
	s_delay_alu instid0(VALU_DEP_2) | instskip(NEXT) | instid1(VALU_DEP_2)
	v_fma_f64 v[61:62], v[35:36], v[61:62], s[48:49]
	v_fma_f64 v[41:42], v[29:30], v[41:42], s[60:61]
	s_waitcnt vmcnt(0)
	v_mul_f64 v[5:6], v[5:6], v[47:48]
	v_frexp_exp_i32_f64_e32 v47, v[23:24]
	s_delay_alu instid0(VALU_DEP_4) | instskip(NEXT) | instid1(VALU_DEP_4)
	v_fma_f64 v[61:62], v[35:36], v[61:62], s[52:53]
	v_fma_f64 v[41:42], v[29:30], v[41:42], s[44:45]
	global_store_b64 v[39:40], v[5:6], off
	v_fma_f64 v[61:62], v[35:36], v[61:62], s[60:61]
	v_fma_f64 v[29:30], v[29:30], v[41:42], s[40:41]
	s_delay_alu instid0(VALU_DEP_2) | instskip(SKIP_1) | instid1(VALU_DEP_3)
	v_fma_f64 v[41:42], v[35:36], v[61:62], s[44:45]
	v_ldexp_f64 v[61:62], v[27:28], 1
	v_mul_f64 v[29:30], v[63:64], v[29:30]
	v_mul_f64 v[63:64], v[33:34], v[35:36]
	v_add_f64 v[27:28], v[27:28], -v[71:72]
	v_add_f64 v[33:34], v[33:34], -v[77:78]
	v_fma_f64 v[35:36], v[35:36], v[41:42], s[40:41]
	v_add_f64 v[41:42], v[61:62], v[29:30]
	s_delay_alu instid0(VALU_DEP_4) | instskip(NEXT) | instid1(VALU_DEP_4)
	v_add_f64 v[19:20], v[19:20], -v[27:28]
	v_add_f64 v[25:26], v[25:26], -v[33:34]
	v_add_co_u32 v33, s1, s10, v49
	s_delay_alu instid0(VALU_DEP_1)
	v_add_co_ci_u32_e64 v34, s1, s11, v50, s1
	global_load_b64 v[5:6], v[33:34], off
	v_mul_f64 v[35:36], v[63:64], v[35:36]
	v_add_f64 v[27:28], v[41:42], -v[61:62]
	v_ldexp_f64 v[19:20], v[19:20], 1
	v_ldexp_f64 v[25:26], v[25:26], 1
	s_delay_alu instid0(VALU_DEP_4) | instskip(NEXT) | instid1(VALU_DEP_4)
	v_add_f64 v[61:62], v[65:66], v[35:36]
	v_add_f64 v[27:28], v[29:30], -v[27:28]
	s_delay_alu instid0(VALU_DEP_2) | instskip(NEXT) | instid1(VALU_DEP_2)
	v_add_f64 v[29:30], v[61:62], -v[65:66]
	v_add_f64 v[19:20], v[19:20], v[27:28]
	s_delay_alu instid0(VALU_DEP_2) | instskip(NEXT) | instid1(VALU_DEP_2)
	v_add_f64 v[27:28], v[35:36], -v[29:30]
	v_add_f64 v[29:30], v[41:42], v[19:20]
	s_delay_alu instid0(VALU_DEP_2) | instskip(SKIP_1) | instid1(VALU_DEP_3)
	v_add_f64 v[25:26], v[25:26], v[27:28]
	v_cvt_f64_i32_e32 v[27:28], v2
	v_add_f64 v[35:36], v[29:30], -v[41:42]
	v_mul_f64 v[39:40], v[29:30], s[30:31]
	v_subrev_co_ci_u32_e64 v2, vcc_lo, 0, v47, s0
	v_add_co_u32 v51, vcc_lo, s10, v51
	v_add_co_ci_u32_e32 v52, vcc_lo, s11, v52, vcc_lo
	s_delay_alu instid0(VALU_DEP_3)
	v_cvt_f64_i32_e32 v[49:50], v2
	v_cmp_eq_f64_e32 vcc_lo, 0x7ff00000, v[15:16]
	v_fma_f64 v[2:3], v[3:4], v[7:8], 1.0
	v_add_f64 v[41:42], v[61:62], v[25:26]
	v_mul_f64 v[47:48], v[27:28], s[34:35]
	v_add_f64 v[19:20], v[19:20], -v[35:36]
	v_fma_f64 v[35:36], v[29:30], s[30:31], -v[39:40]
	s_delay_alu instid0(VALU_DEP_4) | instskip(SKIP_2) | instid1(VALU_DEP_4)
	v_add_f64 v[61:62], v[41:42], -v[61:62]
	v_mul_f64 v[63:64], v[41:42], s[30:31]
	v_fma_f64 v[65:66], v[27:28], s[34:35], -v[47:48]
	v_fma_f64 v[19:20], v[19:20], s[30:31], v[35:36]
	v_mul_f64 v[35:36], v[49:50], s[34:35]
	v_add_f64 v[25:26], v[25:26], -v[61:62]
	v_fma_f64 v[61:62], v[41:42], s[30:31], -v[63:64]
	v_fma_f64 v[27:28], v[27:28], s[46:47], v[65:66]
	v_fma_f64 v[19:20], v[29:30], s[54:55], v[19:20]
	v_fma_f64 v[29:30], v[49:50], s[34:35], -v[35:36]
	s_waitcnt vmcnt(0)
	v_mul_f64 v[5:6], v[5:6], v[43:44]
	v_fma_f64 v[25:26], v[25:26], s[30:31], v[61:62]
	v_add_f64 v[61:62], v[47:48], v[27:28]
	v_add_f64 v[65:66], v[39:40], v[19:20]
	v_fma_f64 v[29:30], v[49:50], s[46:47], v[29:30]
	global_store_b64 v[33:34], v[5:6], off
	global_load_b64 v[5:6], v[51:52], off
	v_fma_f64 v[25:26], v[41:42], s[54:55], v[25:26]
	v_add_f64 v[47:48], v[61:62], -v[47:48]
	v_add_f64 v[41:42], v[61:62], v[65:66]
	v_add_f64 v[49:50], v[35:36], v[29:30]
	v_add_f64 v[33:34], v[65:66], -v[39:40]
	v_add_f64 v[67:68], v[63:64], v[25:26]
	v_add_f64 v[27:28], v[27:28], -v[47:48]
	v_add_f64 v[43:44], v[41:42], -v[61:62]
	;; [unrolled: 1-line block ×4, first 2 shown]
	v_add_f64 v[69:70], v[49:50], v[67:68]
	s_delay_alu instid0(VALU_DEP_4)
	v_add_f64 v[39:40], v[41:42], -v[43:44]
	v_add_f64 v[33:34], v[65:66], -v[43:44]
	v_add_f64 v[43:44], v[67:68], -v[63:64]
	v_add_f64 v[29:30], v[29:30], -v[35:36]
	v_add_f64 v[71:72], v[69:70], -v[49:50]
	v_add_f64 v[39:40], v[61:62], -v[39:40]
	v_add_f64 v[61:62], v[27:28], v[19:20]
	v_add_f64 v[25:26], v[25:26], -v[43:44]
	s_delay_alu instid0(VALU_DEP_4) | instskip(SKIP_3) | instid1(VALU_DEP_4)
	v_add_f64 v[47:48], v[69:70], -v[71:72]
	v_add_f64 v[35:36], v[67:68], -v[71:72]
	v_add_f64 v[33:34], v[33:34], v[39:40]
	v_add_f64 v[43:44], v[61:62], -v[27:28]
	v_add_f64 v[39:40], v[49:50], -v[47:48]
	v_add_f64 v[47:48], v[29:30], v[25:26]
	s_delay_alu instid0(VALU_DEP_4) | instskip(NEXT) | instid1(VALU_DEP_4)
	v_add_f64 v[33:34], v[61:62], v[33:34]
	v_add_f64 v[19:20], v[19:20], -v[43:44]
	s_delay_alu instid0(VALU_DEP_4) | instskip(SKIP_1) | instid1(VALU_DEP_4)
	v_add_f64 v[35:36], v[35:36], v[39:40]
	v_add_f64 v[39:40], v[61:62], -v[43:44]
	v_add_f64 v[49:50], v[41:42], v[33:34]
	v_add_f64 v[61:62], v[47:48], -v[29:30]
	s_delay_alu instid0(VALU_DEP_4) | instskip(NEXT) | instid1(VALU_DEP_4)
	v_add_f64 v[35:36], v[47:48], v[35:36]
	v_add_f64 v[27:28], v[27:28], -v[39:40]
	s_delay_alu instid0(VALU_DEP_4) | instskip(NEXT) | instid1(VALU_DEP_4)
	v_add_f64 v[39:40], v[49:50], -v[41:42]
	v_add_f64 v[41:42], v[47:48], -v[61:62]
	;; [unrolled: 1-line block ×3, first 2 shown]
	v_add_f64 v[43:44], v[69:70], v[35:36]
	v_add_f64 v[19:20], v[19:20], v[27:28]
	v_add_f64 v[27:28], v[33:34], -v[39:40]
	v_add_f64 v[29:30], v[29:30], -v[41:42]
	v_add_co_u32 v41, s1, s10, v53
	s_delay_alu instid0(VALU_DEP_1)
	v_add_co_ci_u32_e64 v42, s1, s11, v54, s1
	s_waitcnt vmcnt(0)
	v_mul_f64 v[5:6], v[5:6], v[37:38]
	v_add_f64 v[33:34], v[43:44], -v[69:70]
	v_add_f64 v[19:20], v[19:20], v[27:28]
	v_add_f64 v[25:26], v[25:26], v[29:30]
	global_store_b64 v[51:52], v[5:6], off
	v_add_f64 v[27:28], v[35:36], -v[33:34]
	v_add_f64 v[19:20], v[49:50], v[19:20]
	s_delay_alu instid0(VALU_DEP_2) | instskip(NEXT) | instid1(VALU_DEP_2)
	v_add_f64 v[25:26], v[25:26], v[27:28]
	v_dual_cndmask_b32 v16, v20, v16 :: v_dual_cndmask_b32 v15, v19, v15
	v_cmp_eq_f64_e32 vcc_lo, 0x7ff00000, v[23:24]
	s_delay_alu instid0(VALU_DEP_2) | instskip(NEXT) | instid1(VALU_DEP_4)
	v_fma_f64 v[27:28], v[15:16], s[68:69], s[62:63]
	v_add_f64 v[19:20], v[43:44], v[25:26]
	v_add_co_u32 v25, s0, s10, v45
	s_delay_alu instid0(VALU_DEP_1) | instskip(SKIP_4) | instid1(VALU_DEP_3)
	v_add_co_ci_u32_e64 v26, s0, s11, v46, s0
	global_load_b64 v[5:6], v[25:26], off
	v_dual_cndmask_b32 v20, v20, v24 :: v_dual_cndmask_b32 v19, v19, v23
	v_fma_f64 v[23:24], v[15:16], s[70:71], 0x3fe80000
	v_div_scale_f64 v[39:40], vcc_lo, 1.0, v[2:3], 1.0
	v_add_f64 v[19:20], v[19:20], -v[27:28]
	s_delay_alu instid0(VALU_DEP_1) | instskip(SKIP_1) | instid1(VALU_DEP_2)
	v_fma_f64 v[7:8], v[19:20], s[72:73], v[23:24]
	v_div_scale_f64 v[23:24], null, v[2:3], v[2:3], 1.0
	v_div_scale_f64 v[27:28], null, v[7:8], v[7:8], 1.0
	s_delay_alu instid0(VALU_DEP_2) | instskip(NEXT) | instid1(VALU_DEP_1)
	v_rcp_f64_e32 v[29:30], v[23:24]
	v_rcp_f64_e32 v[33:34], v[27:28]
	s_waitcnt_depctr 0xfff
	v_fma_f64 v[35:36], -v[23:24], v[29:30], 1.0
	v_fma_f64 v[37:38], -v[27:28], v[33:34], 1.0
	s_delay_alu instid0(VALU_DEP_2) | instskip(NEXT) | instid1(VALU_DEP_2)
	v_fma_f64 v[29:30], v[29:30], v[35:36], v[29:30]
	v_fma_f64 v[33:34], v[33:34], v[37:38], v[33:34]
	s_delay_alu instid0(VALU_DEP_2) | instskip(NEXT) | instid1(VALU_DEP_2)
	v_fma_f64 v[35:36], -v[23:24], v[29:30], 1.0
	v_fma_f64 v[37:38], -v[27:28], v[33:34], 1.0
	s_delay_alu instid0(VALU_DEP_2) | instskip(SKIP_1) | instid1(VALU_DEP_3)
	v_fma_f64 v[29:30], v[29:30], v[35:36], v[29:30]
	v_div_scale_f64 v[35:36], s0, 1.0, v[7:8], 1.0
	v_fma_f64 v[33:34], v[33:34], v[37:38], v[33:34]
	s_waitcnt vmcnt(0)
	v_mul_f64 v[4:5], v[5:6], v[31:32]
	s_delay_alu instid0(VALU_DEP_4) | instskip(NEXT) | instid1(VALU_DEP_3)
	v_mul_f64 v[31:32], v[39:40], v[29:30]
	v_mul_f64 v[37:38], v[35:36], v[33:34]
	global_store_b64 v[25:26], v[4:5], off
	global_load_b64 v[4:5], v[41:42], off
	v_fma_f64 v[23:24], -v[23:24], v[31:32], v[39:40]
	v_fma_f64 v[25:26], -v[27:28], v[37:38], v[35:36]
	s_delay_alu instid0(VALU_DEP_2) | instskip(SKIP_1) | instid1(VALU_DEP_2)
	v_div_fmas_f64 v[23:24], v[23:24], v[29:30], v[31:32]
	s_mov_b32 vcc_lo, s0
	v_div_fmas_f64 v[25:26], v[25:26], v[33:34], v[37:38]
	s_delay_alu instid0(VALU_DEP_2) | instskip(NEXT) | instid1(VALU_DEP_2)
	v_div_fixup_f64 v[2:3], v[23:24], v[2:3], 1.0
	v_div_fixup_f64 v[6:7], v[25:26], v[7:8], 1.0
	s_delay_alu instid0(VALU_DEP_2) | instskip(NEXT) | instid1(VALU_DEP_2)
	v_mul_f64 v[2:3], v[17:18], v[2:3]
	v_mul_f64 v[6:7], v[19:20], v[6:7]
	s_delay_alu instid0(VALU_DEP_1) | instskip(NEXT) | instid1(VALU_DEP_1)
	v_fma_f64 v[6:7], v[6:7], v[6:7], 1.0
	v_div_scale_f64 v[19:20], null, v[6:7], v[6:7], 1.0
	s_delay_alu instid0(VALU_DEP_1) | instskip(SKIP_4) | instid1(VALU_DEP_2)
	v_rcp_f64_e32 v[25:26], v[19:20]
	s_waitcnt_depctr 0xfff
	v_fma_f64 v[27:28], -v[19:20], v[25:26], 1.0
	s_waitcnt vmcnt(0)
	v_mul_f64 v[4:5], v[4:5], v[55:56]
	v_fma_f64 v[25:26], v[25:26], v[27:28], v[25:26]
	v_add_co_u32 v27, vcc_lo, s10, v57
	v_add_co_ci_u32_e32 v28, vcc_lo, s11, v58, vcc_lo
	v_div_scale_f64 v[31:32], vcc_lo, 1.0, v[6:7], 1.0
	global_store_b64 v[41:42], v[4:5], off
	global_load_b64 v[4:5], v[27:28], off
	v_fma_f64 v[29:30], -v[19:20], v[25:26], 1.0
	s_delay_alu instid0(VALU_DEP_1) | instskip(NEXT) | instid1(VALU_DEP_1)
	v_fma_f64 v[25:26], v[25:26], v[29:30], v[25:26]
	v_mul_f64 v[29:30], v[31:32], v[25:26]
	s_delay_alu instid0(VALU_DEP_1) | instskip(NEXT) | instid1(VALU_DEP_1)
	v_fma_f64 v[19:20], -v[19:20], v[29:30], v[31:32]
	v_div_fmas_f64 v[19:20], v[19:20], v[25:26], v[29:30]
	s_delay_alu instid0(VALU_DEP_1) | instskip(NEXT) | instid1(VALU_DEP_1)
	v_div_fixup_f64 v[6:7], v[19:20], v[6:7], 1.0
	v_mul_f64 v[6:7], v[15:16], v[6:7]
	s_delay_alu instid0(VALU_DEP_1) | instskip(SKIP_1) | instid1(VALU_DEP_2)
	v_mul_f64 v[15:16], v[6:7], s[38:39]
	v_cmp_ngt_f64_e64 s0, 0xc090cc00, v[6:7]
	v_rndne_f64_e32 v[15:16], v[15:16]
	s_waitcnt vmcnt(0)
	v_mul_f64 v[4:5], v[4:5], v[21:22]
	v_add_co_u32 v21, vcc_lo, s10, v59
	v_add_co_ci_u32_e32 v22, vcc_lo, s11, v60, vcc_lo
	v_add_co_u32 v8, vcc_lo, s10, v9
	v_add_co_ci_u32_e32 v9, vcc_lo, s11, v10, vcc_lo
	v_cmp_nlt_f64_e32 vcc_lo, 0x40900000, v[6:7]
	v_fma_f64 v[19:20], v[15:16], s[56:57], v[6:7]
	global_store_b64 v[27:28], v[4:5], off
	global_load_b64 v[4:5], v[21:22], off
	v_fma_f64 v[19:20], v[15:16], s[50:51], v[19:20]
	s_delay_alu instid0(VALU_DEP_1) | instskip(NEXT) | instid1(VALU_DEP_1)
	v_mul_f64 v[25:26], v[19:20], s[64:65]
	v_fma_f64 v[19:20], v[19:20], s[66:67], v[25:26]
	s_delay_alu instid0(VALU_DEP_1) | instskip(NEXT) | instid1(VALU_DEP_1)
	v_fma_f64 v[25:26], v[19:20], s[18:19], s[14:15]
	v_fma_f64 v[25:26], v[19:20], v[25:26], s[20:21]
	s_delay_alu instid0(VALU_DEP_1) | instskip(NEXT) | instid1(VALU_DEP_1)
	v_fma_f64 v[25:26], v[19:20], v[25:26], s[22:23]
	v_fma_f64 v[25:26], v[19:20], v[25:26], s[24:25]
	s_delay_alu instid0(VALU_DEP_1) | instskip(SKIP_2) | instid1(VALU_DEP_2)
	v_fma_f64 v[25:26], v[19:20], v[25:26], s[26:27]
	s_waitcnt vmcnt(0)
	v_mul_f64 v[4:5], v[4:5], v[11:12]
	v_fma_f64 v[11:12], v[19:20], v[25:26], s[28:29]
	global_store_b64 v[21:22], v[4:5], off
	global_load_b64 v[4:5], v[8:9], off
	v_fma_f64 v[10:11], v[19:20], v[11:12], s[4:5]
	v_cvt_i32_f64_e32 v12, v[15:16]
	s_delay_alu instid0(VALU_DEP_2) | instskip(NEXT) | instid1(VALU_DEP_1)
	v_fma_f64 v[10:11], v[19:20], v[10:11], s[6:7]
	v_fma_f64 v[10:11], v[19:20], v[10:11], s[16:17]
	s_delay_alu instid0(VALU_DEP_1) | instskip(NEXT) | instid1(VALU_DEP_1)
	v_fma_f64 v[10:11], v[19:20], v[10:11], 1.0
	v_fma_f64 v[10:11], v[19:20], v[10:11], 1.0
	s_delay_alu instid0(VALU_DEP_1) | instskip(NEXT) | instid1(VALU_DEP_1)
	v_ldexp_f64 v[10:11], v[10:11], v12
	v_cndmask_b32_e32 v11, 0x7ff00000, v11, vcc_lo
	s_and_b32 vcc_lo, s0, vcc_lo
	s_delay_alu instid0(VALU_DEP_2) | instskip(NEXT) | instid1(VALU_DEP_2)
	v_cndmask_b32_e32 v6, 0, v10, vcc_lo
	v_cndmask_b32_e64 v7, 0, v11, s0
	s_delay_alu instid0(VALU_DEP_1) | instskip(NEXT) | instid1(VALU_DEP_1)
	v_mul_f64 v[2:3], v[2:3], v[6:7]
	v_mul_f64 v[6:7], v[13:14], v[2:3]
	s_waitcnt vmcnt(0)
	v_mul_f64 v[2:3], v[4:5], v[2:3]
	global_store_b64 v[0:1], v[6:7], off
	global_store_b64 v[8:9], v[2:3], off
	s_nop 0
	s_sendmsg sendmsg(MSG_DEALLOC_VGPRS)
	s_endpgm
	.section	.rodata,"a",@progbits
	.p2align	6, 0x0
	.amdhsa_kernel _Z11ratx_kernelIdEvPKT_S2_PS0_S3_S2_S0_
		.amdhsa_group_segment_fixed_size 0
		.amdhsa_private_segment_fixed_size 0
		.amdhsa_kernarg_size 304
		.amdhsa_user_sgpr_count 15
		.amdhsa_user_sgpr_dispatch_ptr 0
		.amdhsa_user_sgpr_queue_ptr 0
		.amdhsa_user_sgpr_kernarg_segment_ptr 1
		.amdhsa_user_sgpr_dispatch_id 0
		.amdhsa_user_sgpr_private_segment_size 0
		.amdhsa_wavefront_size32 1
		.amdhsa_uses_dynamic_stack 0
		.amdhsa_enable_private_segment 0
		.amdhsa_system_sgpr_workgroup_id_x 1
		.amdhsa_system_sgpr_workgroup_id_y 0
		.amdhsa_system_sgpr_workgroup_id_z 0
		.amdhsa_system_sgpr_workgroup_info 0
		.amdhsa_system_vgpr_workitem_id 0
		.amdhsa_next_free_vgpr 93
		.amdhsa_next_free_sgpr 80
		.amdhsa_reserve_vcc 1
		.amdhsa_float_round_mode_32 0
		.amdhsa_float_round_mode_16_64 0
		.amdhsa_float_denorm_mode_32 3
		.amdhsa_float_denorm_mode_16_64 3
		.amdhsa_dx10_clamp 1
		.amdhsa_ieee_mode 1
		.amdhsa_fp16_overflow 0
		.amdhsa_workgroup_processor_mode 1
		.amdhsa_memory_ordered 1
		.amdhsa_forward_progress 0
		.amdhsa_shared_vgpr_count 0
		.amdhsa_exception_fp_ieee_invalid_op 0
		.amdhsa_exception_fp_denorm_src 0
		.amdhsa_exception_fp_ieee_div_zero 0
		.amdhsa_exception_fp_ieee_overflow 0
		.amdhsa_exception_fp_ieee_underflow 0
		.amdhsa_exception_fp_ieee_inexact 0
		.amdhsa_exception_int_div_zero 0
	.end_amdhsa_kernel
	.section	.text._Z11ratx_kernelIdEvPKT_S2_PS0_S3_S2_S0_,"axG",@progbits,_Z11ratx_kernelIdEvPKT_S2_PS0_S3_S2_S0_,comdat
.Lfunc_end39:
	.size	_Z11ratx_kernelIdEvPKT_S2_PS0_S3_S2_S0_, .Lfunc_end39-_Z11ratx_kernelIdEvPKT_S2_PS0_S3_S2_S0_
                                        ; -- End function
	.section	.AMDGPU.csdata,"",@progbits
; Kernel info:
; codeLenInByte = 37128
; NumSgprs: 82
; NumVgprs: 93
; ScratchSize: 0
; MemoryBound: 0
; FloatMode: 240
; IeeeMode: 1
; LDSByteSize: 0 bytes/workgroup (compile time only)
; SGPRBlocks: 10
; VGPRBlocks: 11
; NumSGPRsForWavesPerEU: 82
; NumVGPRsForWavesPerEU: 93
; Occupancy: 16
; WaveLimiterHint : 0
; COMPUTE_PGM_RSRC2:SCRATCH_EN: 0
; COMPUTE_PGM_RSRC2:USER_SGPR: 15
; COMPUTE_PGM_RSRC2:TRAP_HANDLER: 0
; COMPUTE_PGM_RSRC2:TGID_X_EN: 1
; COMPUTE_PGM_RSRC2:TGID_Y_EN: 0
; COMPUTE_PGM_RSRC2:TGID_Z_EN: 0
; COMPUTE_PGM_RSRC2:TIDIG_COMP_CNT: 0
	.section	.text._Z12ratxb_kernelIdEvPKT_S2_PS0_S3_S2_S0_,"axG",@progbits,_Z12ratxb_kernelIdEvPKT_S2_PS0_S3_S2_S0_,comdat
	.protected	_Z12ratxb_kernelIdEvPKT_S2_PS0_S3_S2_S0_ ; -- Begin function _Z12ratxb_kernelIdEvPKT_S2_PS0_S3_S2_S0_
	.globl	_Z12ratxb_kernelIdEvPKT_S2_PS0_S3_S2_S0_
	.p2align	8
	.type	_Z12ratxb_kernelIdEvPKT_S2_PS0_S3_S2_S0_,@function
_Z12ratxb_kernelIdEvPKT_S2_PS0_S3_S2_S0_: ; @_Z12ratxb_kernelIdEvPKT_S2_PS0_S3_S2_S0_
; %bb.0:
	s_clause 0x3
	s_load_b256 s[4:11], s[0:1], 0x0
	s_load_b128 s[16:19], s[0:1], 0x20
	s_load_b32 s2, s[0:1], 0x30
	s_load_b32 s0, s[0:1], 0x3c
	s_mov_b32 s83, 0x3ff66666
	s_mov_b32 s82, 0x66666666
	s_mov_b32 s81, 0x402ccccc
	s_mov_b32 s80, 0xcccccccd
	s_mov_b32 s52, 0x55555555
	s_mov_b32 s53, 0x3fe55555
	s_mov_b32 s46, 0x6b47b09a
	s_mov_b32 s50, 0xbf559e2b
	s_mov_b32 s47, 0x3fc38538
	s_mov_b32 s51, 0x3fc3ab76
	s_mov_b32 s38, 0xd7f4df2e
	s_mov_b32 s39, 0x3fc7474d
	s_mov_b32 s40, 0x16291751
	s_mov_b32 s41, 0x3fcc71c0
	s_mov_b32 s42, 0x9b27acf1
	s_mov_b32 s43, 0x3fd24924
	s_mov_b32 s44, 0x998ef7b6
	s_mov_b32 s45, 0x3fd99999
	s_mov_b32 s48, 0x55555780
	s_waitcnt lgkmcnt(0)
	s_and_b32 s0, s0, 0xffff
	s_mov_b32 s49, s53
	v_mad_u64_u32 v[1:2], null, s15, s0, v[0:1]
	s_mul_i32 s1, s2, s0
	v_mov_b32_e32 v2, 0
	s_mov_b32 s2, 0x147ae148
	s_mov_b32 s3, 0xbfd147ae
	s_mul_i32 s33, s1, 5
	s_mov_b32 s34, 0x509f79ff
	s_delay_alu instid0(VALU_DEP_2)
	v_lshlrev_b64 v[3:4], 3, v[1:2]
	v_add_nc_u32_e32 v1, s1, v1
	s_mov_b32 s35, 0x3fd34413
	s_mov_b32 s36, 0xa994fd21
	s_mov_b32 s37, 0xbc49dc1d
	s_mov_b32 s30, 0x1526e50e
	v_add_co_u32 v5, vcc_lo, s4, v3
	v_add_co_ci_u32_e32 v6, vcc_lo, s5, v4, vcc_lo
	v_add_co_u32 v3, vcc_lo, s6, v3
	v_add_co_ci_u32_e32 v4, vcc_lo, s7, v4, vcc_lo
	global_load_b64 v[7:8], v[5:6], off
	v_lshlrev_b64 v[5:6], 3, v[1:2]
	v_add_nc_u32_e32 v1, s1, v1
	global_load_b64 v[39:40], v[3:4], off
	s_mov_b32 s31, 0x3fdbcb7b
	s_mov_b32 s28, 0xbaaafad3
	;; [unrolled: 1-line block ×3, first 2 shown]
	v_add_co_u32 v5, vcc_lo, s6, v5
	v_add_co_ci_u32_e32 v6, vcc_lo, s7, v6, vcc_lo
	s_mov_b32 s58, 0x652b82fe
	s_mov_b32 s59, 0x3ff71547
	;; [unrolled: 1-line block ×3, first 2 shown]
	global_load_b64 v[25:26], v[5:6], off
	v_lshlrev_b64 v[5:6], 3, v[1:2]
	v_add_nc_u32_e32 v1, s1, v1
	s_mov_b32 s57, 0xbfe62e42
	s_mov_b32 s54, 0x3b39803f
	;; [unrolled: 1-line block ×4, first 2 shown]
	v_add_co_u32 v5, vcc_lo, s6, v5
	v_add_co_ci_u32_e32 v6, vcc_lo, s7, v6, vcc_lo
	s_mov_b32 s5, 0x3e5ade15
	s_mov_b32 s12, 0x7c89e6b0
	;; [unrolled: 1-line block ×3, first 2 shown]
	global_load_b64 v[5:6], v[5:6], off
	s_mov_b32 s14, 0x14761f6e
	s_mov_b32 s15, 0x3f2a01a0
	;; [unrolled: 1-line block ×32, first 2 shown]
	s_waitcnt vmcnt(2)
	v_add_f64 v[3:4], v[39:40], 0
	s_waitcnt vmcnt(1)
	s_delay_alu instid0(VALU_DEP_1) | instskip(SKIP_1) | instid1(VALU_DEP_1)
	v_add_f64 v[3:4], v[3:4], v[25:26]
	s_waitcnt vmcnt(0)
	v_add_f64 v[3:4], v[3:4], v[5:6]
	v_lshlrev_b64 v[5:6], 3, v[1:2]
	v_add_nc_u32_e32 v1, s1, v1
	s_delay_alu instid0(VALU_DEP_2) | instskip(NEXT) | instid1(VALU_DEP_3)
	v_add_co_u32 v5, vcc_lo, s6, v5
	v_add_co_ci_u32_e32 v6, vcc_lo, s7, v6, vcc_lo
	global_load_b64 v[41:42], v[5:6], off
	v_lshlrev_b64 v[5:6], 3, v[1:2]
	v_add_nc_u32_e32 v1, s1, v1
	s_delay_alu instid0(VALU_DEP_2) | instskip(NEXT) | instid1(VALU_DEP_3)
	v_add_co_u32 v5, vcc_lo, s6, v5
	v_add_co_ci_u32_e32 v6, vcc_lo, s7, v6, vcc_lo
	global_load_b64 v[5:6], v[5:6], off
	s_waitcnt vmcnt(1)
	v_add_f64 v[3:4], v[3:4], v[41:42]
	s_waitcnt vmcnt(0)
	s_delay_alu instid0(VALU_DEP_1) | instskip(SKIP_2) | instid1(VALU_DEP_2)
	v_add_f64 v[3:4], v[3:4], v[5:6]
	v_lshlrev_b64 v[5:6], 3, v[1:2]
	v_add_nc_u32_e32 v1, s1, v1
	v_add_co_u32 v5, vcc_lo, s6, v5
	s_delay_alu instid0(VALU_DEP_3) | instskip(SKIP_3) | instid1(VALU_DEP_2)
	v_add_co_ci_u32_e32 v6, vcc_lo, s7, v6, vcc_lo
	global_load_b64 v[43:44], v[5:6], off
	v_lshlrev_b64 v[5:6], 3, v[1:2]
	v_add_nc_u32_e32 v1, s1, v1
	v_add_co_u32 v29, vcc_lo, s6, v5
	s_delay_alu instid0(VALU_DEP_3)
	v_add_co_ci_u32_e32 v30, vcc_lo, s7, v6, vcc_lo
	s_clause 0x1
	global_load_b64 v[5:6], v[29:30], off
	global_load_b64 v[29:30], v[29:30], off
	s_waitcnt vmcnt(2)
	v_add_f64 v[3:4], v[3:4], v[43:44]
	s_waitcnt vmcnt(1)
	s_delay_alu instid0(VALU_DEP_1) | instskip(SKIP_2) | instid1(VALU_DEP_2)
	v_add_f64 v[3:4], v[3:4], v[5:6]
	v_lshlrev_b64 v[5:6], 3, v[1:2]
	v_add_nc_u32_e32 v1, s1, v1
	v_add_co_u32 v5, vcc_lo, s6, v5
	s_delay_alu instid0(VALU_DEP_3)
	v_add_co_ci_u32_e32 v6, vcc_lo, s7, v6, vcc_lo
	global_load_b64 v[5:6], v[5:6], off
	s_waitcnt vmcnt(0)
	v_add_f64 v[3:4], v[3:4], v[5:6]
	v_lshlrev_b64 v[5:6], 3, v[1:2]
	v_add_nc_u32_e32 v1, s1, v1
	s_delay_alu instid0(VALU_DEP_2) | instskip(NEXT) | instid1(VALU_DEP_3)
	v_add_co_u32 v5, vcc_lo, s6, v5
	v_add_co_ci_u32_e32 v6, vcc_lo, s7, v6, vcc_lo
	s_delay_alu instid0(VALU_DEP_3) | instskip(SKIP_4) | instid1(VALU_DEP_1)
	v_lshlrev_b64 v[45:46], 3, v[1:2]
	v_add_nc_u32_e32 v1, s1, v1
	global_load_b64 v[5:6], v[5:6], off
	v_lshlrev_b64 v[49:50], 3, v[1:2]
	v_add_nc_u32_e32 v1, s1, v1
	v_lshlrev_b64 v[51:52], 3, v[1:2]
	v_add_nc_u32_e32 v1, s1, v1
	s_delay_alu instid0(VALU_DEP_1) | instskip(SKIP_1) | instid1(VALU_DEP_1)
	v_lshlrev_b64 v[13:14], 3, v[1:2]
	v_add_nc_u32_e32 v1, s1, v1
	v_lshlrev_b64 v[23:24], 3, v[1:2]
	v_add_nc_u32_e32 v1, s1, v1
	s_delay_alu instid0(VALU_DEP_1) | instskip(SKIP_1) | instid1(VALU_DEP_1)
	v_lshlrev_b64 v[21:22], 3, v[1:2]
	v_add_nc_u32_e32 v1, s1, v1
	v_lshlrev_b64 v[19:20], 3, v[1:2]
	v_add_nc_u32_e32 v1, s1, v1
	s_waitcnt vmcnt(0)
	v_add_f64 v[3:4], v[3:4], v[5:6]
	v_add_co_u32 v5, vcc_lo, s6, v45
	v_add_co_ci_u32_e32 v6, vcc_lo, s7, v46, vcc_lo
	global_load_b64 v[47:48], v[5:6], off
	v_add_co_u32 v5, vcc_lo, s6, v49
	v_add_co_ci_u32_e32 v6, vcc_lo, s7, v50, vcc_lo
	global_load_b64 v[31:32], v[5:6], off
	;; [unrolled: 3-line block ×4, first 2 shown]
	s_waitcnt vmcnt(3)
	v_add_f64 v[3:4], v[3:4], v[47:48]
	s_waitcnt vmcnt(2)
	s_delay_alu instid0(VALU_DEP_1) | instskip(SKIP_1) | instid1(VALU_DEP_1)
	v_add_f64 v[3:4], v[3:4], v[31:32]
	s_waitcnt vmcnt(1)
	v_add_f64 v[3:4], v[3:4], v[35:36]
	s_waitcnt vmcnt(0)
	s_delay_alu instid0(VALU_DEP_1)
	v_add_f64 v[3:4], v[3:4], v[5:6]
	v_add_co_u32 v5, vcc_lo, s6, v23
	v_add_co_ci_u32_e32 v6, vcc_lo, s7, v24, vcc_lo
	global_load_b64 v[33:34], v[5:6], off
	v_add_co_u32 v5, vcc_lo, s6, v21
	v_add_co_ci_u32_e32 v6, vcc_lo, s7, v22, vcc_lo
	global_load_b64 v[53:54], v[5:6], off
	;; [unrolled: 3-line block ×3, first 2 shown]
	v_lshlrev_b64 v[5:6], 3, v[1:2]
	v_add_nc_u32_e32 v1, s1, v1
	s_delay_alu instid0(VALU_DEP_2) | instskip(NEXT) | instid1(VALU_DEP_3)
	v_add_co_u32 v5, vcc_lo, s6, v5
	v_add_co_ci_u32_e32 v6, vcc_lo, s7, v6, vcc_lo
	s_delay_alu instid0(VALU_DEP_3) | instskip(SKIP_4) | instid1(VALU_DEP_1)
	v_lshlrev_b64 v[17:18], 3, v[1:2]
	v_add_nc_u32_e32 v1, s1, v1
	global_load_b64 v[5:6], v[5:6], off
	v_lshlrev_b64 v[15:16], 3, v[1:2]
	v_add_nc_u32_e32 v1, s1, v1
	v_lshlrev_b64 v[9:10], 3, v[1:2]
	v_add_nc_u32_e32 v1, s1, v1
	s_waitcnt vmcnt(3)
	v_add_f64 v[3:4], v[3:4], v[33:34]
	s_waitcnt vmcnt(2)
	s_delay_alu instid0(VALU_DEP_1) | instskip(SKIP_1) | instid1(VALU_DEP_1)
	v_add_f64 v[3:4], v[3:4], v[53:54]
	s_waitcnt vmcnt(1)
	v_add_f64 v[3:4], v[3:4], v[55:56]
	s_waitcnt vmcnt(0)
	s_delay_alu instid0(VALU_DEP_1)
	v_add_f64 v[3:4], v[3:4], v[5:6]
	v_add_co_u32 v5, vcc_lo, s6, v17
	v_add_co_ci_u32_e32 v6, vcc_lo, s7, v18, vcc_lo
	global_load_b64 v[5:6], v[5:6], off
	s_waitcnt vmcnt(0)
	v_add_f64 v[3:4], v[3:4], v[5:6]
	v_add_co_u32 v5, vcc_lo, s6, v15
	v_add_co_ci_u32_e32 v6, vcc_lo, s7, v16, vcc_lo
	v_add_co_u32 v27, vcc_lo, s6, v9
	v_add_co_ci_u32_e32 v28, vcc_lo, s7, v10, vcc_lo
	global_load_b64 v[5:6], v[5:6], off
	s_waitcnt vmcnt(0)
	v_add_f64 v[3:4], v[3:4], v[5:6]
	global_load_b64 v[5:6], v[27:28], off
	s_waitcnt vmcnt(0)
	v_add_f64 v[3:4], v[3:4], v[5:6]
	v_lshlrev_b64 v[5:6], 3, v[1:2]
	v_add_nc_u32_e32 v1, s1, v1
	s_delay_alu instid0(VALU_DEP_2) | instskip(NEXT) | instid1(VALU_DEP_3)
	v_add_co_u32 v11, vcc_lo, s6, v5
	v_add_co_ci_u32_e32 v12, vcc_lo, s7, v6, vcc_lo
	global_load_b64 v[11:12], v[11:12], off
	s_waitcnt vmcnt(0)
	v_add_f64 v[3:4], v[3:4], v[11:12]
	v_lshlrev_b64 v[11:12], 3, v[1:2]
	s_delay_alu instid0(VALU_DEP_1) | instskip(NEXT) | instid1(VALU_DEP_2)
	v_add_co_u32 v11, vcc_lo, s6, v11
	v_add_co_ci_u32_e32 v12, vcc_lo, s7, v12, vcc_lo
	global_load_b64 v[57:58], v[11:12], off
	s_waitcnt vmcnt(0)
	v_add_f64 v[37:38], v[3:4], v[57:58]
	v_mul_f64 v[3:4], v[7:8], s[18:19]
	s_mov_b32 s18, 0x1852b7b0
	s_mov_b32 s19, 0x3f56c16c
	s_delay_alu instid0(VALU_DEP_2) | instskip(SKIP_4) | instid1(VALU_DEP_4)
	v_add_f64 v[7:8], v[37:38], -v[39:40]
	v_add_f64 v[63:64], v[37:38], v[39:40]
	v_fma_f64 v[65:66], v[39:40], s[82:83], v[37:38]
	v_add_f64 v[67:68], v[37:38], -v[41:42]
	s_mov_b32 s83, 0x3fea6666
	v_add_f64 v[7:8], v[7:8], -v[43:44]
	s_delay_alu instid0(VALU_DEP_3) | instskip(NEXT) | instid1(VALU_DEP_3)
	v_fma_f64 v[65:66], v[43:44], s[80:81], v[65:66]
	v_add_f64 v[67:68], v[67:68], -v[43:44]
	s_mov_b32 s81, 0x4004cccc
	s_delay_alu instid0(VALU_DEP_3) | instskip(NEXT) | instid1(VALU_DEP_3)
	v_add_f64 v[7:8], v[7:8], v[47:48]
	v_add_f64 v[65:66], v[47:48], v[65:66]
	s_delay_alu instid0(VALU_DEP_3) | instskip(NEXT) | instid1(VALU_DEP_3)
	v_fma_f64 v[67:68], 0xbfd00000, v[31:32], v[67:68]
	v_add_f64 v[7:8], v[7:8], -v[35:36]
	s_delay_alu instid0(VALU_DEP_3) | instskip(NEXT) | instid1(VALU_DEP_3)
	v_fma_f64 v[65:66], 0x3fe80000, v[31:32], v[65:66]
	v_fma_f64 v[67:68], v[35:36], 0.5, v[67:68]
	s_delay_alu instid0(VALU_DEP_3) | instskip(NEXT) | instid1(VALU_DEP_3)
	v_fma_f64 v[7:8], v[55:56], 2.0, v[7:8]
	v_fma_f64 v[65:66], v[35:36], s[80:81], v[65:66]
	s_delay_alu instid0(VALU_DEP_3) | instskip(SKIP_1) | instid1(VALU_DEP_3)
	v_fma_f64 v[67:68], v[55:56], 0.5, v[67:68]
	s_mov_b32 s81, 0x3fdccccc
	v_fma_f64 v[7:8], v[33:34], 2.0, v[7:8]
	s_delay_alu instid0(VALU_DEP_3) | instskip(NEXT) | instid1(VALU_DEP_3)
	v_fma_f64 v[65:66], v[55:56], 2.0, v[65:66]
	v_add_f64 v[57:58], v[67:68], -v[57:58]
	s_delay_alu instid0(VALU_DEP_3) | instskip(SKIP_3) | instid1(VALU_DEP_4)
	v_fma_f64 v[59:60], v[53:54], 2.0, v[7:8]
	v_fma_f64 v[7:8], v[39:40], s[2:3], v[37:38]
	s_mov_b32 s2, 0x33333333
	s_mov_b32 s3, 0x40053333
	v_fma_f64 v[65:66], v[33:34], 2.0, v[65:66]
	s_delay_alu instid0(VALU_DEP_4) | instskip(NEXT) | instid1(VALU_DEP_3)
	v_fma_f64 v[57:58], v[33:34], 2.0, v[57:58]
	v_fma_f64 v[7:8], v[43:44], s[2:3], v[7:8]
	s_mov_b32 s2, 0x7cecf427
	s_mov_b32 s3, 0xbf43323d
	s_delay_alu instid0(VALU_DEP_3) | instskip(NEXT) | instid1(VALU_DEP_3)
	v_fma_f64 v[65:66], v[53:54], 2.0, v[65:66]
	v_fma_f64 v[57:58], v[53:54], 2.0, v[57:58]
	s_delay_alu instid0(VALU_DEP_3) | instskip(NEXT) | instid1(VALU_DEP_1)
	v_add_f64 v[7:8], v[47:48], v[7:8]
	v_fma_f64 v[7:8], v[55:56], 2.0, v[7:8]
	s_delay_alu instid0(VALU_DEP_1) | instskip(NEXT) | instid1(VALU_DEP_1)
	v_fma_f64 v[7:8], v[33:34], 2.0, v[7:8]
	v_fma_f64 v[61:62], v[53:54], 2.0, v[7:8]
	v_fma_f64 v[7:8], 0x40140000, v[43:44], v[63:64]
	v_fma_f64 v[63:64], 0x40140000, v[41:42], v[63:64]
	s_delay_alu instid0(VALU_DEP_2) | instskip(NEXT) | instid1(VALU_DEP_2)
	v_add_f64 v[7:8], v[47:48], v[7:8]
	v_fma_f64 v[63:64], 0x40140000, v[43:44], v[63:64]
	s_delay_alu instid0(VALU_DEP_2) | instskip(NEXT) | instid1(VALU_DEP_2)
	v_fma_f64 v[7:8], v[31:32], 0.5, v[7:8]
	v_add_f64 v[47:48], v[47:48], v[63:64]
	s_delay_alu instid0(VALU_DEP_2) | instskip(NEXT) | instid1(VALU_DEP_2)
	v_add_f64 v[7:8], v[35:36], v[7:8]
	v_fma_f64 v[47:48], v[31:32], 0.5, v[47:48]
	s_delay_alu instid0(VALU_DEP_2) | instskip(NEXT) | instid1(VALU_DEP_2)
	v_fma_f64 v[7:8], v[55:56], 2.0, v[7:8]
	v_fma_f64 v[47:48], 0x40040000, v[35:36], v[47:48]
	s_delay_alu instid0(VALU_DEP_2) | instskip(NEXT) | instid1(VALU_DEP_2)
	v_fma_f64 v[11:12], v[33:34], 2.0, v[7:8]
	v_fma_f64 v[47:48], v[55:56], 2.0, v[47:48]
	s_delay_alu instid0(VALU_DEP_2) | instskip(NEXT) | instid1(VALU_DEP_2)
	v_fma_f64 v[11:12], v[53:54], 2.0, v[11:12]
	v_fma_f64 v[47:48], v[33:34], 2.0, v[47:48]
	s_delay_alu instid0(VALU_DEP_1) | instskip(SKIP_2) | instid1(VALU_DEP_1)
	v_fma_f64 v[47:48], v[53:54], 2.0, v[47:48]
	v_mad_u64_u32 v[53:54], null, 0xffffffef, s1, v[1:2]
	v_mov_b32_e32 v54, v2
	v_lshlrev_b64 v[54:55], 3, v[53:54]
	s_delay_alu instid0(VALU_DEP_1) | instskip(NEXT) | instid1(VALU_DEP_2)
	v_add_co_u32 v0, vcc_lo, s8, v54
	v_add_co_ci_u32_e32 v1, vcc_lo, s9, v55, vcc_lo
	global_load_b64 v[63:64], v[0:1], off
	s_waitcnt vmcnt(0)
	v_mul_f64 v[63:64], v[59:60], v[63:64]
	s_delay_alu instid0(VALU_DEP_1) | instskip(NEXT) | instid1(VALU_DEP_1)
	v_mul_f64 v[63:64], v[63:64], v[25:26]
	v_mul_f64 v[63:64], v[25:26], v[63:64]
	global_store_b64 v[0:1], v[63:64], off
	v_add_co_u32 v0, vcc_lo, s10, v54
	v_add_co_ci_u32_e32 v1, vcc_lo, s11, v55, vcc_lo
	global_load_b64 v[63:64], v[0:1], off
	s_waitcnt vmcnt(0)
	v_mul_f64 v[59:60], v[59:60], v[63:64]
	s_delay_alu instid0(VALU_DEP_1) | instskip(SKIP_2) | instid1(VALU_DEP_1)
	v_mul_f64 v[39:40], v[39:40], v[59:60]
	global_store_b64 v[0:1], v[39:40], off
	v_lshl_add_u32 v1, s1, 2, v53
	v_lshlrev_b64 v[39:40], 3, v[1:2]
	s_delay_alu instid0(VALU_DEP_1) | instskip(NEXT) | instid1(VALU_DEP_2)
	v_add_co_u32 v59, vcc_lo, s8, v39
	v_add_co_ci_u32_e32 v60, vcc_lo, s9, v40, vcc_lo
	v_add_co_u32 v53, vcc_lo, s6, v54
	v_add_co_ci_u32_e32 v54, vcc_lo, s7, v55, vcc_lo
	global_load_b64 v[63:64], v[59:60], off
	global_load_b64 v[53:54], v[53:54], off
	s_waitcnt vmcnt(1)
	v_mul_f64 v[63:64], v[61:62], v[63:64]
	s_delay_alu instid0(VALU_DEP_1) | instskip(SKIP_1) | instid1(VALU_DEP_1)
	v_mul_f64 v[63:64], v[25:26], v[63:64]
	s_waitcnt vmcnt(0)
	v_mul_f64 v[55:56], v[53:54], v[63:64]
	global_store_b64 v[59:60], v[55:56], off
	v_add_co_u32 v55, vcc_lo, s10, v39
	v_add_co_ci_u32_e32 v56, vcc_lo, s11, v40, vcc_lo
	global_load_b64 v[59:60], v[55:56], off
	s_waitcnt vmcnt(0)
	v_mul_f64 v[59:60], v[61:62], v[59:60]
	s_delay_alu instid0(VALU_DEP_1) | instskip(SKIP_2) | instid1(VALU_DEP_1)
	v_mul_f64 v[43:44], v[43:44], v[59:60]
	v_mad_u64_u32 v[59:60], null, s1, -6, v[1:2]
	v_mov_b32_e32 v60, v2
	v_lshlrev_b64 v[0:1], 3, v[59:60]
	global_store_b64 v[55:56], v[43:44], off
	v_add_co_u32 v43, vcc_lo, s8, v45
	v_add_co_ci_u32_e32 v44, vcc_lo, s9, v46, vcc_lo
	v_add_co_u32 v0, vcc_lo, s6, v0
	v_add_co_ci_u32_e32 v1, vcc_lo, s7, v1, vcc_lo
	global_load_b64 v[55:56], v[43:44], off
	global_load_b64 v[0:1], v[0:1], off
	s_waitcnt vmcnt(1)
	v_mul_f64 v[55:56], v[11:12], v[55:56]
	s_waitcnt vmcnt(0)
	s_delay_alu instid0(VALU_DEP_1) | instskip(NEXT) | instid1(VALU_DEP_1)
	v_mul_f64 v[55:56], v[55:56], v[0:1]
	v_mul_f64 v[55:56], v[25:26], v[55:56]
	global_store_b64 v[43:44], v[55:56], off
	v_add_co_u32 v43, vcc_lo, s10, v45
	v_add_co_ci_u32_e32 v44, vcc_lo, s11, v46, vcc_lo
	global_load_b64 v[45:46], v[43:44], off
	s_waitcnt vmcnt(0)
	v_mul_f64 v[45:46], v[11:12], v[45:46]
	s_delay_alu instid0(VALU_DEP_1)
	v_mul_f64 v[45:46], v[53:54], v[45:46]
	global_store_b64 v[43:44], v[45:46], off
	v_add_co_u32 v43, vcc_lo, s8, v49
	v_add_co_ci_u32_e32 v44, vcc_lo, s9, v50, vcc_lo
	global_load_b64 v[45:46], v[43:44], off
	s_waitcnt vmcnt(0)
	v_mul_f64 v[45:46], v[65:66], v[45:46]
	s_delay_alu instid0(VALU_DEP_1) | instskip(NEXT) | instid1(VALU_DEP_1)
	v_mul_f64 v[45:46], v[0:1], v[45:46]
	v_mul_f64 v[45:46], v[0:1], v[45:46]
	global_store_b64 v[43:44], v[45:46], off
	v_add_co_u32 v43, vcc_lo, s10, v49
	v_add_co_ci_u32_e32 v44, vcc_lo, s11, v50, vcc_lo
	global_load_b64 v[45:46], v[43:44], off
	s_waitcnt vmcnt(0)
	v_mul_f64 v[45:46], v[65:66], v[45:46]
	s_delay_alu instid0(VALU_DEP_1)
	v_mul_f64 v[45:46], v[41:42], v[45:46]
	global_store_b64 v[43:44], v[45:46], off
	v_add_co_u32 v43, vcc_lo, s8, v51
	v_add_co_ci_u32_e32 v44, vcc_lo, s9, v52, vcc_lo
	global_load_b64 v[45:46], v[43:44], off
	s_waitcnt vmcnt(0)
	v_mul_f64 v[45:46], v[57:58], v[45:46]
	s_delay_alu instid0(VALU_DEP_1) | instskip(NEXT) | instid1(VALU_DEP_1)
	v_mul_f64 v[45:46], v[25:26], v[45:46]
	v_mul_f64 v[41:42], v[41:42], v[45:46]
	global_store_b64 v[43:44], v[41:42], off
	v_add_co_u32 v41, vcc_lo, s10, v51
	v_add_co_ci_u32_e32 v42, vcc_lo, s11, v52, vcc_lo
	global_load_b64 v[43:44], v[41:42], off
	s_waitcnt vmcnt(0)
	v_mul_f64 v[43:44], v[57:58], v[43:44]
	s_delay_alu instid0(VALU_DEP_1) | instskip(SKIP_3) | instid1(VALU_DEP_1)
	v_mul_f64 v[29:30], v[43:44], v[29:30]
	global_store_b64 v[41:42], v[29:30], off
	v_mad_u64_u32 v[29:30], null, s1, 26, v[59:60]
	v_mov_b32_e32 v30, v2
	v_lshlrev_b64 v[41:42], 3, v[29:30]
	s_delay_alu instid0(VALU_DEP_1) | instskip(NEXT) | instid1(VALU_DEP_2)
	v_add_co_u32 v43, vcc_lo, s8, v41
	v_add_co_ci_u32_e32 v44, vcc_lo, s9, v42, vcc_lo
	global_load_b64 v[45:46], v[43:44], off
	s_waitcnt vmcnt(0)
	v_mul_f64 v[45:46], v[47:48], v[45:46]
	s_delay_alu instid0(VALU_DEP_1) | instskip(NEXT) | instid1(VALU_DEP_1)
	v_mul_f64 v[45:46], v[31:32], v[45:46]
	v_mul_f64 v[0:1], v[0:1], v[45:46]
	global_store_b64 v[43:44], v[0:1], off
	v_add_co_u32 v0, vcc_lo, s10, v41
	v_add_co_ci_u32_e32 v1, vcc_lo, s11, v42, vcc_lo
	global_load_b64 v[41:42], v[0:1], off
	s_waitcnt vmcnt(0)
	v_mul_f64 v[41:42], v[47:48], v[41:42]
	s_delay_alu instid0(VALU_DEP_1) | instskip(SKIP_3) | instid1(VALU_DEP_1)
	v_mul_f64 v[35:36], v[35:36], v[41:42]
	global_store_b64 v[0:1], v[35:36], off
	v_mad_u64_u32 v[0:1], null, s1, 17, v[29:30]
	v_mov_b32_e32 v1, v2
	v_lshlrev_b64 v[29:30], 3, v[0:1]
	s_delay_alu instid0(VALU_DEP_1) | instskip(NEXT) | instid1(VALU_DEP_2)
	v_add_co_u32 v35, vcc_lo, s8, v29
	v_add_co_ci_u32_e32 v36, vcc_lo, s9, v30, vcc_lo
	v_add_co_u32 v29, vcc_lo, s10, v29
	v_add_co_ci_u32_e32 v30, vcc_lo, s11, v30, vcc_lo
	global_load_b64 v[41:42], v[35:36], off
	s_waitcnt vmcnt(0)
	v_mul_f64 v[41:42], v[11:12], v[41:42]
	global_store_b64 v[35:36], v[41:42], off
	global_load_b64 v[35:36], v[29:30], off
	s_waitcnt vmcnt(0)
	v_mul_f64 v[35:36], v[11:12], v[35:36]
	s_delay_alu instid0(VALU_DEP_1) | instskip(NEXT) | instid1(VALU_DEP_1)
	v_mul_f64 v[31:32], v[31:32], v[35:36]
	v_mul_f64 v[25:26], v[25:26], v[31:32]
	global_store_b64 v[29:30], v[25:26], off
	v_mad_u64_u32 v[25:26], null, 0x4b, s1, v[0:1]
	v_mov_b32_e32 v26, v2
	s_delay_alu instid0(VALU_DEP_1)
	v_lshlrev_b64 v[0:1], 3, v[25:26]
	global_load_b64 v[26:27], v[27:28], off
	v_add_co_u32 v29, vcc_lo, s8, v0
	v_add_co_ci_u32_e32 v30, vcc_lo, s9, v1, vcc_lo
	global_load_b64 v[31:32], v[29:30], off
	s_waitcnt vmcnt(0)
	v_mul_f64 v[31:32], v[37:38], v[31:32]
	s_delay_alu instid0(VALU_DEP_1)
	v_mul_f64 v[31:32], v[33:34], v[31:32]
	v_add_co_u32 v33, vcc_lo, s6, v39
	v_add_co_ci_u32_e32 v34, vcc_lo, s7, v40, vcc_lo
	v_add_co_u32 v0, vcc_lo, s10, v0
	v_add_co_ci_u32_e32 v1, vcc_lo, s11, v1, vcc_lo
	global_load_b64 v[33:34], v[33:34], off
	s_mov_b32 s6, 0x623fde64
	s_mov_b32 s7, 0x3ec71dee
	s_waitcnt vmcnt(0)
	v_mul_f64 v[31:32], v[33:34], v[31:32]
	global_store_b64 v[29:30], v[31:32], off
	global_load_b64 v[29:30], v[0:1], off
	s_waitcnt vmcnt(0)
	v_mul_f64 v[29:30], v[37:38], v[29:30]
	s_delay_alu instid0(VALU_DEP_1)
	v_mul_f64 v[26:27], v[29:30], v[26:27]
	global_store_b64 v[0:1], v[26:27], off
	v_add_co_u32 v0, vcc_lo, s16, v13
	v_add_co_ci_u32_e32 v1, vcc_lo, s17, v14, vcc_lo
	global_load_b64 v[13:14], v[0:1], off
	v_add_nc_u32_e32 v1, s33, v25
	s_delay_alu instid0(VALU_DEP_1) | instskip(NEXT) | instid1(VALU_DEP_1)
	v_lshlrev_b64 v[25:26], 3, v[1:2]
	v_add_co_u32 v27, vcc_lo, s8, v25
	s_delay_alu instid0(VALU_DEP_2) | instskip(SKIP_3) | instid1(VALU_DEP_1)
	v_add_co_ci_u32_e32 v28, vcc_lo, s9, v26, vcc_lo
	global_load_b64 v[29:30], v[27:28], off
	s_waitcnt vmcnt(0)
	v_div_scale_f64 v[31:32], null, v[29:30], v[29:30], 1.0
	v_rcp_f64_e32 v[33:34], v[31:32]
	s_waitcnt_depctr 0xfff
	v_fma_f64 v[35:36], -v[31:32], v[33:34], 1.0
	s_delay_alu instid0(VALU_DEP_1) | instskip(NEXT) | instid1(VALU_DEP_1)
	v_fma_f64 v[33:34], v[33:34], v[35:36], v[33:34]
	v_fma_f64 v[35:36], -v[31:32], v[33:34], 1.0
	s_delay_alu instid0(VALU_DEP_1) | instskip(SKIP_1) | instid1(VALU_DEP_1)
	v_fma_f64 v[33:34], v[33:34], v[35:36], v[33:34]
	v_div_scale_f64 v[35:36], vcc_lo, 1.0, v[29:30], 1.0
	v_mul_f64 v[37:38], v[35:36], v[33:34]
	s_delay_alu instid0(VALU_DEP_1) | instskip(NEXT) | instid1(VALU_DEP_1)
	v_fma_f64 v[31:32], -v[31:32], v[37:38], v[35:36]
	v_div_fmas_f64 v[31:32], v[31:32], v[33:34], v[37:38]
	s_delay_alu instid0(VALU_DEP_1) | instskip(NEXT) | instid1(VALU_DEP_1)
	v_div_fixup_f64 v[31:32], v[31:32], v[29:30], 1.0
	v_mul_f64 v[31:32], v[11:12], v[31:32]
	s_delay_alu instid0(VALU_DEP_1) | instskip(SKIP_1) | instid1(VALU_DEP_1)
	v_mul_f64 v[33:34], v[13:14], v[31:32]
	v_fma_f64 v[13:14], v[13:14], v[31:32], 1.0
	v_div_scale_f64 v[31:32], null, v[13:14], v[13:14], 1.0
	s_delay_alu instid0(VALU_DEP_1) | instskip(SKIP_2) | instid1(VALU_DEP_1)
	v_rcp_f64_e32 v[35:36], v[31:32]
	s_waitcnt_depctr 0xfff
	v_fma_f64 v[37:38], -v[31:32], v[35:36], 1.0
	v_fma_f64 v[35:36], v[35:36], v[37:38], v[35:36]
	s_delay_alu instid0(VALU_DEP_1) | instskip(NEXT) | instid1(VALU_DEP_1)
	v_fma_f64 v[37:38], -v[31:32], v[35:36], 1.0
	v_fma_f64 v[35:36], v[35:36], v[37:38], v[35:36]
	v_div_scale_f64 v[37:38], vcc_lo, 1.0, v[13:14], 1.0
	s_delay_alu instid0(VALU_DEP_1) | instskip(NEXT) | instid1(VALU_DEP_1)
	v_mul_f64 v[39:40], v[37:38], v[35:36]
	v_fma_f64 v[31:32], -v[31:32], v[39:40], v[37:38]
	s_delay_alu instid0(VALU_DEP_1) | instskip(SKIP_1) | instid1(VALU_DEP_2)
	v_div_fmas_f64 v[31:32], v[31:32], v[35:36], v[39:40]
	v_mov_b32_e32 v35, v2
	v_div_fixup_f64 v[13:14], v[31:32], v[13:14], 1.0
	s_delay_alu instid0(VALU_DEP_1) | instskip(SKIP_1) | instid1(VALU_DEP_1)
	v_mul_f64 v[31:32], v[33:34], v[13:14]
	v_max_f64 v[13:14], 0x38100000, v[33:34]
	v_frexp_mant_f64_e32 v[33:34], v[13:14]
	v_frexp_exp_i32_f64_e32 v0, v[13:14]
	s_delay_alu instid0(VALU_DEP_2) | instskip(SKIP_1) | instid1(VALU_DEP_3)
	v_cmp_gt_f64_e32 vcc_lo, s[52:53], v[33:34]
	v_cndmask_b32_e64 v36, 0x3ff00000, 2.0, vcc_lo
	v_subrev_co_ci_u32_e32 v0, vcc_lo, 0, v0, vcc_lo
	v_cmp_eq_f64_e32 vcc_lo, 0x7ff00000, v[13:14]
	s_delay_alu instid0(VALU_DEP_3) | instskip(NEXT) | instid1(VALU_DEP_1)
	v_mul_f64 v[33:34], v[33:34], v[35:36]
	v_add_f64 v[37:38], v[33:34], 1.0
	v_add_f64 v[35:36], v[33:34], -1.0
	s_delay_alu instid0(VALU_DEP_2) | instskip(NEXT) | instid1(VALU_DEP_1)
	v_add_f64 v[39:40], v[37:38], -1.0
	v_add_f64 v[33:34], v[33:34], -v[39:40]
	v_rcp_f64_e32 v[39:40], v[37:38]
	s_waitcnt_depctr 0xfff
	v_fma_f64 v[41:42], -v[37:38], v[39:40], 1.0
	s_delay_alu instid0(VALU_DEP_1) | instskip(NEXT) | instid1(VALU_DEP_1)
	v_fma_f64 v[39:40], v[41:42], v[39:40], v[39:40]
	v_fma_f64 v[41:42], -v[37:38], v[39:40], 1.0
	s_delay_alu instid0(VALU_DEP_1) | instskip(NEXT) | instid1(VALU_DEP_1)
	v_fma_f64 v[39:40], v[41:42], v[39:40], v[39:40]
	v_mul_f64 v[41:42], v[35:36], v[39:40]
	s_delay_alu instid0(VALU_DEP_1) | instskip(NEXT) | instid1(VALU_DEP_1)
	v_mul_f64 v[43:44], v[37:38], v[41:42]
	v_fma_f64 v[37:38], v[41:42], v[37:38], -v[43:44]
	s_delay_alu instid0(VALU_DEP_1) | instskip(NEXT) | instid1(VALU_DEP_1)
	v_fma_f64 v[33:34], v[41:42], v[33:34], v[37:38]
	v_add_f64 v[37:38], v[43:44], v[33:34]
	s_delay_alu instid0(VALU_DEP_1) | instskip(SKIP_1) | instid1(VALU_DEP_2)
	v_add_f64 v[45:46], v[35:36], -v[37:38]
	v_add_f64 v[43:44], v[37:38], -v[43:44]
	;; [unrolled: 1-line block ×3, first 2 shown]
	s_delay_alu instid0(VALU_DEP_2) | instskip(NEXT) | instid1(VALU_DEP_2)
	v_add_f64 v[33:34], v[43:44], -v[33:34]
	v_add_f64 v[35:36], v[35:36], -v[37:38]
	s_delay_alu instid0(VALU_DEP_1) | instskip(NEXT) | instid1(VALU_DEP_1)
	v_add_f64 v[33:34], v[33:34], v[35:36]
	v_add_f64 v[33:34], v[45:46], v[33:34]
	s_delay_alu instid0(VALU_DEP_1) | instskip(NEXT) | instid1(VALU_DEP_1)
	v_mul_f64 v[33:34], v[39:40], v[33:34]
	v_add_f64 v[35:36], v[41:42], v[33:34]
	s_delay_alu instid0(VALU_DEP_1) | instskip(SKIP_1) | instid1(VALU_DEP_2)
	v_add_f64 v[37:38], v[35:36], -v[41:42]
	v_ldexp_f64 v[41:42], v[35:36], 1
	v_add_f64 v[33:34], v[33:34], -v[37:38]
	v_mul_f64 v[37:38], v[35:36], v[35:36]
	s_delay_alu instid0(VALU_DEP_2) | instskip(NEXT) | instid1(VALU_DEP_2)
	v_ldexp_f64 v[33:34], v[33:34], 1
	v_fma_f64 v[39:40], v[37:38], s[50:51], s[46:47]
	v_mul_f64 v[35:36], v[35:36], v[37:38]
	s_delay_alu instid0(VALU_DEP_2) | instskip(NEXT) | instid1(VALU_DEP_1)
	v_fma_f64 v[39:40], v[37:38], v[39:40], s[38:39]
	v_fma_f64 v[39:40], v[37:38], v[39:40], s[40:41]
	s_delay_alu instid0(VALU_DEP_1) | instskip(NEXT) | instid1(VALU_DEP_1)
	v_fma_f64 v[39:40], v[37:38], v[39:40], s[42:43]
	v_fma_f64 v[39:40], v[37:38], v[39:40], s[44:45]
	s_delay_alu instid0(VALU_DEP_1) | instskip(NEXT) | instid1(VALU_DEP_1)
	v_fma_f64 v[39:40], v[37:38], v[39:40], s[48:49]
	v_mul_f64 v[35:36], v[35:36], v[39:40]
	s_delay_alu instid0(VALU_DEP_1) | instskip(NEXT) | instid1(VALU_DEP_1)
	v_add_f64 v[37:38], v[41:42], v[35:36]
	v_add_f64 v[39:40], v[37:38], -v[41:42]
	s_delay_alu instid0(VALU_DEP_1) | instskip(NEXT) | instid1(VALU_DEP_1)
	v_add_f64 v[35:36], v[35:36], -v[39:40]
	v_add_f64 v[33:34], v[33:34], v[35:36]
	s_delay_alu instid0(VALU_DEP_1) | instskip(NEXT) | instid1(VALU_DEP_1)
	v_add_f64 v[35:36], v[37:38], v[33:34]
	v_add_f64 v[37:38], v[35:36], -v[37:38]
	s_delay_alu instid0(VALU_DEP_1) | instskip(SKIP_1) | instid1(VALU_DEP_1)
	v_add_f64 v[33:34], v[33:34], -v[37:38]
	v_cvt_f64_i32_e32 v[37:38], v0
	v_mul_f64 v[39:40], v[37:38], s[34:35]
	s_delay_alu instid0(VALU_DEP_1) | instskip(NEXT) | instid1(VALU_DEP_1)
	v_fma_f64 v[41:42], v[37:38], s[34:35], -v[39:40]
	v_fma_f64 v[37:38], v[37:38], s[36:37], v[41:42]
	s_delay_alu instid0(VALU_DEP_1) | instskip(NEXT) | instid1(VALU_DEP_1)
	v_add_f64 v[41:42], v[39:40], v[37:38]
	v_add_f64 v[39:40], v[41:42], -v[39:40]
	s_delay_alu instid0(VALU_DEP_1) | instskip(SKIP_1) | instid1(VALU_DEP_1)
	v_add_f64 v[37:38], v[37:38], -v[39:40]
	v_mul_f64 v[39:40], v[35:36], s[30:31]
	v_fma_f64 v[43:44], v[35:36], s[30:31], -v[39:40]
	s_delay_alu instid0(VALU_DEP_1) | instskip(NEXT) | instid1(VALU_DEP_1)
	v_fma_f64 v[33:34], v[33:34], s[30:31], v[43:44]
	v_fma_f64 v[33:34], v[35:36], s[28:29], v[33:34]
	s_delay_alu instid0(VALU_DEP_1) | instskip(NEXT) | instid1(VALU_DEP_1)
	v_add_f64 v[35:36], v[39:40], v[33:34]
	v_add_f64 v[39:40], v[35:36], -v[39:40]
	s_delay_alu instid0(VALU_DEP_1) | instskip(SKIP_1) | instid1(VALU_DEP_1)
	v_add_f64 v[33:34], v[33:34], -v[39:40]
	v_add_f64 v[39:40], v[41:42], v[35:36]
	v_add_f64 v[43:44], v[39:40], -v[41:42]
	s_delay_alu instid0(VALU_DEP_1) | instskip(SKIP_1) | instid1(VALU_DEP_2)
	v_add_f64 v[45:46], v[39:40], -v[43:44]
	v_add_f64 v[35:36], v[35:36], -v[43:44]
	;; [unrolled: 1-line block ×3, first 2 shown]
	s_delay_alu instid0(VALU_DEP_1) | instskip(SKIP_1) | instid1(VALU_DEP_1)
	v_add_f64 v[35:36], v[35:36], v[41:42]
	v_add_f64 v[41:42], v[37:38], v[33:34]
	v_add_f64 v[43:44], v[41:42], -v[37:38]
	s_delay_alu instid0(VALU_DEP_3) | instskip(NEXT) | instid1(VALU_DEP_2)
	v_add_f64 v[35:36], v[41:42], v[35:36]
	v_add_f64 v[45:46], v[41:42], -v[43:44]
	v_add_f64 v[33:34], v[33:34], -v[43:44]
	s_delay_alu instid0(VALU_DEP_2) | instskip(NEXT) | instid1(VALU_DEP_1)
	v_add_f64 v[37:38], v[37:38], -v[45:46]
	v_add_f64 v[33:34], v[33:34], v[37:38]
	v_add_f64 v[37:38], v[39:40], v[35:36]
	s_delay_alu instid0(VALU_DEP_1) | instskip(NEXT) | instid1(VALU_DEP_1)
	v_add_f64 v[39:40], v[37:38], -v[39:40]
	v_add_f64 v[35:36], v[35:36], -v[39:40]
	s_delay_alu instid0(VALU_DEP_1) | instskip(NEXT) | instid1(VALU_DEP_1)
	v_add_f64 v[33:34], v[33:34], v[35:36]
	v_add_f64 v[33:34], v[37:38], v[33:34]
	s_delay_alu instid0(VALU_DEP_1) | instskip(SKIP_3) | instid1(VALU_DEP_1)
	v_dual_cndmask_b32 v34, v34, v14 :: v_dual_cndmask_b32 v33, v33, v13
	v_mul_f64 v[13:14], v[3:4], s[2:3]
	s_mov_b32 s2, 0xfca7ab0c
	s_mov_b32 s3, 0x3e928af3
	v_mul_f64 v[35:36], v[13:14], s[58:59]
	v_cmp_nlt_f64_e32 vcc_lo, 0x40900000, v[13:14]
	v_cmp_ngt_f64_e64 s0, 0xc090cc00, v[13:14]
	s_delay_alu instid0(VALU_DEP_3) | instskip(NEXT) | instid1(VALU_DEP_1)
	v_rndne_f64_e32 v[35:36], v[35:36]
	v_fma_f64 v[37:38], v[35:36], s[56:57], v[13:14]
	v_cvt_i32_f64_e32 v0, v[35:36]
	s_delay_alu instid0(VALU_DEP_2) | instskip(NEXT) | instid1(VALU_DEP_1)
	v_fma_f64 v[37:38], v[35:36], s[54:55], v[37:38]
	v_fma_f64 v[39:40], v[37:38], s[4:5], s[2:3]
	s_delay_alu instid0(VALU_DEP_1) | instskip(NEXT) | instid1(VALU_DEP_1)
	v_fma_f64 v[39:40], v[37:38], v[39:40], s[6:7]
	v_fma_f64 v[39:40], v[37:38], v[39:40], s[12:13]
	s_delay_alu instid0(VALU_DEP_1) | instskip(NEXT) | instid1(VALU_DEP_1)
	;; [unrolled: 3-line block ×5, first 2 shown]
	v_fma_f64 v[39:40], v[37:38], v[39:40], 1.0
	v_fma_f64 v[37:38], v[37:38], v[39:40], 1.0
	s_delay_alu instid0(VALU_DEP_1) | instskip(NEXT) | instid1(VALU_DEP_1)
	v_ldexp_f64 v[35:36], v[37:38], v0
	v_mul_f64 v[35:36], v[35:36], s[60:61]
	s_mov_b32 s60, 0x72b020c5
	s_mov_b32 s61, 0x3fd59168
	s_delay_alu instid0(VALU_DEP_1) | instskip(SKIP_1) | instid1(VALU_DEP_2)
	v_cndmask_b32_e32 v0, 0x7ff00000, v36, vcc_lo
	s_and_b32 vcc_lo, s0, vcc_lo
	v_cndmask_b32_e32 v13, 0, v35, vcc_lo
	v_mul_f64 v[35:36], v[3:4], s[78:79]
	s_delay_alu instid0(VALU_DEP_3) | instskip(SKIP_1) | instid1(VALU_DEP_2)
	v_cndmask_b32_e64 v14, 0, v0, s0
	s_mov_b32 s79, 0x3f947ae1
	v_mul_f64 v[37:38], v[35:36], s[58:59]
	v_cmp_nlt_f64_e32 vcc_lo, 0x40900000, v[35:36]
	v_cmp_ngt_f64_e64 s0, 0xc090cc00, v[35:36]
	s_delay_alu instid0(VALU_DEP_3) | instskip(NEXT) | instid1(VALU_DEP_1)
	v_rndne_f64_e32 v[37:38], v[37:38]
	v_fma_f64 v[39:40], v[37:38], s[56:57], v[35:36]
	v_cvt_i32_f64_e32 v0, v[37:38]
	s_delay_alu instid0(VALU_DEP_2) | instskip(NEXT) | instid1(VALU_DEP_1)
	v_fma_f64 v[39:40], v[37:38], s[54:55], v[39:40]
	v_fma_f64 v[41:42], v[39:40], s[4:5], s[2:3]
	s_delay_alu instid0(VALU_DEP_1) | instskip(NEXT) | instid1(VALU_DEP_1)
	v_fma_f64 v[41:42], v[39:40], v[41:42], s[6:7]
	v_fma_f64 v[41:42], v[39:40], v[41:42], s[12:13]
	s_delay_alu instid0(VALU_DEP_1) | instskip(NEXT) | instid1(VALU_DEP_1)
	;; [unrolled: 3-line block ×5, first 2 shown]
	v_fma_f64 v[41:42], v[39:40], v[41:42], 1.0
	v_fma_f64 v[39:40], v[39:40], v[41:42], 1.0
	s_delay_alu instid0(VALU_DEP_1) | instskip(NEXT) | instid1(VALU_DEP_1)
	v_ldexp_f64 v[37:38], v[39:40], v0
	v_mul_f64 v[37:38], v[37:38], s[60:61]
	s_mov_b32 s60, 0x979a371
	s_mov_b32 s61, 0x400a934f
	s_delay_alu instid0(VALU_DEP_1) | instskip(SKIP_1) | instid1(VALU_DEP_2)
	v_cndmask_b32_e32 v0, 0x7ff00000, v38, vcc_lo
	s_and_b32 vcc_lo, s0, vcc_lo
	v_cndmask_b32_e32 v35, 0, v37, vcc_lo
	s_delay_alu instid0(VALU_DEP_2) | instskip(NEXT) | instid1(VALU_DEP_1)
	v_cndmask_b32_e64 v36, 0, v0, s0
	v_add_f64 v[35:36], v[13:14], v[35:36]
	v_div_scale_f64 v[13:14], null, v[3:4], v[3:4], 1.0
	s_delay_alu instid0(VALU_DEP_1) | instskip(SKIP_2) | instid1(VALU_DEP_1)
	v_rcp_f64_e32 v[37:38], v[13:14]
	s_waitcnt_depctr 0xfff
	v_fma_f64 v[39:40], -v[13:14], v[37:38], 1.0
	v_fma_f64 v[37:38], v[37:38], v[39:40], v[37:38]
	s_delay_alu instid0(VALU_DEP_1) | instskip(NEXT) | instid1(VALU_DEP_1)
	v_fma_f64 v[39:40], -v[13:14], v[37:38], 1.0
	v_fma_f64 v[37:38], v[37:38], v[39:40], v[37:38]
	v_div_scale_f64 v[39:40], vcc_lo, 1.0, v[3:4], 1.0
	s_delay_alu instid0(VALU_DEP_1) | instskip(NEXT) | instid1(VALU_DEP_1)
	v_mul_f64 v[41:42], v[39:40], v[37:38]
	v_fma_f64 v[13:14], -v[13:14], v[41:42], v[39:40]
	s_delay_alu instid0(VALU_DEP_1) | instskip(NEXT) | instid1(VALU_DEP_1)
	v_div_fmas_f64 v[13:14], v[13:14], v[37:38], v[41:42]
	v_div_fixup_f64 v[13:14], v[13:14], v[3:4], 1.0
	s_delay_alu instid0(VALU_DEP_1) | instskip(NEXT) | instid1(VALU_DEP_1)
	v_mul_f64 v[37:38], 0xc0b02300, v[13:14]
	v_mul_f64 v[39:40], v[37:38], s[58:59]
	v_cmp_nlt_f64_e32 vcc_lo, 0x40900000, v[37:38]
	v_cmp_ngt_f64_e64 s0, 0xc090cc00, v[37:38]
	s_delay_alu instid0(VALU_DEP_3) | instskip(NEXT) | instid1(VALU_DEP_1)
	v_rndne_f64_e32 v[39:40], v[39:40]
	v_fma_f64 v[41:42], v[39:40], s[56:57], v[37:38]
	v_cvt_i32_f64_e32 v0, v[39:40]
	s_delay_alu instid0(VALU_DEP_2) | instskip(NEXT) | instid1(VALU_DEP_1)
	v_fma_f64 v[41:42], v[39:40], s[54:55], v[41:42]
	v_fma_f64 v[43:44], v[41:42], s[4:5], s[2:3]
	s_delay_alu instid0(VALU_DEP_1) | instskip(NEXT) | instid1(VALU_DEP_1)
	v_fma_f64 v[43:44], v[41:42], v[43:44], s[6:7]
	v_fma_f64 v[43:44], v[41:42], v[43:44], s[12:13]
	s_delay_alu instid0(VALU_DEP_1) | instskip(NEXT) | instid1(VALU_DEP_1)
	;; [unrolled: 3-line block ×5, first 2 shown]
	v_fma_f64 v[43:44], v[41:42], v[43:44], 1.0
	v_fma_f64 v[41:42], v[41:42], v[43:44], 1.0
	s_delay_alu instid0(VALU_DEP_1) | instskip(NEXT) | instid1(VALU_DEP_1)
	v_ldexp_f64 v[39:40], v[41:42], v0
	v_cndmask_b32_e32 v0, 0x7ff00000, v40, vcc_lo
	s_and_b32 vcc_lo, s0, vcc_lo
	s_delay_alu instid0(VALU_DEP_2) | instskip(SKIP_1) | instid1(VALU_DEP_3)
	v_cndmask_b32_e32 v37, 0, v39, vcc_lo
	v_mov_b32_e32 v39, v2
	v_cndmask_b32_e64 v38, 0, v0, s0
	s_delay_alu instid0(VALU_DEP_1) | instskip(NEXT) | instid1(VALU_DEP_1)
	v_add_f64 v[35:36], v[37:38], v[35:36]
	v_max_f64 v[35:36], 0x38100000, v[35:36]
	s_delay_alu instid0(VALU_DEP_1) | instskip(SKIP_1) | instid1(VALU_DEP_2)
	v_frexp_mant_f64_e32 v[37:38], v[35:36]
	v_frexp_exp_i32_f64_e32 v0, v[35:36]
	v_cmp_gt_f64_e32 vcc_lo, s[52:53], v[37:38]
	v_cndmask_b32_e64 v40, 0x3ff00000, 2.0, vcc_lo
	s_delay_alu instid0(VALU_DEP_3) | instskip(SKIP_1) | instid1(VALU_DEP_3)
	v_subrev_co_ci_u32_e32 v0, vcc_lo, 0, v0, vcc_lo
	v_cmp_eq_f64_e32 vcc_lo, 0x7ff00000, v[35:36]
	v_mul_f64 v[37:38], v[37:38], v[39:40]
	s_delay_alu instid0(VALU_DEP_1) | instskip(SKIP_1) | instid1(VALU_DEP_2)
	v_add_f64 v[41:42], v[37:38], 1.0
	v_add_f64 v[39:40], v[37:38], -1.0
	v_add_f64 v[43:44], v[41:42], -1.0
	s_delay_alu instid0(VALU_DEP_1) | instskip(SKIP_3) | instid1(VALU_DEP_1)
	v_add_f64 v[37:38], v[37:38], -v[43:44]
	v_rcp_f64_e32 v[43:44], v[41:42]
	s_waitcnt_depctr 0xfff
	v_fma_f64 v[45:46], -v[41:42], v[43:44], 1.0
	v_fma_f64 v[43:44], v[45:46], v[43:44], v[43:44]
	s_delay_alu instid0(VALU_DEP_1) | instskip(NEXT) | instid1(VALU_DEP_1)
	v_fma_f64 v[45:46], -v[41:42], v[43:44], 1.0
	v_fma_f64 v[43:44], v[45:46], v[43:44], v[43:44]
	s_delay_alu instid0(VALU_DEP_1) | instskip(NEXT) | instid1(VALU_DEP_1)
	v_mul_f64 v[45:46], v[39:40], v[43:44]
	v_mul_f64 v[47:48], v[41:42], v[45:46]
	s_delay_alu instid0(VALU_DEP_1) | instskip(NEXT) | instid1(VALU_DEP_1)
	v_fma_f64 v[41:42], v[45:46], v[41:42], -v[47:48]
	v_fma_f64 v[37:38], v[45:46], v[37:38], v[41:42]
	s_delay_alu instid0(VALU_DEP_1) | instskip(NEXT) | instid1(VALU_DEP_1)
	v_add_f64 v[41:42], v[47:48], v[37:38]
	v_add_f64 v[49:50], v[39:40], -v[41:42]
	v_add_f64 v[47:48], v[41:42], -v[47:48]
	s_delay_alu instid0(VALU_DEP_2) | instskip(NEXT) | instid1(VALU_DEP_2)
	v_add_f64 v[39:40], v[39:40], -v[49:50]
	v_add_f64 v[37:38], v[47:48], -v[37:38]
	s_delay_alu instid0(VALU_DEP_2) | instskip(NEXT) | instid1(VALU_DEP_1)
	v_add_f64 v[39:40], v[39:40], -v[41:42]
	v_add_f64 v[37:38], v[37:38], v[39:40]
	s_delay_alu instid0(VALU_DEP_1) | instskip(NEXT) | instid1(VALU_DEP_1)
	v_add_f64 v[37:38], v[49:50], v[37:38]
	v_mul_f64 v[37:38], v[43:44], v[37:38]
	s_delay_alu instid0(VALU_DEP_1) | instskip(NEXT) | instid1(VALU_DEP_1)
	v_add_f64 v[39:40], v[45:46], v[37:38]
	v_add_f64 v[41:42], v[39:40], -v[45:46]
	v_ldexp_f64 v[45:46], v[39:40], 1
	s_delay_alu instid0(VALU_DEP_2) | instskip(SKIP_1) | instid1(VALU_DEP_2)
	v_add_f64 v[37:38], v[37:38], -v[41:42]
	v_mul_f64 v[41:42], v[39:40], v[39:40]
	v_ldexp_f64 v[37:38], v[37:38], 1
	s_delay_alu instid0(VALU_DEP_2) | instskip(SKIP_1) | instid1(VALU_DEP_2)
	v_fma_f64 v[43:44], v[41:42], s[50:51], s[46:47]
	v_mul_f64 v[39:40], v[39:40], v[41:42]
	v_fma_f64 v[43:44], v[41:42], v[43:44], s[38:39]
	s_delay_alu instid0(VALU_DEP_1) | instskip(NEXT) | instid1(VALU_DEP_1)
	v_fma_f64 v[43:44], v[41:42], v[43:44], s[40:41]
	v_fma_f64 v[43:44], v[41:42], v[43:44], s[42:43]
	s_delay_alu instid0(VALU_DEP_1) | instskip(NEXT) | instid1(VALU_DEP_1)
	v_fma_f64 v[43:44], v[41:42], v[43:44], s[44:45]
	v_fma_f64 v[43:44], v[41:42], v[43:44], s[48:49]
	s_delay_alu instid0(VALU_DEP_1) | instskip(NEXT) | instid1(VALU_DEP_1)
	v_mul_f64 v[39:40], v[39:40], v[43:44]
	v_add_f64 v[41:42], v[45:46], v[39:40]
	s_delay_alu instid0(VALU_DEP_1) | instskip(NEXT) | instid1(VALU_DEP_1)
	v_add_f64 v[43:44], v[41:42], -v[45:46]
	v_add_f64 v[39:40], v[39:40], -v[43:44]
	s_delay_alu instid0(VALU_DEP_1) | instskip(NEXT) | instid1(VALU_DEP_1)
	v_add_f64 v[37:38], v[37:38], v[39:40]
	v_add_f64 v[39:40], v[41:42], v[37:38]
	s_delay_alu instid0(VALU_DEP_1) | instskip(NEXT) | instid1(VALU_DEP_1)
	v_add_f64 v[41:42], v[39:40], -v[41:42]
	v_add_f64 v[37:38], v[37:38], -v[41:42]
	v_cvt_f64_i32_e32 v[41:42], v0
	s_delay_alu instid0(VALU_DEP_1) | instskip(NEXT) | instid1(VALU_DEP_1)
	v_mul_f64 v[43:44], v[41:42], s[34:35]
	v_fma_f64 v[45:46], v[41:42], s[34:35], -v[43:44]
	s_delay_alu instid0(VALU_DEP_1) | instskip(NEXT) | instid1(VALU_DEP_1)
	v_fma_f64 v[41:42], v[41:42], s[36:37], v[45:46]
	v_add_f64 v[45:46], v[43:44], v[41:42]
	s_delay_alu instid0(VALU_DEP_1) | instskip(NEXT) | instid1(VALU_DEP_1)
	v_add_f64 v[43:44], v[45:46], -v[43:44]
	v_add_f64 v[41:42], v[41:42], -v[43:44]
	v_mul_f64 v[43:44], v[39:40], s[30:31]
	s_delay_alu instid0(VALU_DEP_1) | instskip(NEXT) | instid1(VALU_DEP_1)
	v_fma_f64 v[47:48], v[39:40], s[30:31], -v[43:44]
	v_fma_f64 v[37:38], v[37:38], s[30:31], v[47:48]
	s_delay_alu instid0(VALU_DEP_1) | instskip(NEXT) | instid1(VALU_DEP_1)
	v_fma_f64 v[37:38], v[39:40], s[28:29], v[37:38]
	v_add_f64 v[39:40], v[43:44], v[37:38]
	s_delay_alu instid0(VALU_DEP_1) | instskip(NEXT) | instid1(VALU_DEP_1)
	v_add_f64 v[43:44], v[39:40], -v[43:44]
	v_add_f64 v[37:38], v[37:38], -v[43:44]
	v_add_f64 v[43:44], v[45:46], v[39:40]
	s_delay_alu instid0(VALU_DEP_1) | instskip(NEXT) | instid1(VALU_DEP_1)
	v_add_f64 v[47:48], v[43:44], -v[45:46]
	v_add_f64 v[49:50], v[43:44], -v[47:48]
	v_add_f64 v[39:40], v[39:40], -v[47:48]
	s_delay_alu instid0(VALU_DEP_2) | instskip(NEXT) | instid1(VALU_DEP_1)
	v_add_f64 v[45:46], v[45:46], -v[49:50]
	v_add_f64 v[39:40], v[39:40], v[45:46]
	v_add_f64 v[45:46], v[41:42], v[37:38]
	s_delay_alu instid0(VALU_DEP_1) | instskip(NEXT) | instid1(VALU_DEP_3)
	v_add_f64 v[47:48], v[45:46], -v[41:42]
	v_add_f64 v[39:40], v[45:46], v[39:40]
	s_delay_alu instid0(VALU_DEP_2) | instskip(SKIP_1) | instid1(VALU_DEP_2)
	v_add_f64 v[49:50], v[45:46], -v[47:48]
	v_add_f64 v[37:38], v[37:38], -v[47:48]
	;; [unrolled: 1-line block ×3, first 2 shown]
	s_delay_alu instid0(VALU_DEP_1) | instskip(SKIP_1) | instid1(VALU_DEP_1)
	v_add_f64 v[37:38], v[37:38], v[41:42]
	v_add_f64 v[41:42], v[43:44], v[39:40]
	v_add_f64 v[43:44], v[41:42], -v[43:44]
	s_delay_alu instid0(VALU_DEP_1) | instskip(NEXT) | instid1(VALU_DEP_1)
	v_add_f64 v[39:40], v[39:40], -v[43:44]
	v_add_f64 v[37:38], v[37:38], v[39:40]
	s_delay_alu instid0(VALU_DEP_1) | instskip(NEXT) | instid1(VALU_DEP_1)
	v_add_f64 v[37:38], v[41:42], v[37:38]
	v_dual_cndmask_b32 v36, v38, v36 :: v_dual_cndmask_b32 v35, v37, v35
	s_delay_alu instid0(VALU_DEP_1) | instskip(SKIP_1) | instid1(VALU_DEP_2)
	v_fma_f64 v[39:40], v[35:36], s[74:75], s[72:73]
	v_fma_f64 v[37:38], v[35:36], s[64:65], 0x3fe80000
	v_add_f64 v[33:34], v[33:34], -v[39:40]
	s_delay_alu instid0(VALU_DEP_1) | instskip(NEXT) | instid1(VALU_DEP_1)
	v_fma_f64 v[37:38], v[33:34], s[76:77], v[37:38]
	v_div_scale_f64 v[39:40], null, v[37:38], v[37:38], 1.0
	s_delay_alu instid0(VALU_DEP_1) | instskip(SKIP_2) | instid1(VALU_DEP_1)
	v_rcp_f64_e32 v[41:42], v[39:40]
	s_waitcnt_depctr 0xfff
	v_fma_f64 v[43:44], -v[39:40], v[41:42], 1.0
	v_fma_f64 v[41:42], v[41:42], v[43:44], v[41:42]
	s_delay_alu instid0(VALU_DEP_1) | instskip(NEXT) | instid1(VALU_DEP_1)
	v_fma_f64 v[43:44], -v[39:40], v[41:42], 1.0
	v_fma_f64 v[41:42], v[41:42], v[43:44], v[41:42]
	v_div_scale_f64 v[43:44], vcc_lo, 1.0, v[37:38], 1.0
	s_delay_alu instid0(VALU_DEP_1) | instskip(NEXT) | instid1(VALU_DEP_1)
	v_mul_f64 v[45:46], v[43:44], v[41:42]
	v_fma_f64 v[39:40], -v[39:40], v[45:46], v[43:44]
	s_delay_alu instid0(VALU_DEP_1) | instskip(NEXT) | instid1(VALU_DEP_1)
	v_div_fmas_f64 v[39:40], v[39:40], v[41:42], v[45:46]
	v_div_fixup_f64 v[37:38], v[39:40], v[37:38], 1.0
	s_delay_alu instid0(VALU_DEP_1) | instskip(NEXT) | instid1(VALU_DEP_1)
	v_mul_f64 v[33:34], v[33:34], v[37:38]
	v_fma_f64 v[33:34], v[33:34], v[33:34], 1.0
	s_delay_alu instid0(VALU_DEP_1) | instskip(NEXT) | instid1(VALU_DEP_1)
	v_div_scale_f64 v[37:38], null, v[33:34], v[33:34], 1.0
	v_rcp_f64_e32 v[39:40], v[37:38]
	s_waitcnt_depctr 0xfff
	v_fma_f64 v[41:42], -v[37:38], v[39:40], 1.0
	s_delay_alu instid0(VALU_DEP_1) | instskip(NEXT) | instid1(VALU_DEP_1)
	v_fma_f64 v[39:40], v[39:40], v[41:42], v[39:40]
	v_fma_f64 v[41:42], -v[37:38], v[39:40], 1.0
	s_delay_alu instid0(VALU_DEP_1) | instskip(SKIP_1) | instid1(VALU_DEP_1)
	v_fma_f64 v[39:40], v[39:40], v[41:42], v[39:40]
	v_div_scale_f64 v[41:42], vcc_lo, 1.0, v[33:34], 1.0
	v_mul_f64 v[43:44], v[41:42], v[39:40]
	s_delay_alu instid0(VALU_DEP_1) | instskip(NEXT) | instid1(VALU_DEP_1)
	v_fma_f64 v[37:38], -v[37:38], v[43:44], v[41:42]
	v_div_fmas_f64 v[37:38], v[37:38], v[39:40], v[43:44]
	s_delay_alu instid0(VALU_DEP_1) | instskip(NEXT) | instid1(VALU_DEP_1)
	v_div_fixup_f64 v[33:34], v[37:38], v[33:34], 1.0
	v_mul_f64 v[33:34], v[35:36], v[33:34]
	s_delay_alu instid0(VALU_DEP_1) | instskip(SKIP_2) | instid1(VALU_DEP_3)
	v_mul_f64 v[35:36], v[33:34], s[60:61]
	v_cmp_nlt_f64_e32 vcc_lo, 0x40900000, v[33:34]
	v_cmp_ngt_f64_e64 s0, 0xc090cc00, v[33:34]
	v_rndne_f64_e32 v[35:36], v[35:36]
	s_delay_alu instid0(VALU_DEP_1) | instskip(SKIP_1) | instid1(VALU_DEP_2)
	v_fma_f64 v[37:38], v[35:36], s[66:67], v[33:34]
	v_cvt_i32_f64_e32 v0, v[35:36]
	v_fma_f64 v[37:38], v[35:36], s[62:63], v[37:38]
	s_delay_alu instid0(VALU_DEP_1) | instskip(NEXT) | instid1(VALU_DEP_1)
	v_mul_f64 v[39:40], v[37:38], s[68:69]
	v_fma_f64 v[37:38], v[37:38], s[70:71], v[39:40]
	s_delay_alu instid0(VALU_DEP_1) | instskip(NEXT) | instid1(VALU_DEP_1)
	v_fma_f64 v[39:40], v[37:38], s[4:5], s[2:3]
	v_fma_f64 v[39:40], v[37:38], v[39:40], s[6:7]
	s_delay_alu instid0(VALU_DEP_1) | instskip(NEXT) | instid1(VALU_DEP_1)
	v_fma_f64 v[39:40], v[37:38], v[39:40], s[12:13]
	;; [unrolled: 3-line block ×5, first 2 shown]
	v_fma_f64 v[39:40], v[37:38], v[39:40], 1.0
	s_delay_alu instid0(VALU_DEP_1) | instskip(NEXT) | instid1(VALU_DEP_1)
	v_fma_f64 v[37:38], v[37:38], v[39:40], 1.0
	v_ldexp_f64 v[35:36], v[37:38], v0
	s_delay_alu instid0(VALU_DEP_1) | instskip(SKIP_1) | instid1(VALU_DEP_2)
	v_cndmask_b32_e32 v0, 0x7ff00000, v36, vcc_lo
	s_and_b32 vcc_lo, s0, vcc_lo
	v_cndmask_b32_e32 v33, 0, v35, vcc_lo
	v_add_co_u32 v25, vcc_lo, s10, v25
	s_delay_alu instid0(VALU_DEP_3) | instskip(SKIP_2) | instid1(VALU_DEP_3)
	v_cndmask_b32_e64 v34, 0, v0, s0
	v_add_co_ci_u32_e32 v26, vcc_lo, s11, v26, vcc_lo
	v_add_co_u32 v23, vcc_lo, s16, v23
	v_mul_f64 v[31:32], v[31:32], v[33:34]
	v_add_co_ci_u32_e32 v24, vcc_lo, s17, v24, vcc_lo
	s_delay_alu instid0(VALU_DEP_2)
	v_mul_f64 v[29:30], v[29:30], v[31:32]
	global_store_b64 v[27:28], v[29:30], off
	global_load_b64 v[27:28], v[25:26], off
	s_waitcnt vmcnt(0)
	v_mul_f64 v[27:28], v[27:28], v[31:32]
	global_store_b64 v[25:26], v[27:28], off
	global_load_b64 v[28:29], v[23:24], off
	v_mad_u64_u32 v[23:24], null, s1, 6, v[1:2]
	v_mov_b32_e32 v24, v2
	s_delay_alu instid0(VALU_DEP_1) | instskip(NEXT) | instid1(VALU_DEP_1)
	v_lshlrev_b64 v[0:1], 3, v[23:24]
	v_add_co_u32 v24, vcc_lo, s8, v0
	s_delay_alu instid0(VALU_DEP_2) | instskip(SKIP_3) | instid1(VALU_DEP_1)
	v_add_co_ci_u32_e32 v25, vcc_lo, s9, v1, vcc_lo
	global_load_b64 v[26:27], v[24:25], off
	s_waitcnt vmcnt(0)
	v_div_scale_f64 v[30:31], null, v[26:27], v[26:27], 1.0
	v_rcp_f64_e32 v[32:33], v[30:31]
	s_waitcnt_depctr 0xfff
	v_fma_f64 v[34:35], -v[30:31], v[32:33], 1.0
	s_delay_alu instid0(VALU_DEP_1) | instskip(NEXT) | instid1(VALU_DEP_1)
	v_fma_f64 v[32:33], v[32:33], v[34:35], v[32:33]
	v_fma_f64 v[34:35], -v[30:31], v[32:33], 1.0
	s_delay_alu instid0(VALU_DEP_1) | instskip(SKIP_1) | instid1(VALU_DEP_1)
	v_fma_f64 v[32:33], v[32:33], v[34:35], v[32:33]
	v_div_scale_f64 v[34:35], vcc_lo, 1.0, v[26:27], 1.0
	v_mul_f64 v[36:37], v[34:35], v[32:33]
	s_delay_alu instid0(VALU_DEP_1) | instskip(NEXT) | instid1(VALU_DEP_1)
	v_fma_f64 v[30:31], -v[30:31], v[36:37], v[34:35]
	v_div_fmas_f64 v[30:31], v[30:31], v[32:33], v[36:37]
	s_delay_alu instid0(VALU_DEP_1) | instskip(NEXT) | instid1(VALU_DEP_1)
	v_div_fixup_f64 v[30:31], v[30:31], v[26:27], 1.0
	v_mul_f64 v[30:31], v[11:12], v[30:31]
	s_delay_alu instid0(VALU_DEP_1) | instskip(SKIP_1) | instid1(VALU_DEP_1)
	v_mul_f64 v[32:33], v[28:29], v[30:31]
	v_fma_f64 v[28:29], v[28:29], v[30:31], 1.0
	v_div_scale_f64 v[30:31], null, v[28:29], v[28:29], 1.0
	s_delay_alu instid0(VALU_DEP_1) | instskip(SKIP_2) | instid1(VALU_DEP_1)
	v_rcp_f64_e32 v[34:35], v[30:31]
	s_waitcnt_depctr 0xfff
	v_fma_f64 v[36:37], -v[30:31], v[34:35], 1.0
	v_fma_f64 v[34:35], v[34:35], v[36:37], v[34:35]
	s_delay_alu instid0(VALU_DEP_1) | instskip(NEXT) | instid1(VALU_DEP_1)
	v_fma_f64 v[36:37], -v[30:31], v[34:35], 1.0
	v_fma_f64 v[34:35], v[34:35], v[36:37], v[34:35]
	v_div_scale_f64 v[36:37], vcc_lo, 1.0, v[28:29], 1.0
	s_delay_alu instid0(VALU_DEP_1) | instskip(NEXT) | instid1(VALU_DEP_1)
	v_mul_f64 v[38:39], v[36:37], v[34:35]
	v_fma_f64 v[30:31], -v[30:31], v[38:39], v[36:37]
	s_delay_alu instid0(VALU_DEP_1) | instskip(SKIP_1) | instid1(VALU_DEP_2)
	v_div_fmas_f64 v[30:31], v[30:31], v[34:35], v[38:39]
	v_mov_b32_e32 v34, v2
	v_div_fixup_f64 v[28:29], v[30:31], v[28:29], 1.0
	v_max_f64 v[30:31], 0x38100000, v[32:33]
	s_delay_alu instid0(VALU_DEP_2) | instskip(NEXT) | instid1(VALU_DEP_2)
	v_mul_f64 v[28:29], v[32:33], v[28:29]
	v_frexp_mant_f64_e32 v[32:33], v[30:31]
	v_frexp_exp_i32_f64_e32 v36, v[30:31]
	s_delay_alu instid0(VALU_DEP_2) | instskip(SKIP_1) | instid1(VALU_DEP_3)
	v_cmp_gt_f64_e32 vcc_lo, s[52:53], v[32:33]
	v_cndmask_b32_e64 v35, 0x3ff00000, 2.0, vcc_lo
	v_subrev_co_ci_u32_e32 v46, vcc_lo, 0, v36, vcc_lo
	v_cmp_eq_f64_e32 vcc_lo, 0x7ff00000, v[30:31]
	s_delay_alu instid0(VALU_DEP_3) | instskip(NEXT) | instid1(VALU_DEP_1)
	v_mul_f64 v[32:33], v[32:33], v[34:35]
	v_add_f64 v[36:37], v[32:33], 1.0
	v_add_f64 v[34:35], v[32:33], -1.0
	s_delay_alu instid0(VALU_DEP_2) | instskip(NEXT) | instid1(VALU_DEP_1)
	v_add_f64 v[38:39], v[36:37], -1.0
	v_add_f64 v[32:33], v[32:33], -v[38:39]
	v_rcp_f64_e32 v[38:39], v[36:37]
	s_waitcnt_depctr 0xfff
	v_fma_f64 v[40:41], -v[36:37], v[38:39], 1.0
	s_delay_alu instid0(VALU_DEP_1) | instskip(NEXT) | instid1(VALU_DEP_1)
	v_fma_f64 v[38:39], v[40:41], v[38:39], v[38:39]
	v_fma_f64 v[40:41], -v[36:37], v[38:39], 1.0
	s_delay_alu instid0(VALU_DEP_1) | instskip(NEXT) | instid1(VALU_DEP_1)
	v_fma_f64 v[38:39], v[40:41], v[38:39], v[38:39]
	v_mul_f64 v[40:41], v[34:35], v[38:39]
	s_delay_alu instid0(VALU_DEP_1) | instskip(NEXT) | instid1(VALU_DEP_1)
	v_mul_f64 v[42:43], v[36:37], v[40:41]
	v_fma_f64 v[36:37], v[40:41], v[36:37], -v[42:43]
	s_delay_alu instid0(VALU_DEP_1) | instskip(NEXT) | instid1(VALU_DEP_1)
	v_fma_f64 v[32:33], v[40:41], v[32:33], v[36:37]
	v_add_f64 v[36:37], v[42:43], v[32:33]
	s_delay_alu instid0(VALU_DEP_1) | instskip(SKIP_1) | instid1(VALU_DEP_2)
	v_add_f64 v[44:45], v[34:35], -v[36:37]
	v_add_f64 v[42:43], v[36:37], -v[42:43]
	;; [unrolled: 1-line block ×3, first 2 shown]
	s_delay_alu instid0(VALU_DEP_2) | instskip(NEXT) | instid1(VALU_DEP_2)
	v_add_f64 v[32:33], v[42:43], -v[32:33]
	v_add_f64 v[34:35], v[34:35], -v[36:37]
	s_delay_alu instid0(VALU_DEP_1) | instskip(NEXT) | instid1(VALU_DEP_1)
	v_add_f64 v[32:33], v[32:33], v[34:35]
	v_add_f64 v[32:33], v[44:45], v[32:33]
	s_delay_alu instid0(VALU_DEP_1) | instskip(NEXT) | instid1(VALU_DEP_1)
	v_mul_f64 v[32:33], v[38:39], v[32:33]
	v_add_f64 v[34:35], v[40:41], v[32:33]
	s_delay_alu instid0(VALU_DEP_1) | instskip(SKIP_1) | instid1(VALU_DEP_2)
	v_add_f64 v[36:37], v[34:35], -v[40:41]
	v_ldexp_f64 v[40:41], v[34:35], 1
	v_add_f64 v[32:33], v[32:33], -v[36:37]
	v_mul_f64 v[36:37], v[34:35], v[34:35]
	s_delay_alu instid0(VALU_DEP_2) | instskip(NEXT) | instid1(VALU_DEP_2)
	v_ldexp_f64 v[32:33], v[32:33], 1
	v_fma_f64 v[38:39], v[36:37], s[50:51], s[46:47]
	v_mul_f64 v[34:35], v[34:35], v[36:37]
	s_delay_alu instid0(VALU_DEP_2) | instskip(NEXT) | instid1(VALU_DEP_1)
	v_fma_f64 v[38:39], v[36:37], v[38:39], s[38:39]
	v_fma_f64 v[38:39], v[36:37], v[38:39], s[40:41]
	s_delay_alu instid0(VALU_DEP_1) | instskip(NEXT) | instid1(VALU_DEP_1)
	v_fma_f64 v[38:39], v[36:37], v[38:39], s[42:43]
	v_fma_f64 v[38:39], v[36:37], v[38:39], s[44:45]
	s_delay_alu instid0(VALU_DEP_1) | instskip(NEXT) | instid1(VALU_DEP_1)
	v_fma_f64 v[38:39], v[36:37], v[38:39], s[48:49]
	v_mul_f64 v[34:35], v[34:35], v[38:39]
	s_delay_alu instid0(VALU_DEP_1) | instskip(NEXT) | instid1(VALU_DEP_1)
	v_add_f64 v[36:37], v[40:41], v[34:35]
	v_add_f64 v[38:39], v[36:37], -v[40:41]
	s_delay_alu instid0(VALU_DEP_1) | instskip(NEXT) | instid1(VALU_DEP_1)
	v_add_f64 v[34:35], v[34:35], -v[38:39]
	v_add_f64 v[32:33], v[32:33], v[34:35]
	s_delay_alu instid0(VALU_DEP_1) | instskip(NEXT) | instid1(VALU_DEP_1)
	v_add_f64 v[34:35], v[36:37], v[32:33]
	v_add_f64 v[36:37], v[34:35], -v[36:37]
	s_delay_alu instid0(VALU_DEP_1) | instskip(SKIP_1) | instid1(VALU_DEP_1)
	v_add_f64 v[32:33], v[32:33], -v[36:37]
	v_cvt_f64_i32_e32 v[36:37], v46
	v_mul_f64 v[38:39], v[36:37], s[34:35]
	s_delay_alu instid0(VALU_DEP_1) | instskip(NEXT) | instid1(VALU_DEP_1)
	v_fma_f64 v[40:41], v[36:37], s[34:35], -v[38:39]
	v_fma_f64 v[36:37], v[36:37], s[36:37], v[40:41]
	s_delay_alu instid0(VALU_DEP_1) | instskip(NEXT) | instid1(VALU_DEP_1)
	v_add_f64 v[40:41], v[38:39], v[36:37]
	v_add_f64 v[38:39], v[40:41], -v[38:39]
	s_delay_alu instid0(VALU_DEP_1) | instskip(SKIP_1) | instid1(VALU_DEP_1)
	v_add_f64 v[36:37], v[36:37], -v[38:39]
	v_mul_f64 v[38:39], v[34:35], s[30:31]
	v_fma_f64 v[42:43], v[34:35], s[30:31], -v[38:39]
	s_delay_alu instid0(VALU_DEP_1) | instskip(NEXT) | instid1(VALU_DEP_1)
	v_fma_f64 v[32:33], v[32:33], s[30:31], v[42:43]
	v_fma_f64 v[32:33], v[34:35], s[28:29], v[32:33]
	s_delay_alu instid0(VALU_DEP_1) | instskip(NEXT) | instid1(VALU_DEP_1)
	v_add_f64 v[34:35], v[38:39], v[32:33]
	v_add_f64 v[38:39], v[34:35], -v[38:39]
	s_delay_alu instid0(VALU_DEP_1) | instskip(SKIP_1) | instid1(VALU_DEP_1)
	v_add_f64 v[32:33], v[32:33], -v[38:39]
	v_add_f64 v[38:39], v[40:41], v[34:35]
	v_add_f64 v[42:43], v[38:39], -v[40:41]
	s_delay_alu instid0(VALU_DEP_1) | instskip(SKIP_1) | instid1(VALU_DEP_2)
	v_add_f64 v[44:45], v[38:39], -v[42:43]
	v_add_f64 v[34:35], v[34:35], -v[42:43]
	;; [unrolled: 1-line block ×3, first 2 shown]
	s_delay_alu instid0(VALU_DEP_1) | instskip(SKIP_1) | instid1(VALU_DEP_1)
	v_add_f64 v[34:35], v[34:35], v[40:41]
	v_add_f64 v[40:41], v[36:37], v[32:33]
	v_add_f64 v[42:43], v[40:41], -v[36:37]
	s_delay_alu instid0(VALU_DEP_3) | instskip(NEXT) | instid1(VALU_DEP_2)
	v_add_f64 v[34:35], v[40:41], v[34:35]
	v_add_f64 v[44:45], v[40:41], -v[42:43]
	v_add_f64 v[32:33], v[32:33], -v[42:43]
	s_delay_alu instid0(VALU_DEP_2) | instskip(NEXT) | instid1(VALU_DEP_1)
	v_add_f64 v[36:37], v[36:37], -v[44:45]
	v_add_f64 v[32:33], v[32:33], v[36:37]
	v_add_f64 v[36:37], v[38:39], v[34:35]
	s_delay_alu instid0(VALU_DEP_1) | instskip(NEXT) | instid1(VALU_DEP_1)
	v_add_f64 v[38:39], v[36:37], -v[38:39]
	v_add_f64 v[34:35], v[34:35], -v[38:39]
	s_delay_alu instid0(VALU_DEP_1) | instskip(NEXT) | instid1(VALU_DEP_1)
	v_add_f64 v[32:33], v[32:33], v[34:35]
	v_add_f64 v[32:33], v[36:37], v[32:33]
	s_delay_alu instid0(VALU_DEP_1) | instskip(SKIP_3) | instid1(VALU_DEP_1)
	v_dual_cndmask_b32 v31, v33, v31 :: v_dual_cndmask_b32 v30, v32, v30
	v_mul_f64 v[32:33], v[3:4], s[84:85]
	s_mov_b32 s84, 0x8b439581
	s_mov_b32 s85, 0x3fcbe76c
	v_mul_f64 v[34:35], v[32:33], s[58:59]
	v_cmp_nlt_f64_e32 vcc_lo, 0x40900000, v[32:33]
	v_cmp_ngt_f64_e64 s0, 0xc090cc00, v[32:33]
	s_delay_alu instid0(VALU_DEP_3) | instskip(NEXT) | instid1(VALU_DEP_1)
	v_rndne_f64_e32 v[34:35], v[34:35]
	v_fma_f64 v[36:37], v[34:35], s[56:57], v[32:33]
	s_delay_alu instid0(VALU_DEP_1) | instskip(SKIP_1) | instid1(VALU_DEP_2)
	v_fma_f64 v[36:37], v[34:35], s[54:55], v[36:37]
	v_cvt_i32_f64_e32 v34, v[34:35]
	v_fma_f64 v[38:39], v[36:37], s[4:5], s[2:3]
	s_delay_alu instid0(VALU_DEP_1) | instskip(NEXT) | instid1(VALU_DEP_1)
	v_fma_f64 v[38:39], v[36:37], v[38:39], s[6:7]
	v_fma_f64 v[38:39], v[36:37], v[38:39], s[12:13]
	s_delay_alu instid0(VALU_DEP_1) | instskip(NEXT) | instid1(VALU_DEP_1)
	v_fma_f64 v[38:39], v[36:37], v[38:39], s[14:15]
	;; [unrolled: 3-line block ×4, first 2 shown]
	v_fma_f64 v[38:39], v[36:37], v[38:39], s[26:27]
	s_delay_alu instid0(VALU_DEP_1) | instskip(NEXT) | instid1(VALU_DEP_1)
	v_fma_f64 v[38:39], v[36:37], v[38:39], 1.0
	v_fma_f64 v[36:37], v[36:37], v[38:39], 1.0
	s_delay_alu instid0(VALU_DEP_1) | instskip(NEXT) | instid1(VALU_DEP_1)
	v_ldexp_f64 v[34:35], v[36:37], v34
	v_mul_f64 v[34:35], v[34:35], s[84:85]
	s_mov_b32 s84, 0x60b57f60
	s_mov_b32 s85, 0xbf389c1e
	s_delay_alu instid0(VALU_DEP_1) | instskip(SKIP_1) | instid1(VALU_DEP_2)
	v_cndmask_b32_e32 v35, 0x7ff00000, v35, vcc_lo
	s_and_b32 vcc_lo, s0, vcc_lo
	v_cndmask_b32_e32 v32, 0, v34, vcc_lo
	s_delay_alu instid0(VALU_DEP_2) | instskip(SKIP_3) | instid1(VALU_DEP_1)
	v_cndmask_b32_e64 v33, 0, v35, s0
	v_mul_f64 v[34:35], v[3:4], s[84:85]
	s_mov_b32 s84, 0xdd2f1aa0
	s_mov_b32 s85, 0x3fe90624
	v_mul_f64 v[36:37], v[34:35], s[58:59]
	v_cmp_nlt_f64_e32 vcc_lo, 0x40900000, v[34:35]
	v_cmp_ngt_f64_e64 s0, 0xc090cc00, v[34:35]
	s_delay_alu instid0(VALU_DEP_3) | instskip(NEXT) | instid1(VALU_DEP_1)
	v_rndne_f64_e32 v[36:37], v[36:37]
	v_fma_f64 v[38:39], v[36:37], s[56:57], v[34:35]
	s_delay_alu instid0(VALU_DEP_1) | instskip(SKIP_1) | instid1(VALU_DEP_2)
	v_fma_f64 v[38:39], v[36:37], s[54:55], v[38:39]
	v_cvt_i32_f64_e32 v36, v[36:37]
	v_fma_f64 v[40:41], v[38:39], s[4:5], s[2:3]
	s_delay_alu instid0(VALU_DEP_1) | instskip(NEXT) | instid1(VALU_DEP_1)
	v_fma_f64 v[40:41], v[38:39], v[40:41], s[6:7]
	v_fma_f64 v[40:41], v[38:39], v[40:41], s[12:13]
	s_delay_alu instid0(VALU_DEP_1) | instskip(NEXT) | instid1(VALU_DEP_1)
	v_fma_f64 v[40:41], v[38:39], v[40:41], s[14:15]
	;; [unrolled: 3-line block ×4, first 2 shown]
	v_fma_f64 v[40:41], v[38:39], v[40:41], s[26:27]
	s_delay_alu instid0(VALU_DEP_1) | instskip(NEXT) | instid1(VALU_DEP_1)
	v_fma_f64 v[40:41], v[38:39], v[40:41], 1.0
	v_fma_f64 v[38:39], v[38:39], v[40:41], 1.0
	s_delay_alu instid0(VALU_DEP_1) | instskip(NEXT) | instid1(VALU_DEP_1)
	v_ldexp_f64 v[36:37], v[38:39], v36
	v_mul_f64 v[36:37], v[36:37], s[84:85]
	s_mov_b32 s84, 0x79fc1abc
	s_mov_b32 s85, 0xbf48715a
	s_delay_alu instid0(VALU_DEP_1) | instskip(SKIP_1) | instid1(VALU_DEP_2)
	v_cndmask_b32_e32 v37, 0x7ff00000, v37, vcc_lo
	s_and_b32 vcc_lo, s0, vcc_lo
	v_cndmask_b32_e32 v34, 0, v36, vcc_lo
	s_delay_alu instid0(VALU_DEP_2) | instskip(NEXT) | instid1(VALU_DEP_1)
	v_cndmask_b32_e64 v35, 0, v37, s0
	v_add_f64 v[32:33], v[32:33], v[34:35]
	v_mul_f64 v[34:35], 0xc0b7cf00, v[13:14]
	s_delay_alu instid0(VALU_DEP_1) | instskip(SKIP_2) | instid1(VALU_DEP_3)
	v_mul_f64 v[36:37], v[34:35], s[58:59]
	v_cmp_nlt_f64_e32 vcc_lo, 0x40900000, v[34:35]
	v_cmp_ngt_f64_e64 s0, 0xc090cc00, v[34:35]
	v_rndne_f64_e32 v[36:37], v[36:37]
	s_delay_alu instid0(VALU_DEP_1) | instskip(NEXT) | instid1(VALU_DEP_1)
	v_fma_f64 v[38:39], v[36:37], s[56:57], v[34:35]
	v_fma_f64 v[38:39], v[36:37], s[54:55], v[38:39]
	v_cvt_i32_f64_e32 v36, v[36:37]
	s_delay_alu instid0(VALU_DEP_2) | instskip(NEXT) | instid1(VALU_DEP_1)
	v_fma_f64 v[40:41], v[38:39], s[4:5], s[2:3]
	v_fma_f64 v[40:41], v[38:39], v[40:41], s[6:7]
	s_delay_alu instid0(VALU_DEP_1) | instskip(NEXT) | instid1(VALU_DEP_1)
	v_fma_f64 v[40:41], v[38:39], v[40:41], s[12:13]
	v_fma_f64 v[40:41], v[38:39], v[40:41], s[14:15]
	s_delay_alu instid0(VALU_DEP_1) | instskip(NEXT) | instid1(VALU_DEP_1)
	;; [unrolled: 3-line block ×4, first 2 shown]
	v_fma_f64 v[40:41], v[38:39], v[40:41], s[26:27]
	v_fma_f64 v[40:41], v[38:39], v[40:41], 1.0
	s_delay_alu instid0(VALU_DEP_1) | instskip(NEXT) | instid1(VALU_DEP_1)
	v_fma_f64 v[38:39], v[38:39], v[40:41], 1.0
	v_ldexp_f64 v[36:37], v[38:39], v36
	s_delay_alu instid0(VALU_DEP_1) | instskip(SKIP_1) | instid1(VALU_DEP_2)
	v_cndmask_b32_e32 v37, 0x7ff00000, v37, vcc_lo
	s_and_b32 vcc_lo, s0, vcc_lo
	v_cndmask_b32_e32 v34, 0, v36, vcc_lo
	v_mov_b32_e32 v36, v2
	s_delay_alu instid0(VALU_DEP_3) | instskip(NEXT) | instid1(VALU_DEP_1)
	v_cndmask_b32_e64 v35, 0, v37, s0
	v_add_f64 v[32:33], v[34:35], v[32:33]
	s_delay_alu instid0(VALU_DEP_1) | instskip(NEXT) | instid1(VALU_DEP_1)
	v_max_f64 v[32:33], 0x38100000, v[32:33]
	v_frexp_mant_f64_e32 v[34:35], v[32:33]
	v_frexp_exp_i32_f64_e32 v38, v[32:33]
	s_delay_alu instid0(VALU_DEP_2) | instskip(SKIP_1) | instid1(VALU_DEP_3)
	v_cmp_gt_f64_e32 vcc_lo, s[52:53], v[34:35]
	v_cndmask_b32_e64 v37, 0x3ff00000, 2.0, vcc_lo
	v_subrev_co_ci_u32_e32 v48, vcc_lo, 0, v38, vcc_lo
	v_cmp_eq_f64_e32 vcc_lo, 0x7ff00000, v[32:33]
	s_delay_alu instid0(VALU_DEP_3) | instskip(NEXT) | instid1(VALU_DEP_1)
	v_mul_f64 v[34:35], v[34:35], v[36:37]
	v_add_f64 v[38:39], v[34:35], 1.0
	v_add_f64 v[36:37], v[34:35], -1.0
	s_delay_alu instid0(VALU_DEP_2) | instskip(NEXT) | instid1(VALU_DEP_1)
	v_add_f64 v[40:41], v[38:39], -1.0
	v_add_f64 v[34:35], v[34:35], -v[40:41]
	v_rcp_f64_e32 v[40:41], v[38:39]
	s_waitcnt_depctr 0xfff
	v_fma_f64 v[42:43], -v[38:39], v[40:41], 1.0
	s_delay_alu instid0(VALU_DEP_1) | instskip(NEXT) | instid1(VALU_DEP_1)
	v_fma_f64 v[40:41], v[42:43], v[40:41], v[40:41]
	v_fma_f64 v[42:43], -v[38:39], v[40:41], 1.0
	s_delay_alu instid0(VALU_DEP_1) | instskip(NEXT) | instid1(VALU_DEP_1)
	v_fma_f64 v[40:41], v[42:43], v[40:41], v[40:41]
	v_mul_f64 v[42:43], v[36:37], v[40:41]
	s_delay_alu instid0(VALU_DEP_1) | instskip(NEXT) | instid1(VALU_DEP_1)
	v_mul_f64 v[44:45], v[38:39], v[42:43]
	v_fma_f64 v[38:39], v[42:43], v[38:39], -v[44:45]
	s_delay_alu instid0(VALU_DEP_1) | instskip(NEXT) | instid1(VALU_DEP_1)
	v_fma_f64 v[34:35], v[42:43], v[34:35], v[38:39]
	v_add_f64 v[38:39], v[44:45], v[34:35]
	s_delay_alu instid0(VALU_DEP_1) | instskip(SKIP_1) | instid1(VALU_DEP_2)
	v_add_f64 v[46:47], v[36:37], -v[38:39]
	v_add_f64 v[44:45], v[38:39], -v[44:45]
	;; [unrolled: 1-line block ×3, first 2 shown]
	s_delay_alu instid0(VALU_DEP_2) | instskip(NEXT) | instid1(VALU_DEP_2)
	v_add_f64 v[34:35], v[44:45], -v[34:35]
	v_add_f64 v[36:37], v[36:37], -v[38:39]
	s_delay_alu instid0(VALU_DEP_1) | instskip(NEXT) | instid1(VALU_DEP_1)
	v_add_f64 v[34:35], v[34:35], v[36:37]
	v_add_f64 v[34:35], v[46:47], v[34:35]
	s_delay_alu instid0(VALU_DEP_1) | instskip(NEXT) | instid1(VALU_DEP_1)
	v_mul_f64 v[34:35], v[40:41], v[34:35]
	v_add_f64 v[36:37], v[42:43], v[34:35]
	s_delay_alu instid0(VALU_DEP_1) | instskip(SKIP_1) | instid1(VALU_DEP_2)
	v_add_f64 v[38:39], v[36:37], -v[42:43]
	v_ldexp_f64 v[42:43], v[36:37], 1
	v_add_f64 v[34:35], v[34:35], -v[38:39]
	v_mul_f64 v[38:39], v[36:37], v[36:37]
	s_delay_alu instid0(VALU_DEP_2) | instskip(NEXT) | instid1(VALU_DEP_2)
	v_ldexp_f64 v[34:35], v[34:35], 1
	v_fma_f64 v[40:41], v[38:39], s[50:51], s[46:47]
	v_mul_f64 v[36:37], v[36:37], v[38:39]
	s_delay_alu instid0(VALU_DEP_2) | instskip(NEXT) | instid1(VALU_DEP_1)
	v_fma_f64 v[40:41], v[38:39], v[40:41], s[38:39]
	v_fma_f64 v[40:41], v[38:39], v[40:41], s[40:41]
	s_delay_alu instid0(VALU_DEP_1) | instskip(NEXT) | instid1(VALU_DEP_1)
	v_fma_f64 v[40:41], v[38:39], v[40:41], s[42:43]
	v_fma_f64 v[40:41], v[38:39], v[40:41], s[44:45]
	s_delay_alu instid0(VALU_DEP_1) | instskip(NEXT) | instid1(VALU_DEP_1)
	v_fma_f64 v[40:41], v[38:39], v[40:41], s[48:49]
	v_mul_f64 v[36:37], v[36:37], v[40:41]
	s_delay_alu instid0(VALU_DEP_1) | instskip(NEXT) | instid1(VALU_DEP_1)
	v_add_f64 v[38:39], v[42:43], v[36:37]
	v_add_f64 v[40:41], v[38:39], -v[42:43]
	s_delay_alu instid0(VALU_DEP_1) | instskip(NEXT) | instid1(VALU_DEP_1)
	v_add_f64 v[36:37], v[36:37], -v[40:41]
	v_add_f64 v[34:35], v[34:35], v[36:37]
	s_delay_alu instid0(VALU_DEP_1) | instskip(NEXT) | instid1(VALU_DEP_1)
	v_add_f64 v[36:37], v[38:39], v[34:35]
	v_add_f64 v[38:39], v[36:37], -v[38:39]
	s_delay_alu instid0(VALU_DEP_1) | instskip(SKIP_1) | instid1(VALU_DEP_1)
	v_add_f64 v[34:35], v[34:35], -v[38:39]
	v_cvt_f64_i32_e32 v[38:39], v48
	v_mul_f64 v[40:41], v[38:39], s[34:35]
	s_delay_alu instid0(VALU_DEP_1) | instskip(NEXT) | instid1(VALU_DEP_1)
	v_fma_f64 v[42:43], v[38:39], s[34:35], -v[40:41]
	v_fma_f64 v[38:39], v[38:39], s[36:37], v[42:43]
	s_delay_alu instid0(VALU_DEP_1) | instskip(NEXT) | instid1(VALU_DEP_1)
	v_add_f64 v[42:43], v[40:41], v[38:39]
	v_add_f64 v[40:41], v[42:43], -v[40:41]
	s_delay_alu instid0(VALU_DEP_1) | instskip(SKIP_1) | instid1(VALU_DEP_1)
	v_add_f64 v[38:39], v[38:39], -v[40:41]
	v_mul_f64 v[40:41], v[36:37], s[30:31]
	v_fma_f64 v[44:45], v[36:37], s[30:31], -v[40:41]
	s_delay_alu instid0(VALU_DEP_1) | instskip(NEXT) | instid1(VALU_DEP_1)
	v_fma_f64 v[34:35], v[34:35], s[30:31], v[44:45]
	v_fma_f64 v[34:35], v[36:37], s[28:29], v[34:35]
	s_delay_alu instid0(VALU_DEP_1) | instskip(NEXT) | instid1(VALU_DEP_1)
	v_add_f64 v[36:37], v[40:41], v[34:35]
	v_add_f64 v[40:41], v[36:37], -v[40:41]
	s_delay_alu instid0(VALU_DEP_1) | instskip(SKIP_1) | instid1(VALU_DEP_1)
	v_add_f64 v[34:35], v[34:35], -v[40:41]
	v_add_f64 v[40:41], v[42:43], v[36:37]
	v_add_f64 v[44:45], v[40:41], -v[42:43]
	s_delay_alu instid0(VALU_DEP_1) | instskip(SKIP_1) | instid1(VALU_DEP_2)
	v_add_f64 v[46:47], v[40:41], -v[44:45]
	v_add_f64 v[36:37], v[36:37], -v[44:45]
	;; [unrolled: 1-line block ×3, first 2 shown]
	s_delay_alu instid0(VALU_DEP_1) | instskip(SKIP_1) | instid1(VALU_DEP_1)
	v_add_f64 v[36:37], v[36:37], v[42:43]
	v_add_f64 v[42:43], v[38:39], v[34:35]
	v_add_f64 v[44:45], v[42:43], -v[38:39]
	s_delay_alu instid0(VALU_DEP_3) | instskip(NEXT) | instid1(VALU_DEP_2)
	v_add_f64 v[36:37], v[42:43], v[36:37]
	v_add_f64 v[46:47], v[42:43], -v[44:45]
	v_add_f64 v[34:35], v[34:35], -v[44:45]
	s_delay_alu instid0(VALU_DEP_2) | instskip(NEXT) | instid1(VALU_DEP_1)
	v_add_f64 v[38:39], v[38:39], -v[46:47]
	v_add_f64 v[34:35], v[34:35], v[38:39]
	v_add_f64 v[38:39], v[40:41], v[36:37]
	s_delay_alu instid0(VALU_DEP_1) | instskip(NEXT) | instid1(VALU_DEP_1)
	v_add_f64 v[40:41], v[38:39], -v[40:41]
	v_add_f64 v[36:37], v[36:37], -v[40:41]
	s_delay_alu instid0(VALU_DEP_1) | instskip(NEXT) | instid1(VALU_DEP_1)
	v_add_f64 v[34:35], v[34:35], v[36:37]
	v_add_f64 v[34:35], v[38:39], v[34:35]
	s_delay_alu instid0(VALU_DEP_1) | instskip(NEXT) | instid1(VALU_DEP_1)
	v_dual_cndmask_b32 v33, v35, v33 :: v_dual_cndmask_b32 v32, v34, v32
	v_fma_f64 v[36:37], v[32:33], s[74:75], s[72:73]
	v_fma_f64 v[34:35], v[32:33], s[64:65], 0x3fe80000
	s_delay_alu instid0(VALU_DEP_2) | instskip(NEXT) | instid1(VALU_DEP_1)
	v_add_f64 v[30:31], v[30:31], -v[36:37]
	v_fma_f64 v[34:35], v[30:31], s[76:77], v[34:35]
	s_delay_alu instid0(VALU_DEP_1) | instskip(NEXT) | instid1(VALU_DEP_1)
	v_div_scale_f64 v[36:37], null, v[34:35], v[34:35], 1.0
	v_rcp_f64_e32 v[38:39], v[36:37]
	s_waitcnt_depctr 0xfff
	v_fma_f64 v[40:41], -v[36:37], v[38:39], 1.0
	s_delay_alu instid0(VALU_DEP_1) | instskip(NEXT) | instid1(VALU_DEP_1)
	v_fma_f64 v[38:39], v[38:39], v[40:41], v[38:39]
	v_fma_f64 v[40:41], -v[36:37], v[38:39], 1.0
	s_delay_alu instid0(VALU_DEP_1) | instskip(SKIP_1) | instid1(VALU_DEP_1)
	v_fma_f64 v[38:39], v[38:39], v[40:41], v[38:39]
	v_div_scale_f64 v[40:41], vcc_lo, 1.0, v[34:35], 1.0
	v_mul_f64 v[42:43], v[40:41], v[38:39]
	s_delay_alu instid0(VALU_DEP_1) | instskip(NEXT) | instid1(VALU_DEP_1)
	v_fma_f64 v[36:37], -v[36:37], v[42:43], v[40:41]
	v_div_fmas_f64 v[36:37], v[36:37], v[38:39], v[42:43]
	s_delay_alu instid0(VALU_DEP_1) | instskip(NEXT) | instid1(VALU_DEP_1)
	v_div_fixup_f64 v[34:35], v[36:37], v[34:35], 1.0
	v_mul_f64 v[30:31], v[30:31], v[34:35]
	s_delay_alu instid0(VALU_DEP_1) | instskip(NEXT) | instid1(VALU_DEP_1)
	v_fma_f64 v[30:31], v[30:31], v[30:31], 1.0
	v_div_scale_f64 v[34:35], null, v[30:31], v[30:31], 1.0
	s_delay_alu instid0(VALU_DEP_1) | instskip(SKIP_2) | instid1(VALU_DEP_1)
	v_rcp_f64_e32 v[36:37], v[34:35]
	s_waitcnt_depctr 0xfff
	v_fma_f64 v[38:39], -v[34:35], v[36:37], 1.0
	v_fma_f64 v[36:37], v[36:37], v[38:39], v[36:37]
	s_delay_alu instid0(VALU_DEP_1) | instskip(NEXT) | instid1(VALU_DEP_1)
	v_fma_f64 v[38:39], -v[34:35], v[36:37], 1.0
	v_fma_f64 v[36:37], v[36:37], v[38:39], v[36:37]
	v_div_scale_f64 v[38:39], vcc_lo, 1.0, v[30:31], 1.0
	s_delay_alu instid0(VALU_DEP_1) | instskip(NEXT) | instid1(VALU_DEP_1)
	v_mul_f64 v[40:41], v[38:39], v[36:37]
	v_fma_f64 v[34:35], -v[34:35], v[40:41], v[38:39]
	s_delay_alu instid0(VALU_DEP_1) | instskip(NEXT) | instid1(VALU_DEP_1)
	v_div_fmas_f64 v[34:35], v[34:35], v[36:37], v[40:41]
	v_div_fixup_f64 v[30:31], v[34:35], v[30:31], 1.0
	s_delay_alu instid0(VALU_DEP_1) | instskip(NEXT) | instid1(VALU_DEP_1)
	v_mul_f64 v[30:31], v[32:33], v[30:31]
	v_mul_f64 v[32:33], v[30:31], s[60:61]
	v_cmp_nlt_f64_e32 vcc_lo, 0x40900000, v[30:31]
	v_cmp_ngt_f64_e64 s0, 0xc090cc00, v[30:31]
	s_delay_alu instid0(VALU_DEP_3) | instskip(NEXT) | instid1(VALU_DEP_1)
	v_rndne_f64_e32 v[32:33], v[32:33]
	v_fma_f64 v[34:35], v[32:33], s[66:67], v[30:31]
	s_delay_alu instid0(VALU_DEP_1) | instskip(SKIP_1) | instid1(VALU_DEP_2)
	v_fma_f64 v[34:35], v[32:33], s[62:63], v[34:35]
	v_cvt_i32_f64_e32 v32, v[32:33]
	v_mul_f64 v[36:37], v[34:35], s[68:69]
	s_delay_alu instid0(VALU_DEP_1) | instskip(NEXT) | instid1(VALU_DEP_1)
	v_fma_f64 v[34:35], v[34:35], s[70:71], v[36:37]
	v_fma_f64 v[36:37], v[34:35], s[4:5], s[2:3]
	s_delay_alu instid0(VALU_DEP_1) | instskip(NEXT) | instid1(VALU_DEP_1)
	v_fma_f64 v[36:37], v[34:35], v[36:37], s[6:7]
	v_fma_f64 v[36:37], v[34:35], v[36:37], s[12:13]
	;; [unrolled: 3-line block ×5, first 2 shown]
	s_delay_alu instid0(VALU_DEP_1) | instskip(NEXT) | instid1(VALU_DEP_1)
	v_fma_f64 v[36:37], v[34:35], v[36:37], 1.0
	v_fma_f64 v[34:35], v[34:35], v[36:37], 1.0
	s_delay_alu instid0(VALU_DEP_1) | instskip(NEXT) | instid1(VALU_DEP_1)
	v_ldexp_f64 v[32:33], v[34:35], v32
	v_cndmask_b32_e32 v33, 0x7ff00000, v33, vcc_lo
	s_and_b32 vcc_lo, s0, vcc_lo
	s_delay_alu instid0(VALU_DEP_2) | instskip(SKIP_1) | instid1(VALU_DEP_3)
	v_cndmask_b32_e32 v30, 0, v32, vcc_lo
	v_add_co_u32 v0, vcc_lo, s10, v0
	v_cndmask_b32_e64 v31, 0, v33, s0
	v_add_co_ci_u32_e32 v1, vcc_lo, s11, v1, vcc_lo
	s_delay_alu instid0(VALU_DEP_2) | instskip(NEXT) | instid1(VALU_DEP_1)
	v_mul_f64 v[28:29], v[28:29], v[30:31]
	v_mul_f64 v[26:27], v[26:27], v[28:29]
	global_store_b64 v[24:25], v[26:27], off
	global_load_b64 v[24:25], v[0:1], off
	s_waitcnt vmcnt(0)
	v_mul_f64 v[24:25], v[24:25], v[28:29]
	global_store_b64 v[0:1], v[24:25], off
	v_add_co_u32 v0, vcc_lo, s16, v21
	v_add_co_ci_u32_e32 v1, vcc_lo, s17, v22, vcc_lo
	v_mad_u64_u32 v[21:22], null, s1, 13, v[23:24]
	v_mov_b32_e32 v22, v2
	global_load_b64 v[26:27], v[0:1], off
	v_lshlrev_b64 v[0:1], 3, v[21:22]
	s_delay_alu instid0(VALU_DEP_1) | instskip(NEXT) | instid1(VALU_DEP_2)
	v_add_co_u32 v22, vcc_lo, s8, v0
	v_add_co_ci_u32_e32 v23, vcc_lo, s9, v1, vcc_lo
	global_load_b64 v[24:25], v[22:23], off
	s_waitcnt vmcnt(0)
	v_div_scale_f64 v[28:29], null, v[24:25], v[24:25], 1.0
	s_delay_alu instid0(VALU_DEP_1) | instskip(SKIP_2) | instid1(VALU_DEP_1)
	v_rcp_f64_e32 v[30:31], v[28:29]
	s_waitcnt_depctr 0xfff
	v_fma_f64 v[32:33], -v[28:29], v[30:31], 1.0
	v_fma_f64 v[30:31], v[30:31], v[32:33], v[30:31]
	s_delay_alu instid0(VALU_DEP_1) | instskip(NEXT) | instid1(VALU_DEP_1)
	v_fma_f64 v[32:33], -v[28:29], v[30:31], 1.0
	v_fma_f64 v[30:31], v[30:31], v[32:33], v[30:31]
	v_div_scale_f64 v[32:33], vcc_lo, 1.0, v[24:25], 1.0
	s_delay_alu instid0(VALU_DEP_1) | instskip(NEXT) | instid1(VALU_DEP_1)
	v_mul_f64 v[34:35], v[32:33], v[30:31]
	v_fma_f64 v[28:29], -v[28:29], v[34:35], v[32:33]
	s_delay_alu instid0(VALU_DEP_1) | instskip(NEXT) | instid1(VALU_DEP_1)
	v_div_fmas_f64 v[28:29], v[28:29], v[30:31], v[34:35]
	v_div_fixup_f64 v[28:29], v[28:29], v[24:25], 1.0
	s_delay_alu instid0(VALU_DEP_1) | instskip(NEXT) | instid1(VALU_DEP_1)
	v_mul_f64 v[28:29], v[11:12], v[28:29]
	v_mul_f64 v[30:31], v[26:27], v[28:29]
	v_fma_f64 v[26:27], v[26:27], v[28:29], 1.0
	s_delay_alu instid0(VALU_DEP_1) | instskip(NEXT) | instid1(VALU_DEP_1)
	v_div_scale_f64 v[28:29], null, v[26:27], v[26:27], 1.0
	v_rcp_f64_e32 v[32:33], v[28:29]
	s_waitcnt_depctr 0xfff
	v_fma_f64 v[34:35], -v[28:29], v[32:33], 1.0
	s_delay_alu instid0(VALU_DEP_1) | instskip(NEXT) | instid1(VALU_DEP_1)
	v_fma_f64 v[32:33], v[32:33], v[34:35], v[32:33]
	v_fma_f64 v[34:35], -v[28:29], v[32:33], 1.0
	s_delay_alu instid0(VALU_DEP_1) | instskip(SKIP_1) | instid1(VALU_DEP_1)
	v_fma_f64 v[32:33], v[32:33], v[34:35], v[32:33]
	v_div_scale_f64 v[34:35], vcc_lo, 1.0, v[26:27], 1.0
	v_mul_f64 v[36:37], v[34:35], v[32:33]
	s_delay_alu instid0(VALU_DEP_1) | instskip(NEXT) | instid1(VALU_DEP_1)
	v_fma_f64 v[28:29], -v[28:29], v[36:37], v[34:35]
	v_div_fmas_f64 v[28:29], v[28:29], v[32:33], v[36:37]
	v_mov_b32_e32 v32, v2
	s_delay_alu instid0(VALU_DEP_2) | instskip(SKIP_1) | instid1(VALU_DEP_2)
	v_div_fixup_f64 v[26:27], v[28:29], v[26:27], 1.0
	v_max_f64 v[28:29], 0x38100000, v[30:31]
	v_mul_f64 v[26:27], v[30:31], v[26:27]
	s_delay_alu instid0(VALU_DEP_2) | instskip(SKIP_1) | instid1(VALU_DEP_2)
	v_frexp_mant_f64_e32 v[30:31], v[28:29]
	v_frexp_exp_i32_f64_e32 v34, v[28:29]
	v_cmp_gt_f64_e32 vcc_lo, s[52:53], v[30:31]
	v_cndmask_b32_e64 v33, 0x3ff00000, 2.0, vcc_lo
	s_delay_alu instid0(VALU_DEP_3) | instskip(SKIP_1) | instid1(VALU_DEP_3)
	v_subrev_co_ci_u32_e32 v44, vcc_lo, 0, v34, vcc_lo
	v_cmp_eq_f64_e32 vcc_lo, 0x7ff00000, v[28:29]
	v_mul_f64 v[30:31], v[30:31], v[32:33]
	s_delay_alu instid0(VALU_DEP_1) | instskip(SKIP_1) | instid1(VALU_DEP_2)
	v_add_f64 v[34:35], v[30:31], 1.0
	v_add_f64 v[32:33], v[30:31], -1.0
	v_add_f64 v[36:37], v[34:35], -1.0
	s_delay_alu instid0(VALU_DEP_1) | instskip(SKIP_3) | instid1(VALU_DEP_1)
	v_add_f64 v[30:31], v[30:31], -v[36:37]
	v_rcp_f64_e32 v[36:37], v[34:35]
	s_waitcnt_depctr 0xfff
	v_fma_f64 v[38:39], -v[34:35], v[36:37], 1.0
	v_fma_f64 v[36:37], v[38:39], v[36:37], v[36:37]
	s_delay_alu instid0(VALU_DEP_1) | instskip(NEXT) | instid1(VALU_DEP_1)
	v_fma_f64 v[38:39], -v[34:35], v[36:37], 1.0
	v_fma_f64 v[36:37], v[38:39], v[36:37], v[36:37]
	s_delay_alu instid0(VALU_DEP_1) | instskip(NEXT) | instid1(VALU_DEP_1)
	v_mul_f64 v[38:39], v[32:33], v[36:37]
	v_mul_f64 v[40:41], v[34:35], v[38:39]
	s_delay_alu instid0(VALU_DEP_1) | instskip(NEXT) | instid1(VALU_DEP_1)
	v_fma_f64 v[34:35], v[38:39], v[34:35], -v[40:41]
	v_fma_f64 v[30:31], v[38:39], v[30:31], v[34:35]
	s_delay_alu instid0(VALU_DEP_1) | instskip(NEXT) | instid1(VALU_DEP_1)
	v_add_f64 v[34:35], v[40:41], v[30:31]
	v_add_f64 v[42:43], v[32:33], -v[34:35]
	v_add_f64 v[40:41], v[34:35], -v[40:41]
	s_delay_alu instid0(VALU_DEP_2) | instskip(NEXT) | instid1(VALU_DEP_2)
	v_add_f64 v[32:33], v[32:33], -v[42:43]
	v_add_f64 v[30:31], v[40:41], -v[30:31]
	s_delay_alu instid0(VALU_DEP_2) | instskip(NEXT) | instid1(VALU_DEP_1)
	v_add_f64 v[32:33], v[32:33], -v[34:35]
	v_add_f64 v[30:31], v[30:31], v[32:33]
	s_delay_alu instid0(VALU_DEP_1) | instskip(NEXT) | instid1(VALU_DEP_1)
	v_add_f64 v[30:31], v[42:43], v[30:31]
	v_mul_f64 v[30:31], v[36:37], v[30:31]
	s_delay_alu instid0(VALU_DEP_1) | instskip(NEXT) | instid1(VALU_DEP_1)
	v_add_f64 v[32:33], v[38:39], v[30:31]
	v_add_f64 v[34:35], v[32:33], -v[38:39]
	v_ldexp_f64 v[38:39], v[32:33], 1
	s_delay_alu instid0(VALU_DEP_2) | instskip(SKIP_1) | instid1(VALU_DEP_2)
	v_add_f64 v[30:31], v[30:31], -v[34:35]
	v_mul_f64 v[34:35], v[32:33], v[32:33]
	v_ldexp_f64 v[30:31], v[30:31], 1
	s_delay_alu instid0(VALU_DEP_2) | instskip(SKIP_1) | instid1(VALU_DEP_2)
	v_fma_f64 v[36:37], v[34:35], s[50:51], s[46:47]
	v_mul_f64 v[32:33], v[32:33], v[34:35]
	v_fma_f64 v[36:37], v[34:35], v[36:37], s[38:39]
	s_delay_alu instid0(VALU_DEP_1) | instskip(NEXT) | instid1(VALU_DEP_1)
	v_fma_f64 v[36:37], v[34:35], v[36:37], s[40:41]
	v_fma_f64 v[36:37], v[34:35], v[36:37], s[42:43]
	s_delay_alu instid0(VALU_DEP_1) | instskip(NEXT) | instid1(VALU_DEP_1)
	v_fma_f64 v[36:37], v[34:35], v[36:37], s[44:45]
	v_fma_f64 v[36:37], v[34:35], v[36:37], s[48:49]
	s_delay_alu instid0(VALU_DEP_1) | instskip(NEXT) | instid1(VALU_DEP_1)
	v_mul_f64 v[32:33], v[32:33], v[36:37]
	v_add_f64 v[34:35], v[38:39], v[32:33]
	s_delay_alu instid0(VALU_DEP_1) | instskip(NEXT) | instid1(VALU_DEP_1)
	v_add_f64 v[36:37], v[34:35], -v[38:39]
	v_add_f64 v[32:33], v[32:33], -v[36:37]
	s_delay_alu instid0(VALU_DEP_1) | instskip(NEXT) | instid1(VALU_DEP_1)
	v_add_f64 v[30:31], v[30:31], v[32:33]
	v_add_f64 v[32:33], v[34:35], v[30:31]
	s_delay_alu instid0(VALU_DEP_1) | instskip(NEXT) | instid1(VALU_DEP_1)
	v_add_f64 v[34:35], v[32:33], -v[34:35]
	v_add_f64 v[30:31], v[30:31], -v[34:35]
	v_cvt_f64_i32_e32 v[34:35], v44
	s_delay_alu instid0(VALU_DEP_1) | instskip(NEXT) | instid1(VALU_DEP_1)
	v_mul_f64 v[36:37], v[34:35], s[34:35]
	v_fma_f64 v[38:39], v[34:35], s[34:35], -v[36:37]
	s_delay_alu instid0(VALU_DEP_1) | instskip(NEXT) | instid1(VALU_DEP_1)
	v_fma_f64 v[34:35], v[34:35], s[36:37], v[38:39]
	v_add_f64 v[38:39], v[36:37], v[34:35]
	s_delay_alu instid0(VALU_DEP_1) | instskip(NEXT) | instid1(VALU_DEP_1)
	v_add_f64 v[36:37], v[38:39], -v[36:37]
	v_add_f64 v[34:35], v[34:35], -v[36:37]
	v_mul_f64 v[36:37], v[32:33], s[30:31]
	s_delay_alu instid0(VALU_DEP_1) | instskip(NEXT) | instid1(VALU_DEP_1)
	v_fma_f64 v[40:41], v[32:33], s[30:31], -v[36:37]
	v_fma_f64 v[30:31], v[30:31], s[30:31], v[40:41]
	s_delay_alu instid0(VALU_DEP_1) | instskip(NEXT) | instid1(VALU_DEP_1)
	v_fma_f64 v[30:31], v[32:33], s[28:29], v[30:31]
	v_add_f64 v[32:33], v[36:37], v[30:31]
	s_delay_alu instid0(VALU_DEP_1) | instskip(NEXT) | instid1(VALU_DEP_1)
	v_add_f64 v[36:37], v[32:33], -v[36:37]
	v_add_f64 v[30:31], v[30:31], -v[36:37]
	v_add_f64 v[36:37], v[38:39], v[32:33]
	s_delay_alu instid0(VALU_DEP_1) | instskip(NEXT) | instid1(VALU_DEP_1)
	v_add_f64 v[40:41], v[36:37], -v[38:39]
	v_add_f64 v[42:43], v[36:37], -v[40:41]
	;; [unrolled: 1-line block ×3, first 2 shown]
	s_delay_alu instid0(VALU_DEP_2) | instskip(NEXT) | instid1(VALU_DEP_1)
	v_add_f64 v[38:39], v[38:39], -v[42:43]
	v_add_f64 v[32:33], v[32:33], v[38:39]
	v_add_f64 v[38:39], v[34:35], v[30:31]
	s_delay_alu instid0(VALU_DEP_1) | instskip(NEXT) | instid1(VALU_DEP_3)
	v_add_f64 v[40:41], v[38:39], -v[34:35]
	v_add_f64 v[32:33], v[38:39], v[32:33]
	s_delay_alu instid0(VALU_DEP_2) | instskip(SKIP_1) | instid1(VALU_DEP_2)
	v_add_f64 v[42:43], v[38:39], -v[40:41]
	v_add_f64 v[30:31], v[30:31], -v[40:41]
	;; [unrolled: 1-line block ×3, first 2 shown]
	s_delay_alu instid0(VALU_DEP_1) | instskip(SKIP_1) | instid1(VALU_DEP_1)
	v_add_f64 v[30:31], v[30:31], v[34:35]
	v_add_f64 v[34:35], v[36:37], v[32:33]
	v_add_f64 v[36:37], v[34:35], -v[36:37]
	s_delay_alu instid0(VALU_DEP_1) | instskip(NEXT) | instid1(VALU_DEP_1)
	v_add_f64 v[32:33], v[32:33], -v[36:37]
	v_add_f64 v[30:31], v[30:31], v[32:33]
	s_delay_alu instid0(VALU_DEP_1) | instskip(NEXT) | instid1(VALU_DEP_1)
	v_add_f64 v[30:31], v[34:35], v[30:31]
	v_dual_cndmask_b32 v29, v31, v29 :: v_dual_cndmask_b32 v28, v30, v28
	v_mul_f64 v[30:31], v[3:4], s[84:85]
	s_mov_b32 s84, 0x9cbd821e
	s_mov_b32 s85, 0xbef179ec
	s_delay_alu instid0(VALU_DEP_1) | instskip(SKIP_2) | instid1(VALU_DEP_3)
	v_mul_f64 v[32:33], v[30:31], s[58:59]
	v_cmp_nlt_f64_e32 vcc_lo, 0x40900000, v[30:31]
	v_cmp_ngt_f64_e64 s0, 0xc090cc00, v[30:31]
	v_rndne_f64_e32 v[32:33], v[32:33]
	s_delay_alu instid0(VALU_DEP_1) | instskip(NEXT) | instid1(VALU_DEP_1)
	v_fma_f64 v[34:35], v[32:33], s[56:57], v[30:31]
	v_fma_f64 v[34:35], v[32:33], s[54:55], v[34:35]
	v_cvt_i32_f64_e32 v32, v[32:33]
	s_delay_alu instid0(VALU_DEP_2) | instskip(NEXT) | instid1(VALU_DEP_1)
	v_fma_f64 v[36:37], v[34:35], s[4:5], s[2:3]
	v_fma_f64 v[36:37], v[34:35], v[36:37], s[6:7]
	s_delay_alu instid0(VALU_DEP_1) | instskip(NEXT) | instid1(VALU_DEP_1)
	v_fma_f64 v[36:37], v[34:35], v[36:37], s[12:13]
	v_fma_f64 v[36:37], v[34:35], v[36:37], s[14:15]
	s_delay_alu instid0(VALU_DEP_1) | instskip(NEXT) | instid1(VALU_DEP_1)
	;; [unrolled: 3-line block ×4, first 2 shown]
	v_fma_f64 v[36:37], v[34:35], v[36:37], s[26:27]
	v_fma_f64 v[36:37], v[34:35], v[36:37], 1.0
	s_delay_alu instid0(VALU_DEP_1) | instskip(NEXT) | instid1(VALU_DEP_1)
	v_fma_f64 v[34:35], v[34:35], v[36:37], 1.0
	v_ldexp_f64 v[32:33], v[34:35], v32
	s_delay_alu instid0(VALU_DEP_1) | instskip(SKIP_1) | instid1(VALU_DEP_1)
	v_mul_f64 v[32:33], v[32:33], s[82:83]
	s_mov_b32 s83, 0x3fc66666
	v_cndmask_b32_e32 v33, 0x7ff00000, v33, vcc_lo
	s_and_b32 vcc_lo, s0, vcc_lo
	s_delay_alu instid0(VALU_DEP_2) | instskip(NEXT) | instid1(VALU_DEP_2)
	v_cndmask_b32_e32 v30, 0, v32, vcc_lo
	v_cndmask_b32_e64 v31, 0, v33, s0
	v_mul_f64 v[32:33], v[3:4], s[84:85]
	s_delay_alu instid0(VALU_DEP_1) | instskip(SKIP_2) | instid1(VALU_DEP_3)
	v_mul_f64 v[34:35], v[32:33], s[58:59]
	v_cmp_nlt_f64_e32 vcc_lo, 0x40900000, v[32:33]
	v_cmp_ngt_f64_e64 s0, 0xc090cc00, v[32:33]
	v_rndne_f64_e32 v[34:35], v[34:35]
	s_delay_alu instid0(VALU_DEP_1) | instskip(NEXT) | instid1(VALU_DEP_1)
	v_fma_f64 v[36:37], v[34:35], s[56:57], v[32:33]
	v_fma_f64 v[36:37], v[34:35], s[54:55], v[36:37]
	v_cvt_i32_f64_e32 v34, v[34:35]
	s_delay_alu instid0(VALU_DEP_2) | instskip(NEXT) | instid1(VALU_DEP_1)
	v_fma_f64 v[38:39], v[36:37], s[4:5], s[2:3]
	v_fma_f64 v[38:39], v[36:37], v[38:39], s[6:7]
	s_delay_alu instid0(VALU_DEP_1) | instskip(NEXT) | instid1(VALU_DEP_1)
	v_fma_f64 v[38:39], v[36:37], v[38:39], s[12:13]
	v_fma_f64 v[38:39], v[36:37], v[38:39], s[14:15]
	s_delay_alu instid0(VALU_DEP_1) | instskip(NEXT) | instid1(VALU_DEP_1)
	;; [unrolled: 3-line block ×4, first 2 shown]
	v_fma_f64 v[38:39], v[36:37], v[38:39], s[26:27]
	v_fma_f64 v[38:39], v[36:37], v[38:39], 1.0
	s_delay_alu instid0(VALU_DEP_1) | instskip(NEXT) | instid1(VALU_DEP_1)
	v_fma_f64 v[36:37], v[36:37], v[38:39], 1.0
	v_ldexp_f64 v[34:35], v[36:37], v34
	s_delay_alu instid0(VALU_DEP_1) | instskip(SKIP_1) | instid1(VALU_DEP_1)
	v_mul_f64 v[34:35], v[34:35], s[82:83]
	s_mov_b32 s83, 0xc0c3cde6
	v_cndmask_b32_e32 v35, 0x7ff00000, v35, vcc_lo
	s_and_b32 vcc_lo, s0, vcc_lo
	s_delay_alu instid0(VALU_DEP_2) | instskip(NEXT) | instid1(VALU_DEP_2)
	v_cndmask_b32_e32 v32, 0, v34, vcc_lo
	v_cndmask_b32_e64 v33, 0, v35, s0
	s_delay_alu instid0(VALU_DEP_1) | instskip(SKIP_3) | instid1(VALU_DEP_1)
	v_add_f64 v[30:31], v[30:31], v[32:33]
	v_mul_f64 v[32:33], v[13:14], s[82:83]
	s_mov_b32 s82, 0x6156683e
	s_mov_b32 s83, 0xbf1d7452
	v_mul_f64 v[34:35], v[32:33], s[58:59]
	v_cmp_nlt_f64_e32 vcc_lo, 0x40900000, v[32:33]
	v_cmp_ngt_f64_e64 s0, 0xc090cc00, v[32:33]
	s_delay_alu instid0(VALU_DEP_3) | instskip(NEXT) | instid1(VALU_DEP_1)
	v_rndne_f64_e32 v[34:35], v[34:35]
	v_fma_f64 v[36:37], v[34:35], s[56:57], v[32:33]
	s_delay_alu instid0(VALU_DEP_1) | instskip(SKIP_1) | instid1(VALU_DEP_2)
	v_fma_f64 v[36:37], v[34:35], s[54:55], v[36:37]
	v_cvt_i32_f64_e32 v34, v[34:35]
	v_fma_f64 v[38:39], v[36:37], s[4:5], s[2:3]
	s_delay_alu instid0(VALU_DEP_1) | instskip(NEXT) | instid1(VALU_DEP_1)
	v_fma_f64 v[38:39], v[36:37], v[38:39], s[6:7]
	v_fma_f64 v[38:39], v[36:37], v[38:39], s[12:13]
	s_delay_alu instid0(VALU_DEP_1) | instskip(NEXT) | instid1(VALU_DEP_1)
	v_fma_f64 v[38:39], v[36:37], v[38:39], s[14:15]
	;; [unrolled: 3-line block ×4, first 2 shown]
	v_fma_f64 v[38:39], v[36:37], v[38:39], s[26:27]
	s_delay_alu instid0(VALU_DEP_1) | instskip(NEXT) | instid1(VALU_DEP_1)
	v_fma_f64 v[38:39], v[36:37], v[38:39], 1.0
	v_fma_f64 v[36:37], v[36:37], v[38:39], 1.0
	s_delay_alu instid0(VALU_DEP_1) | instskip(NEXT) | instid1(VALU_DEP_1)
	v_ldexp_f64 v[34:35], v[36:37], v34
	v_cndmask_b32_e32 v35, 0x7ff00000, v35, vcc_lo
	s_and_b32 vcc_lo, s0, vcc_lo
	s_delay_alu instid0(VALU_DEP_2) | instskip(SKIP_1) | instid1(VALU_DEP_3)
	v_cndmask_b32_e32 v32, 0, v34, vcc_lo
	v_mov_b32_e32 v34, v2
	v_cndmask_b32_e64 v33, 0, v35, s0
	s_delay_alu instid0(VALU_DEP_1) | instskip(NEXT) | instid1(VALU_DEP_1)
	v_add_f64 v[30:31], v[32:33], v[30:31]
	v_max_f64 v[30:31], 0x38100000, v[30:31]
	s_delay_alu instid0(VALU_DEP_1) | instskip(SKIP_1) | instid1(VALU_DEP_2)
	v_frexp_mant_f64_e32 v[32:33], v[30:31]
	v_frexp_exp_i32_f64_e32 v36, v[30:31]
	v_cmp_gt_f64_e32 vcc_lo, s[52:53], v[32:33]
	v_cndmask_b32_e64 v35, 0x3ff00000, 2.0, vcc_lo
	s_delay_alu instid0(VALU_DEP_3) | instskip(SKIP_1) | instid1(VALU_DEP_3)
	v_subrev_co_ci_u32_e32 v46, vcc_lo, 0, v36, vcc_lo
	v_cmp_eq_f64_e32 vcc_lo, 0x7ff00000, v[30:31]
	v_mul_f64 v[32:33], v[32:33], v[34:35]
	s_delay_alu instid0(VALU_DEP_1) | instskip(SKIP_1) | instid1(VALU_DEP_2)
	v_add_f64 v[36:37], v[32:33], 1.0
	v_add_f64 v[34:35], v[32:33], -1.0
	v_add_f64 v[38:39], v[36:37], -1.0
	s_delay_alu instid0(VALU_DEP_1) | instskip(SKIP_3) | instid1(VALU_DEP_1)
	v_add_f64 v[32:33], v[32:33], -v[38:39]
	v_rcp_f64_e32 v[38:39], v[36:37]
	s_waitcnt_depctr 0xfff
	v_fma_f64 v[40:41], -v[36:37], v[38:39], 1.0
	v_fma_f64 v[38:39], v[40:41], v[38:39], v[38:39]
	s_delay_alu instid0(VALU_DEP_1) | instskip(NEXT) | instid1(VALU_DEP_1)
	v_fma_f64 v[40:41], -v[36:37], v[38:39], 1.0
	v_fma_f64 v[38:39], v[40:41], v[38:39], v[38:39]
	s_delay_alu instid0(VALU_DEP_1) | instskip(NEXT) | instid1(VALU_DEP_1)
	v_mul_f64 v[40:41], v[34:35], v[38:39]
	v_mul_f64 v[42:43], v[36:37], v[40:41]
	s_delay_alu instid0(VALU_DEP_1) | instskip(NEXT) | instid1(VALU_DEP_1)
	v_fma_f64 v[36:37], v[40:41], v[36:37], -v[42:43]
	v_fma_f64 v[32:33], v[40:41], v[32:33], v[36:37]
	s_delay_alu instid0(VALU_DEP_1) | instskip(NEXT) | instid1(VALU_DEP_1)
	v_add_f64 v[36:37], v[42:43], v[32:33]
	v_add_f64 v[44:45], v[34:35], -v[36:37]
	v_add_f64 v[42:43], v[36:37], -v[42:43]
	s_delay_alu instid0(VALU_DEP_2) | instskip(NEXT) | instid1(VALU_DEP_2)
	v_add_f64 v[34:35], v[34:35], -v[44:45]
	v_add_f64 v[32:33], v[42:43], -v[32:33]
	s_delay_alu instid0(VALU_DEP_2) | instskip(NEXT) | instid1(VALU_DEP_1)
	v_add_f64 v[34:35], v[34:35], -v[36:37]
	v_add_f64 v[32:33], v[32:33], v[34:35]
	s_delay_alu instid0(VALU_DEP_1) | instskip(NEXT) | instid1(VALU_DEP_1)
	v_add_f64 v[32:33], v[44:45], v[32:33]
	v_mul_f64 v[32:33], v[38:39], v[32:33]
	s_delay_alu instid0(VALU_DEP_1) | instskip(NEXT) | instid1(VALU_DEP_1)
	v_add_f64 v[34:35], v[40:41], v[32:33]
	v_add_f64 v[36:37], v[34:35], -v[40:41]
	v_ldexp_f64 v[40:41], v[34:35], 1
	s_delay_alu instid0(VALU_DEP_2) | instskip(SKIP_1) | instid1(VALU_DEP_2)
	v_add_f64 v[32:33], v[32:33], -v[36:37]
	v_mul_f64 v[36:37], v[34:35], v[34:35]
	v_ldexp_f64 v[32:33], v[32:33], 1
	s_delay_alu instid0(VALU_DEP_2) | instskip(SKIP_1) | instid1(VALU_DEP_2)
	v_fma_f64 v[38:39], v[36:37], s[50:51], s[46:47]
	v_mul_f64 v[34:35], v[34:35], v[36:37]
	v_fma_f64 v[38:39], v[36:37], v[38:39], s[38:39]
	s_delay_alu instid0(VALU_DEP_1) | instskip(NEXT) | instid1(VALU_DEP_1)
	v_fma_f64 v[38:39], v[36:37], v[38:39], s[40:41]
	v_fma_f64 v[38:39], v[36:37], v[38:39], s[42:43]
	s_delay_alu instid0(VALU_DEP_1) | instskip(NEXT) | instid1(VALU_DEP_1)
	v_fma_f64 v[38:39], v[36:37], v[38:39], s[44:45]
	v_fma_f64 v[38:39], v[36:37], v[38:39], s[48:49]
	s_delay_alu instid0(VALU_DEP_1) | instskip(NEXT) | instid1(VALU_DEP_1)
	v_mul_f64 v[34:35], v[34:35], v[38:39]
	v_add_f64 v[36:37], v[40:41], v[34:35]
	s_delay_alu instid0(VALU_DEP_1) | instskip(NEXT) | instid1(VALU_DEP_1)
	v_add_f64 v[38:39], v[36:37], -v[40:41]
	v_add_f64 v[34:35], v[34:35], -v[38:39]
	s_delay_alu instid0(VALU_DEP_1) | instskip(NEXT) | instid1(VALU_DEP_1)
	v_add_f64 v[32:33], v[32:33], v[34:35]
	v_add_f64 v[34:35], v[36:37], v[32:33]
	s_delay_alu instid0(VALU_DEP_1) | instskip(NEXT) | instid1(VALU_DEP_1)
	v_add_f64 v[36:37], v[34:35], -v[36:37]
	v_add_f64 v[32:33], v[32:33], -v[36:37]
	v_cvt_f64_i32_e32 v[36:37], v46
	s_delay_alu instid0(VALU_DEP_1) | instskip(NEXT) | instid1(VALU_DEP_1)
	v_mul_f64 v[38:39], v[36:37], s[34:35]
	v_fma_f64 v[40:41], v[36:37], s[34:35], -v[38:39]
	s_delay_alu instid0(VALU_DEP_1) | instskip(NEXT) | instid1(VALU_DEP_1)
	v_fma_f64 v[36:37], v[36:37], s[36:37], v[40:41]
	v_add_f64 v[40:41], v[38:39], v[36:37]
	s_delay_alu instid0(VALU_DEP_1) | instskip(NEXT) | instid1(VALU_DEP_1)
	v_add_f64 v[38:39], v[40:41], -v[38:39]
	v_add_f64 v[36:37], v[36:37], -v[38:39]
	v_mul_f64 v[38:39], v[34:35], s[30:31]
	s_delay_alu instid0(VALU_DEP_1) | instskip(NEXT) | instid1(VALU_DEP_1)
	v_fma_f64 v[42:43], v[34:35], s[30:31], -v[38:39]
	v_fma_f64 v[32:33], v[32:33], s[30:31], v[42:43]
	s_delay_alu instid0(VALU_DEP_1) | instskip(NEXT) | instid1(VALU_DEP_1)
	v_fma_f64 v[32:33], v[34:35], s[28:29], v[32:33]
	v_add_f64 v[34:35], v[38:39], v[32:33]
	s_delay_alu instid0(VALU_DEP_1) | instskip(NEXT) | instid1(VALU_DEP_1)
	v_add_f64 v[38:39], v[34:35], -v[38:39]
	v_add_f64 v[32:33], v[32:33], -v[38:39]
	v_add_f64 v[38:39], v[40:41], v[34:35]
	s_delay_alu instid0(VALU_DEP_1) | instskip(NEXT) | instid1(VALU_DEP_1)
	v_add_f64 v[42:43], v[38:39], -v[40:41]
	v_add_f64 v[44:45], v[38:39], -v[42:43]
	;; [unrolled: 1-line block ×3, first 2 shown]
	s_delay_alu instid0(VALU_DEP_2) | instskip(NEXT) | instid1(VALU_DEP_1)
	v_add_f64 v[40:41], v[40:41], -v[44:45]
	v_add_f64 v[34:35], v[34:35], v[40:41]
	v_add_f64 v[40:41], v[36:37], v[32:33]
	s_delay_alu instid0(VALU_DEP_1) | instskip(NEXT) | instid1(VALU_DEP_3)
	v_add_f64 v[42:43], v[40:41], -v[36:37]
	v_add_f64 v[34:35], v[40:41], v[34:35]
	s_delay_alu instid0(VALU_DEP_2) | instskip(SKIP_1) | instid1(VALU_DEP_2)
	v_add_f64 v[44:45], v[40:41], -v[42:43]
	v_add_f64 v[32:33], v[32:33], -v[42:43]
	;; [unrolled: 1-line block ×3, first 2 shown]
	s_delay_alu instid0(VALU_DEP_1) | instskip(SKIP_1) | instid1(VALU_DEP_1)
	v_add_f64 v[32:33], v[32:33], v[36:37]
	v_add_f64 v[36:37], v[38:39], v[34:35]
	v_add_f64 v[38:39], v[36:37], -v[38:39]
	s_delay_alu instid0(VALU_DEP_1) | instskip(NEXT) | instid1(VALU_DEP_1)
	v_add_f64 v[34:35], v[34:35], -v[38:39]
	v_add_f64 v[32:33], v[32:33], v[34:35]
	s_delay_alu instid0(VALU_DEP_1) | instskip(NEXT) | instid1(VALU_DEP_1)
	v_add_f64 v[32:33], v[36:37], v[32:33]
	v_dual_cndmask_b32 v31, v33, v31 :: v_dual_cndmask_b32 v30, v32, v30
	s_delay_alu instid0(VALU_DEP_1) | instskip(SKIP_1) | instid1(VALU_DEP_2)
	v_fma_f64 v[34:35], v[30:31], s[74:75], s[72:73]
	v_fma_f64 v[32:33], v[30:31], s[64:65], 0x3fe80000
	v_add_f64 v[28:29], v[28:29], -v[34:35]
	s_delay_alu instid0(VALU_DEP_1) | instskip(NEXT) | instid1(VALU_DEP_1)
	v_fma_f64 v[32:33], v[28:29], s[76:77], v[32:33]
	v_div_scale_f64 v[34:35], null, v[32:33], v[32:33], 1.0
	s_delay_alu instid0(VALU_DEP_1) | instskip(SKIP_2) | instid1(VALU_DEP_1)
	v_rcp_f64_e32 v[36:37], v[34:35]
	s_waitcnt_depctr 0xfff
	v_fma_f64 v[38:39], -v[34:35], v[36:37], 1.0
	v_fma_f64 v[36:37], v[36:37], v[38:39], v[36:37]
	s_delay_alu instid0(VALU_DEP_1) | instskip(NEXT) | instid1(VALU_DEP_1)
	v_fma_f64 v[38:39], -v[34:35], v[36:37], 1.0
	v_fma_f64 v[36:37], v[36:37], v[38:39], v[36:37]
	v_div_scale_f64 v[38:39], vcc_lo, 1.0, v[32:33], 1.0
	s_delay_alu instid0(VALU_DEP_1) | instskip(NEXT) | instid1(VALU_DEP_1)
	v_mul_f64 v[40:41], v[38:39], v[36:37]
	v_fma_f64 v[34:35], -v[34:35], v[40:41], v[38:39]
	s_delay_alu instid0(VALU_DEP_1) | instskip(NEXT) | instid1(VALU_DEP_1)
	v_div_fmas_f64 v[34:35], v[34:35], v[36:37], v[40:41]
	v_div_fixup_f64 v[32:33], v[34:35], v[32:33], 1.0
	s_delay_alu instid0(VALU_DEP_1) | instskip(NEXT) | instid1(VALU_DEP_1)
	v_mul_f64 v[28:29], v[28:29], v[32:33]
	v_fma_f64 v[28:29], v[28:29], v[28:29], 1.0
	s_delay_alu instid0(VALU_DEP_1) | instskip(NEXT) | instid1(VALU_DEP_1)
	v_div_scale_f64 v[32:33], null, v[28:29], v[28:29], 1.0
	v_rcp_f64_e32 v[34:35], v[32:33]
	s_waitcnt_depctr 0xfff
	v_fma_f64 v[36:37], -v[32:33], v[34:35], 1.0
	s_delay_alu instid0(VALU_DEP_1) | instskip(NEXT) | instid1(VALU_DEP_1)
	v_fma_f64 v[34:35], v[34:35], v[36:37], v[34:35]
	v_fma_f64 v[36:37], -v[32:33], v[34:35], 1.0
	s_delay_alu instid0(VALU_DEP_1) | instskip(SKIP_1) | instid1(VALU_DEP_1)
	v_fma_f64 v[34:35], v[34:35], v[36:37], v[34:35]
	v_div_scale_f64 v[36:37], vcc_lo, 1.0, v[28:29], 1.0
	v_mul_f64 v[38:39], v[36:37], v[34:35]
	s_delay_alu instid0(VALU_DEP_1) | instskip(NEXT) | instid1(VALU_DEP_1)
	v_fma_f64 v[32:33], -v[32:33], v[38:39], v[36:37]
	v_div_fmas_f64 v[32:33], v[32:33], v[34:35], v[38:39]
	s_delay_alu instid0(VALU_DEP_1) | instskip(NEXT) | instid1(VALU_DEP_1)
	v_div_fixup_f64 v[28:29], v[32:33], v[28:29], 1.0
	v_mul_f64 v[28:29], v[30:31], v[28:29]
	s_delay_alu instid0(VALU_DEP_1) | instskip(SKIP_2) | instid1(VALU_DEP_3)
	v_mul_f64 v[30:31], v[28:29], s[60:61]
	v_cmp_nlt_f64_e32 vcc_lo, 0x40900000, v[28:29]
	v_cmp_ngt_f64_e64 s0, 0xc090cc00, v[28:29]
	v_rndne_f64_e32 v[30:31], v[30:31]
	s_delay_alu instid0(VALU_DEP_1) | instskip(NEXT) | instid1(VALU_DEP_1)
	v_fma_f64 v[32:33], v[30:31], s[66:67], v[28:29]
	v_fma_f64 v[32:33], v[30:31], s[62:63], v[32:33]
	v_cvt_i32_f64_e32 v30, v[30:31]
	s_delay_alu instid0(VALU_DEP_2) | instskip(NEXT) | instid1(VALU_DEP_1)
	v_mul_f64 v[34:35], v[32:33], s[68:69]
	v_fma_f64 v[32:33], v[32:33], s[70:71], v[34:35]
	s_delay_alu instid0(VALU_DEP_1) | instskip(NEXT) | instid1(VALU_DEP_1)
	v_fma_f64 v[34:35], v[32:33], s[4:5], s[2:3]
	v_fma_f64 v[34:35], v[32:33], v[34:35], s[6:7]
	s_delay_alu instid0(VALU_DEP_1) | instskip(NEXT) | instid1(VALU_DEP_1)
	v_fma_f64 v[34:35], v[32:33], v[34:35], s[12:13]
	;; [unrolled: 3-line block ×5, first 2 shown]
	v_fma_f64 v[34:35], v[32:33], v[34:35], 1.0
	s_delay_alu instid0(VALU_DEP_1) | instskip(NEXT) | instid1(VALU_DEP_1)
	v_fma_f64 v[32:33], v[32:33], v[34:35], 1.0
	v_ldexp_f64 v[30:31], v[32:33], v30
	s_delay_alu instid0(VALU_DEP_1) | instskip(SKIP_1) | instid1(VALU_DEP_2)
	v_cndmask_b32_e32 v31, 0x7ff00000, v31, vcc_lo
	s_and_b32 vcc_lo, s0, vcc_lo
	v_cndmask_b32_e32 v28, 0, v30, vcc_lo
	v_add_co_u32 v0, vcc_lo, s10, v0
	s_delay_alu instid0(VALU_DEP_3) | instskip(SKIP_1) | instid1(VALU_DEP_2)
	v_cndmask_b32_e64 v29, 0, v31, s0
	v_add_co_ci_u32_e32 v1, vcc_lo, s11, v1, vcc_lo
	v_mul_f64 v[26:27], v[26:27], v[28:29]
	s_delay_alu instid0(VALU_DEP_1)
	v_mul_f64 v[24:25], v[24:25], v[26:27]
	global_store_b64 v[22:23], v[24:25], off
	global_load_b64 v[22:23], v[0:1], off
	s_waitcnt vmcnt(0)
	v_mul_f64 v[22:23], v[22:23], v[26:27]
	global_store_b64 v[0:1], v[22:23], off
	v_add_co_u32 v0, vcc_lo, s16, v19
	v_add_co_ci_u32_e32 v1, vcc_lo, s17, v20, vcc_lo
	global_load_b64 v[25:26], v[0:1], off
	v_mad_u64_u32 v[0:1], null, s1, 3, v[21:22]
	v_mov_b32_e32 v1, v2
	s_delay_alu instid0(VALU_DEP_1) | instskip(NEXT) | instid1(VALU_DEP_1)
	v_lshlrev_b64 v[19:20], 3, v[0:1]
	v_add_co_u32 v21, vcc_lo, s8, v19
	s_delay_alu instid0(VALU_DEP_2) | instskip(SKIP_3) | instid1(VALU_DEP_1)
	v_add_co_ci_u32_e32 v22, vcc_lo, s9, v20, vcc_lo
	global_load_b64 v[23:24], v[21:22], off
	s_waitcnt vmcnt(0)
	v_div_scale_f64 v[27:28], null, v[23:24], v[23:24], 1.0
	v_rcp_f64_e32 v[29:30], v[27:28]
	s_waitcnt_depctr 0xfff
	v_fma_f64 v[31:32], -v[27:28], v[29:30], 1.0
	s_delay_alu instid0(VALU_DEP_1) | instskip(NEXT) | instid1(VALU_DEP_1)
	v_fma_f64 v[29:30], v[29:30], v[31:32], v[29:30]
	v_fma_f64 v[31:32], -v[27:28], v[29:30], 1.0
	s_delay_alu instid0(VALU_DEP_1) | instskip(SKIP_1) | instid1(VALU_DEP_1)
	v_fma_f64 v[29:30], v[29:30], v[31:32], v[29:30]
	v_div_scale_f64 v[31:32], vcc_lo, 1.0, v[23:24], 1.0
	v_mul_f64 v[33:34], v[31:32], v[29:30]
	s_delay_alu instid0(VALU_DEP_1) | instskip(NEXT) | instid1(VALU_DEP_1)
	v_fma_f64 v[27:28], -v[27:28], v[33:34], v[31:32]
	v_div_fmas_f64 v[27:28], v[27:28], v[29:30], v[33:34]
	s_delay_alu instid0(VALU_DEP_1) | instskip(NEXT) | instid1(VALU_DEP_1)
	v_div_fixup_f64 v[27:28], v[27:28], v[23:24], 1.0
	v_mul_f64 v[27:28], v[11:12], v[27:28]
	s_delay_alu instid0(VALU_DEP_1) | instskip(SKIP_1) | instid1(VALU_DEP_1)
	v_mul_f64 v[29:30], v[25:26], v[27:28]
	v_fma_f64 v[25:26], v[25:26], v[27:28], 1.0
	v_div_scale_f64 v[27:28], null, v[25:26], v[25:26], 1.0
	s_delay_alu instid0(VALU_DEP_1) | instskip(SKIP_2) | instid1(VALU_DEP_1)
	v_rcp_f64_e32 v[31:32], v[27:28]
	s_waitcnt_depctr 0xfff
	v_fma_f64 v[33:34], -v[27:28], v[31:32], 1.0
	v_fma_f64 v[31:32], v[31:32], v[33:34], v[31:32]
	s_delay_alu instid0(VALU_DEP_1) | instskip(NEXT) | instid1(VALU_DEP_1)
	v_fma_f64 v[33:34], -v[27:28], v[31:32], 1.0
	v_fma_f64 v[31:32], v[31:32], v[33:34], v[31:32]
	v_div_scale_f64 v[33:34], vcc_lo, 1.0, v[25:26], 1.0
	s_delay_alu instid0(VALU_DEP_1) | instskip(NEXT) | instid1(VALU_DEP_1)
	v_mul_f64 v[35:36], v[33:34], v[31:32]
	v_fma_f64 v[27:28], -v[27:28], v[35:36], v[33:34]
	s_delay_alu instid0(VALU_DEP_1) | instskip(SKIP_1) | instid1(VALU_DEP_2)
	v_div_fmas_f64 v[27:28], v[27:28], v[31:32], v[35:36]
	v_mov_b32_e32 v31, v2
	v_div_fixup_f64 v[25:26], v[27:28], v[25:26], 1.0
	v_max_f64 v[27:28], 0x38100000, v[29:30]
	s_delay_alu instid0(VALU_DEP_2) | instskip(NEXT) | instid1(VALU_DEP_2)
	v_mul_f64 v[25:26], v[29:30], v[25:26]
	v_frexp_mant_f64_e32 v[29:30], v[27:28]
	v_frexp_exp_i32_f64_e32 v1, v[27:28]
	s_delay_alu instid0(VALU_DEP_2) | instskip(SKIP_1) | instid1(VALU_DEP_3)
	v_cmp_gt_f64_e32 vcc_lo, s[52:53], v[29:30]
	v_cndmask_b32_e64 v32, 0x3ff00000, 2.0, vcc_lo
	v_subrev_co_ci_u32_e32 v1, vcc_lo, 0, v1, vcc_lo
	v_cmp_eq_f64_e32 vcc_lo, 0x7ff00000, v[27:28]
	s_delay_alu instid0(VALU_DEP_3) | instskip(NEXT) | instid1(VALU_DEP_1)
	v_mul_f64 v[29:30], v[29:30], v[31:32]
	v_add_f64 v[33:34], v[29:30], 1.0
	v_add_f64 v[31:32], v[29:30], -1.0
	s_delay_alu instid0(VALU_DEP_2) | instskip(NEXT) | instid1(VALU_DEP_1)
	v_add_f64 v[35:36], v[33:34], -1.0
	v_add_f64 v[29:30], v[29:30], -v[35:36]
	v_rcp_f64_e32 v[35:36], v[33:34]
	s_waitcnt_depctr 0xfff
	v_fma_f64 v[37:38], -v[33:34], v[35:36], 1.0
	s_delay_alu instid0(VALU_DEP_1) | instskip(NEXT) | instid1(VALU_DEP_1)
	v_fma_f64 v[35:36], v[37:38], v[35:36], v[35:36]
	v_fma_f64 v[37:38], -v[33:34], v[35:36], 1.0
	s_delay_alu instid0(VALU_DEP_1) | instskip(NEXT) | instid1(VALU_DEP_1)
	v_fma_f64 v[35:36], v[37:38], v[35:36], v[35:36]
	v_mul_f64 v[37:38], v[31:32], v[35:36]
	s_delay_alu instid0(VALU_DEP_1) | instskip(NEXT) | instid1(VALU_DEP_1)
	v_mul_f64 v[39:40], v[33:34], v[37:38]
	v_fma_f64 v[33:34], v[37:38], v[33:34], -v[39:40]
	s_delay_alu instid0(VALU_DEP_1) | instskip(NEXT) | instid1(VALU_DEP_1)
	v_fma_f64 v[29:30], v[37:38], v[29:30], v[33:34]
	v_add_f64 v[33:34], v[39:40], v[29:30]
	s_delay_alu instid0(VALU_DEP_1) | instskip(SKIP_1) | instid1(VALU_DEP_2)
	v_add_f64 v[41:42], v[31:32], -v[33:34]
	v_add_f64 v[39:40], v[33:34], -v[39:40]
	;; [unrolled: 1-line block ×3, first 2 shown]
	s_delay_alu instid0(VALU_DEP_2) | instskip(NEXT) | instid1(VALU_DEP_2)
	v_add_f64 v[29:30], v[39:40], -v[29:30]
	v_add_f64 v[31:32], v[31:32], -v[33:34]
	s_delay_alu instid0(VALU_DEP_1) | instskip(NEXT) | instid1(VALU_DEP_1)
	v_add_f64 v[29:30], v[29:30], v[31:32]
	v_add_f64 v[29:30], v[41:42], v[29:30]
	s_delay_alu instid0(VALU_DEP_1) | instskip(NEXT) | instid1(VALU_DEP_1)
	v_mul_f64 v[29:30], v[35:36], v[29:30]
	v_add_f64 v[31:32], v[37:38], v[29:30]
	s_delay_alu instid0(VALU_DEP_1) | instskip(SKIP_1) | instid1(VALU_DEP_2)
	v_add_f64 v[33:34], v[31:32], -v[37:38]
	v_ldexp_f64 v[37:38], v[31:32], 1
	v_add_f64 v[29:30], v[29:30], -v[33:34]
	v_mul_f64 v[33:34], v[31:32], v[31:32]
	s_delay_alu instid0(VALU_DEP_2) | instskip(NEXT) | instid1(VALU_DEP_2)
	v_ldexp_f64 v[29:30], v[29:30], 1
	v_fma_f64 v[35:36], v[33:34], s[50:51], s[46:47]
	v_mul_f64 v[31:32], v[31:32], v[33:34]
	s_delay_alu instid0(VALU_DEP_2) | instskip(NEXT) | instid1(VALU_DEP_1)
	v_fma_f64 v[35:36], v[33:34], v[35:36], s[38:39]
	v_fma_f64 v[35:36], v[33:34], v[35:36], s[40:41]
	s_delay_alu instid0(VALU_DEP_1) | instskip(NEXT) | instid1(VALU_DEP_1)
	v_fma_f64 v[35:36], v[33:34], v[35:36], s[42:43]
	v_fma_f64 v[35:36], v[33:34], v[35:36], s[44:45]
	s_delay_alu instid0(VALU_DEP_1) | instskip(NEXT) | instid1(VALU_DEP_1)
	v_fma_f64 v[35:36], v[33:34], v[35:36], s[48:49]
	v_mul_f64 v[31:32], v[31:32], v[35:36]
	s_delay_alu instid0(VALU_DEP_1) | instskip(NEXT) | instid1(VALU_DEP_1)
	v_add_f64 v[33:34], v[37:38], v[31:32]
	v_add_f64 v[35:36], v[33:34], -v[37:38]
	s_delay_alu instid0(VALU_DEP_1) | instskip(NEXT) | instid1(VALU_DEP_1)
	v_add_f64 v[31:32], v[31:32], -v[35:36]
	v_add_f64 v[29:30], v[29:30], v[31:32]
	s_delay_alu instid0(VALU_DEP_1) | instskip(NEXT) | instid1(VALU_DEP_1)
	v_add_f64 v[31:32], v[33:34], v[29:30]
	v_add_f64 v[33:34], v[31:32], -v[33:34]
	s_delay_alu instid0(VALU_DEP_1) | instskip(SKIP_1) | instid1(VALU_DEP_1)
	v_add_f64 v[29:30], v[29:30], -v[33:34]
	v_cvt_f64_i32_e32 v[33:34], v1
	v_mul_f64 v[35:36], v[33:34], s[34:35]
	s_delay_alu instid0(VALU_DEP_1) | instskip(NEXT) | instid1(VALU_DEP_1)
	v_fma_f64 v[37:38], v[33:34], s[34:35], -v[35:36]
	v_fma_f64 v[33:34], v[33:34], s[36:37], v[37:38]
	s_delay_alu instid0(VALU_DEP_1) | instskip(NEXT) | instid1(VALU_DEP_1)
	v_add_f64 v[37:38], v[35:36], v[33:34]
	v_add_f64 v[35:36], v[37:38], -v[35:36]
	s_delay_alu instid0(VALU_DEP_1) | instskip(SKIP_1) | instid1(VALU_DEP_1)
	v_add_f64 v[33:34], v[33:34], -v[35:36]
	v_mul_f64 v[35:36], v[31:32], s[30:31]
	v_fma_f64 v[39:40], v[31:32], s[30:31], -v[35:36]
	s_delay_alu instid0(VALU_DEP_1) | instskip(NEXT) | instid1(VALU_DEP_1)
	v_fma_f64 v[29:30], v[29:30], s[30:31], v[39:40]
	v_fma_f64 v[29:30], v[31:32], s[28:29], v[29:30]
	s_delay_alu instid0(VALU_DEP_1) | instskip(NEXT) | instid1(VALU_DEP_1)
	v_add_f64 v[31:32], v[35:36], v[29:30]
	v_add_f64 v[35:36], v[31:32], -v[35:36]
	s_delay_alu instid0(VALU_DEP_1) | instskip(SKIP_1) | instid1(VALU_DEP_1)
	v_add_f64 v[29:30], v[29:30], -v[35:36]
	v_add_f64 v[35:36], v[37:38], v[31:32]
	v_add_f64 v[39:40], v[35:36], -v[37:38]
	s_delay_alu instid0(VALU_DEP_1) | instskip(SKIP_1) | instid1(VALU_DEP_2)
	v_add_f64 v[41:42], v[35:36], -v[39:40]
	v_add_f64 v[31:32], v[31:32], -v[39:40]
	;; [unrolled: 1-line block ×3, first 2 shown]
	s_delay_alu instid0(VALU_DEP_1) | instskip(SKIP_1) | instid1(VALU_DEP_1)
	v_add_f64 v[31:32], v[31:32], v[37:38]
	v_add_f64 v[37:38], v[33:34], v[29:30]
	v_add_f64 v[39:40], v[37:38], -v[33:34]
	s_delay_alu instid0(VALU_DEP_3) | instskip(NEXT) | instid1(VALU_DEP_2)
	v_add_f64 v[31:32], v[37:38], v[31:32]
	v_add_f64 v[41:42], v[37:38], -v[39:40]
	v_add_f64 v[29:30], v[29:30], -v[39:40]
	s_delay_alu instid0(VALU_DEP_2) | instskip(NEXT) | instid1(VALU_DEP_1)
	v_add_f64 v[33:34], v[33:34], -v[41:42]
	v_add_f64 v[29:30], v[29:30], v[33:34]
	v_add_f64 v[33:34], v[35:36], v[31:32]
	s_delay_alu instid0(VALU_DEP_1) | instskip(NEXT) | instid1(VALU_DEP_1)
	v_add_f64 v[35:36], v[33:34], -v[35:36]
	v_add_f64 v[31:32], v[31:32], -v[35:36]
	s_delay_alu instid0(VALU_DEP_1) | instskip(NEXT) | instid1(VALU_DEP_1)
	v_add_f64 v[29:30], v[29:30], v[31:32]
	v_add_f64 v[29:30], v[33:34], v[29:30]
	s_delay_alu instid0(VALU_DEP_1) | instskip(SKIP_3) | instid1(VALU_DEP_1)
	v_dual_cndmask_b32 v28, v30, v28 :: v_dual_cndmask_b32 v27, v29, v27
	v_mul_f64 v[29:30], v[3:4], s[82:83]
	s_mov_b32 s82, 0x57a786c2
	s_mov_b32 s83, 0x3fc432ca
	v_mul_f64 v[31:32], v[29:30], s[58:59]
	v_cmp_nlt_f64_e32 vcc_lo, 0x40900000, v[29:30]
	v_cmp_ngt_f64_e64 s0, 0xc090cc00, v[29:30]
	s_delay_alu instid0(VALU_DEP_3) | instskip(NEXT) | instid1(VALU_DEP_1)
	v_rndne_f64_e32 v[31:32], v[31:32]
	v_fma_f64 v[33:34], v[31:32], s[56:57], v[29:30]
	v_cvt_i32_f64_e32 v1, v[31:32]
	s_delay_alu instid0(VALU_DEP_2) | instskip(NEXT) | instid1(VALU_DEP_1)
	v_fma_f64 v[33:34], v[31:32], s[54:55], v[33:34]
	v_fma_f64 v[35:36], v[33:34], s[4:5], s[2:3]
	s_delay_alu instid0(VALU_DEP_1) | instskip(NEXT) | instid1(VALU_DEP_1)
	v_fma_f64 v[35:36], v[33:34], v[35:36], s[6:7]
	v_fma_f64 v[35:36], v[33:34], v[35:36], s[12:13]
	s_delay_alu instid0(VALU_DEP_1) | instskip(NEXT) | instid1(VALU_DEP_1)
	;; [unrolled: 3-line block ×5, first 2 shown]
	v_fma_f64 v[35:36], v[33:34], v[35:36], 1.0
	v_fma_f64 v[33:34], v[33:34], v[35:36], 1.0
	s_delay_alu instid0(VALU_DEP_1) | instskip(NEXT) | instid1(VALU_DEP_1)
	v_ldexp_f64 v[31:32], v[33:34], v1
	v_mul_f64 v[31:32], v[31:32], s[80:81]
	s_mov_b32 s80, 0x9b7bb433
	s_mov_b32 s81, 0xbf2e21a9
	s_delay_alu instid0(VALU_DEP_1) | instskip(SKIP_1) | instid1(VALU_DEP_2)
	v_cndmask_b32_e32 v1, 0x7ff00000, v32, vcc_lo
	s_and_b32 vcc_lo, s0, vcc_lo
	v_cndmask_b32_e32 v29, 0, v31, vcc_lo
	v_mul_f64 v[31:32], v[3:4], s[80:81]
	s_delay_alu instid0(VALU_DEP_3) | instskip(SKIP_2) | instid1(VALU_DEP_2)
	v_cndmask_b32_e64 v30, 0, v1, s0
	s_mov_b32 s81, 0x3fe19999
	s_mov_b32 s80, s72
	v_mul_f64 v[33:34], v[31:32], s[58:59]
	v_cmp_nlt_f64_e32 vcc_lo, 0x40900000, v[31:32]
	v_cmp_ngt_f64_e64 s0, 0xc090cc00, v[31:32]
	s_delay_alu instid0(VALU_DEP_3) | instskip(NEXT) | instid1(VALU_DEP_1)
	v_rndne_f64_e32 v[33:34], v[33:34]
	v_fma_f64 v[35:36], v[33:34], s[56:57], v[31:32]
	v_cvt_i32_f64_e32 v1, v[33:34]
	s_delay_alu instid0(VALU_DEP_2) | instskip(NEXT) | instid1(VALU_DEP_1)
	v_fma_f64 v[35:36], v[33:34], s[54:55], v[35:36]
	v_fma_f64 v[37:38], v[35:36], s[4:5], s[2:3]
	s_delay_alu instid0(VALU_DEP_1) | instskip(NEXT) | instid1(VALU_DEP_1)
	v_fma_f64 v[37:38], v[35:36], v[37:38], s[6:7]
	v_fma_f64 v[37:38], v[35:36], v[37:38], s[12:13]
	s_delay_alu instid0(VALU_DEP_1) | instskip(NEXT) | instid1(VALU_DEP_1)
	;; [unrolled: 3-line block ×5, first 2 shown]
	v_fma_f64 v[37:38], v[35:36], v[37:38], 1.0
	v_fma_f64 v[35:36], v[35:36], v[37:38], 1.0
	s_delay_alu instid0(VALU_DEP_1) | instskip(NEXT) | instid1(VALU_DEP_1)
	v_ldexp_f64 v[33:34], v[35:36], v1
	v_mul_f64 v[33:34], v[33:34], s[80:81]
	s_mov_b32 s80, 0x16c16c17
	s_mov_b32 s81, 0xbf76c16c
	s_delay_alu instid0(VALU_DEP_1) | instskip(SKIP_1) | instid1(VALU_DEP_2)
	v_cndmask_b32_e32 v1, 0x7ff00000, v34, vcc_lo
	s_and_b32 vcc_lo, s0, vcc_lo
	v_cndmask_b32_e32 v31, 0, v33, vcc_lo
	s_delay_alu instid0(VALU_DEP_2) | instskip(NEXT) | instid1(VALU_DEP_1)
	v_cndmask_b32_e64 v32, 0, v1, s0
	v_add_f64 v[29:30], v[29:30], v[31:32]
	v_mul_f64 v[31:32], 0xc0bc4c00, v[13:14]
	s_delay_alu instid0(VALU_DEP_1) | instskip(SKIP_2) | instid1(VALU_DEP_3)
	v_mul_f64 v[33:34], v[31:32], s[58:59]
	v_cmp_nlt_f64_e32 vcc_lo, 0x40900000, v[31:32]
	v_cmp_ngt_f64_e64 s0, 0xc090cc00, v[31:32]
	v_rndne_f64_e32 v[33:34], v[33:34]
	s_delay_alu instid0(VALU_DEP_1) | instskip(SKIP_1) | instid1(VALU_DEP_2)
	v_fma_f64 v[35:36], v[33:34], s[56:57], v[31:32]
	v_cvt_i32_f64_e32 v1, v[33:34]
	v_fma_f64 v[35:36], v[33:34], s[54:55], v[35:36]
	s_delay_alu instid0(VALU_DEP_1) | instskip(NEXT) | instid1(VALU_DEP_1)
	v_fma_f64 v[37:38], v[35:36], s[4:5], s[2:3]
	v_fma_f64 v[37:38], v[35:36], v[37:38], s[6:7]
	s_delay_alu instid0(VALU_DEP_1) | instskip(NEXT) | instid1(VALU_DEP_1)
	v_fma_f64 v[37:38], v[35:36], v[37:38], s[12:13]
	;; [unrolled: 3-line block ×5, first 2 shown]
	v_fma_f64 v[37:38], v[35:36], v[37:38], 1.0
	s_delay_alu instid0(VALU_DEP_1) | instskip(NEXT) | instid1(VALU_DEP_1)
	v_fma_f64 v[35:36], v[35:36], v[37:38], 1.0
	v_ldexp_f64 v[33:34], v[35:36], v1
	s_delay_alu instid0(VALU_DEP_1) | instskip(SKIP_1) | instid1(VALU_DEP_2)
	v_cndmask_b32_e32 v1, 0x7ff00000, v34, vcc_lo
	s_and_b32 vcc_lo, s0, vcc_lo
	v_cndmask_b32_e32 v31, 0, v33, vcc_lo
	v_mov_b32_e32 v33, v2
	s_delay_alu instid0(VALU_DEP_3) | instskip(NEXT) | instid1(VALU_DEP_1)
	v_cndmask_b32_e64 v32, 0, v1, s0
	v_add_f64 v[29:30], v[31:32], v[29:30]
	s_delay_alu instid0(VALU_DEP_1) | instskip(NEXT) | instid1(VALU_DEP_1)
	v_max_f64 v[29:30], 0x38100000, v[29:30]
	v_frexp_mant_f64_e32 v[31:32], v[29:30]
	v_frexp_exp_i32_f64_e32 v1, v[29:30]
	s_delay_alu instid0(VALU_DEP_2) | instskip(SKIP_1) | instid1(VALU_DEP_3)
	v_cmp_gt_f64_e32 vcc_lo, s[52:53], v[31:32]
	v_cndmask_b32_e64 v34, 0x3ff00000, 2.0, vcc_lo
	v_subrev_co_ci_u32_e32 v1, vcc_lo, 0, v1, vcc_lo
	v_cmp_eq_f64_e32 vcc_lo, 0x7ff00000, v[29:30]
	s_delay_alu instid0(VALU_DEP_3) | instskip(NEXT) | instid1(VALU_DEP_1)
	v_mul_f64 v[31:32], v[31:32], v[33:34]
	v_add_f64 v[35:36], v[31:32], 1.0
	v_add_f64 v[33:34], v[31:32], -1.0
	s_delay_alu instid0(VALU_DEP_2) | instskip(NEXT) | instid1(VALU_DEP_1)
	v_add_f64 v[37:38], v[35:36], -1.0
	v_add_f64 v[31:32], v[31:32], -v[37:38]
	v_rcp_f64_e32 v[37:38], v[35:36]
	s_waitcnt_depctr 0xfff
	v_fma_f64 v[39:40], -v[35:36], v[37:38], 1.0
	s_delay_alu instid0(VALU_DEP_1) | instskip(NEXT) | instid1(VALU_DEP_1)
	v_fma_f64 v[37:38], v[39:40], v[37:38], v[37:38]
	v_fma_f64 v[39:40], -v[35:36], v[37:38], 1.0
	s_delay_alu instid0(VALU_DEP_1) | instskip(NEXT) | instid1(VALU_DEP_1)
	v_fma_f64 v[37:38], v[39:40], v[37:38], v[37:38]
	v_mul_f64 v[39:40], v[33:34], v[37:38]
	s_delay_alu instid0(VALU_DEP_1) | instskip(NEXT) | instid1(VALU_DEP_1)
	v_mul_f64 v[41:42], v[35:36], v[39:40]
	v_fma_f64 v[35:36], v[39:40], v[35:36], -v[41:42]
	s_delay_alu instid0(VALU_DEP_1) | instskip(NEXT) | instid1(VALU_DEP_1)
	v_fma_f64 v[31:32], v[39:40], v[31:32], v[35:36]
	v_add_f64 v[35:36], v[41:42], v[31:32]
	s_delay_alu instid0(VALU_DEP_1) | instskip(SKIP_1) | instid1(VALU_DEP_2)
	v_add_f64 v[43:44], v[33:34], -v[35:36]
	v_add_f64 v[41:42], v[35:36], -v[41:42]
	;; [unrolled: 1-line block ×3, first 2 shown]
	s_delay_alu instid0(VALU_DEP_2) | instskip(NEXT) | instid1(VALU_DEP_2)
	v_add_f64 v[31:32], v[41:42], -v[31:32]
	v_add_f64 v[33:34], v[33:34], -v[35:36]
	s_delay_alu instid0(VALU_DEP_1) | instskip(NEXT) | instid1(VALU_DEP_1)
	v_add_f64 v[31:32], v[31:32], v[33:34]
	v_add_f64 v[31:32], v[43:44], v[31:32]
	s_delay_alu instid0(VALU_DEP_1) | instskip(NEXT) | instid1(VALU_DEP_1)
	v_mul_f64 v[31:32], v[37:38], v[31:32]
	v_add_f64 v[33:34], v[39:40], v[31:32]
	s_delay_alu instid0(VALU_DEP_1) | instskip(SKIP_1) | instid1(VALU_DEP_2)
	v_add_f64 v[35:36], v[33:34], -v[39:40]
	v_ldexp_f64 v[39:40], v[33:34], 1
	v_add_f64 v[31:32], v[31:32], -v[35:36]
	v_mul_f64 v[35:36], v[33:34], v[33:34]
	s_delay_alu instid0(VALU_DEP_2) | instskip(NEXT) | instid1(VALU_DEP_2)
	v_ldexp_f64 v[31:32], v[31:32], 1
	v_fma_f64 v[37:38], v[35:36], s[50:51], s[46:47]
	v_mul_f64 v[33:34], v[33:34], v[35:36]
	s_delay_alu instid0(VALU_DEP_2) | instskip(NEXT) | instid1(VALU_DEP_1)
	v_fma_f64 v[37:38], v[35:36], v[37:38], s[38:39]
	v_fma_f64 v[37:38], v[35:36], v[37:38], s[40:41]
	s_delay_alu instid0(VALU_DEP_1) | instskip(NEXT) | instid1(VALU_DEP_1)
	v_fma_f64 v[37:38], v[35:36], v[37:38], s[42:43]
	v_fma_f64 v[37:38], v[35:36], v[37:38], s[44:45]
	s_delay_alu instid0(VALU_DEP_1) | instskip(NEXT) | instid1(VALU_DEP_1)
	v_fma_f64 v[37:38], v[35:36], v[37:38], s[48:49]
	v_mul_f64 v[33:34], v[33:34], v[37:38]
	s_delay_alu instid0(VALU_DEP_1) | instskip(NEXT) | instid1(VALU_DEP_1)
	v_add_f64 v[35:36], v[39:40], v[33:34]
	v_add_f64 v[37:38], v[35:36], -v[39:40]
	s_delay_alu instid0(VALU_DEP_1) | instskip(NEXT) | instid1(VALU_DEP_1)
	v_add_f64 v[33:34], v[33:34], -v[37:38]
	v_add_f64 v[31:32], v[31:32], v[33:34]
	s_delay_alu instid0(VALU_DEP_1) | instskip(NEXT) | instid1(VALU_DEP_1)
	v_add_f64 v[33:34], v[35:36], v[31:32]
	v_add_f64 v[35:36], v[33:34], -v[35:36]
	s_delay_alu instid0(VALU_DEP_1) | instskip(SKIP_1) | instid1(VALU_DEP_1)
	v_add_f64 v[31:32], v[31:32], -v[35:36]
	v_cvt_f64_i32_e32 v[35:36], v1
	v_mul_f64 v[37:38], v[35:36], s[34:35]
	s_delay_alu instid0(VALU_DEP_1) | instskip(NEXT) | instid1(VALU_DEP_1)
	v_fma_f64 v[39:40], v[35:36], s[34:35], -v[37:38]
	v_fma_f64 v[35:36], v[35:36], s[36:37], v[39:40]
	s_delay_alu instid0(VALU_DEP_1) | instskip(NEXT) | instid1(VALU_DEP_1)
	v_add_f64 v[39:40], v[37:38], v[35:36]
	v_add_f64 v[37:38], v[39:40], -v[37:38]
	s_delay_alu instid0(VALU_DEP_1) | instskip(SKIP_1) | instid1(VALU_DEP_1)
	v_add_f64 v[35:36], v[35:36], -v[37:38]
	v_mul_f64 v[37:38], v[33:34], s[30:31]
	v_fma_f64 v[41:42], v[33:34], s[30:31], -v[37:38]
	s_delay_alu instid0(VALU_DEP_1) | instskip(NEXT) | instid1(VALU_DEP_1)
	v_fma_f64 v[31:32], v[31:32], s[30:31], v[41:42]
	v_fma_f64 v[31:32], v[33:34], s[28:29], v[31:32]
	s_delay_alu instid0(VALU_DEP_1) | instskip(NEXT) | instid1(VALU_DEP_1)
	v_add_f64 v[33:34], v[37:38], v[31:32]
	v_add_f64 v[37:38], v[33:34], -v[37:38]
	s_delay_alu instid0(VALU_DEP_1) | instskip(SKIP_1) | instid1(VALU_DEP_1)
	v_add_f64 v[31:32], v[31:32], -v[37:38]
	v_add_f64 v[37:38], v[39:40], v[33:34]
	v_add_f64 v[41:42], v[37:38], -v[39:40]
	s_delay_alu instid0(VALU_DEP_1) | instskip(SKIP_1) | instid1(VALU_DEP_2)
	v_add_f64 v[43:44], v[37:38], -v[41:42]
	v_add_f64 v[33:34], v[33:34], -v[41:42]
	;; [unrolled: 1-line block ×3, first 2 shown]
	s_delay_alu instid0(VALU_DEP_1) | instskip(SKIP_1) | instid1(VALU_DEP_1)
	v_add_f64 v[33:34], v[33:34], v[39:40]
	v_add_f64 v[39:40], v[35:36], v[31:32]
	v_add_f64 v[41:42], v[39:40], -v[35:36]
	s_delay_alu instid0(VALU_DEP_3) | instskip(NEXT) | instid1(VALU_DEP_2)
	v_add_f64 v[33:34], v[39:40], v[33:34]
	v_add_f64 v[43:44], v[39:40], -v[41:42]
	v_add_f64 v[31:32], v[31:32], -v[41:42]
	s_delay_alu instid0(VALU_DEP_2) | instskip(NEXT) | instid1(VALU_DEP_1)
	v_add_f64 v[35:36], v[35:36], -v[43:44]
	v_add_f64 v[31:32], v[31:32], v[35:36]
	v_add_f64 v[35:36], v[37:38], v[33:34]
	s_delay_alu instid0(VALU_DEP_1) | instskip(NEXT) | instid1(VALU_DEP_1)
	v_add_f64 v[37:38], v[35:36], -v[37:38]
	v_add_f64 v[33:34], v[33:34], -v[37:38]
	s_delay_alu instid0(VALU_DEP_1) | instskip(NEXT) | instid1(VALU_DEP_1)
	v_add_f64 v[31:32], v[31:32], v[33:34]
	v_add_f64 v[31:32], v[35:36], v[31:32]
	s_delay_alu instid0(VALU_DEP_1) | instskip(NEXT) | instid1(VALU_DEP_1)
	v_dual_cndmask_b32 v30, v32, v30 :: v_dual_cndmask_b32 v29, v31, v29
	v_fma_f64 v[33:34], v[29:30], s[74:75], s[72:73]
	v_fma_f64 v[31:32], v[29:30], s[64:65], 0x3fe80000
	s_delay_alu instid0(VALU_DEP_2) | instskip(NEXT) | instid1(VALU_DEP_1)
	v_add_f64 v[27:28], v[27:28], -v[33:34]
	v_fma_f64 v[31:32], v[27:28], s[76:77], v[31:32]
	s_delay_alu instid0(VALU_DEP_1) | instskip(NEXT) | instid1(VALU_DEP_1)
	v_div_scale_f64 v[33:34], null, v[31:32], v[31:32], 1.0
	v_rcp_f64_e32 v[35:36], v[33:34]
	s_waitcnt_depctr 0xfff
	v_fma_f64 v[37:38], -v[33:34], v[35:36], 1.0
	s_delay_alu instid0(VALU_DEP_1) | instskip(NEXT) | instid1(VALU_DEP_1)
	v_fma_f64 v[35:36], v[35:36], v[37:38], v[35:36]
	v_fma_f64 v[37:38], -v[33:34], v[35:36], 1.0
	s_delay_alu instid0(VALU_DEP_1) | instskip(SKIP_1) | instid1(VALU_DEP_1)
	v_fma_f64 v[35:36], v[35:36], v[37:38], v[35:36]
	v_div_scale_f64 v[37:38], vcc_lo, 1.0, v[31:32], 1.0
	v_mul_f64 v[39:40], v[37:38], v[35:36]
	s_delay_alu instid0(VALU_DEP_1) | instskip(NEXT) | instid1(VALU_DEP_1)
	v_fma_f64 v[33:34], -v[33:34], v[39:40], v[37:38]
	v_div_fmas_f64 v[33:34], v[33:34], v[35:36], v[39:40]
	s_delay_alu instid0(VALU_DEP_1) | instskip(NEXT) | instid1(VALU_DEP_1)
	v_div_fixup_f64 v[31:32], v[33:34], v[31:32], 1.0
	v_mul_f64 v[27:28], v[27:28], v[31:32]
	s_delay_alu instid0(VALU_DEP_1) | instskip(NEXT) | instid1(VALU_DEP_1)
	v_fma_f64 v[27:28], v[27:28], v[27:28], 1.0
	v_div_scale_f64 v[31:32], null, v[27:28], v[27:28], 1.0
	s_delay_alu instid0(VALU_DEP_1) | instskip(SKIP_2) | instid1(VALU_DEP_1)
	v_rcp_f64_e32 v[33:34], v[31:32]
	s_waitcnt_depctr 0xfff
	v_fma_f64 v[35:36], -v[31:32], v[33:34], 1.0
	v_fma_f64 v[33:34], v[33:34], v[35:36], v[33:34]
	s_delay_alu instid0(VALU_DEP_1) | instskip(NEXT) | instid1(VALU_DEP_1)
	v_fma_f64 v[35:36], -v[31:32], v[33:34], 1.0
	v_fma_f64 v[33:34], v[33:34], v[35:36], v[33:34]
	v_div_scale_f64 v[35:36], vcc_lo, 1.0, v[27:28], 1.0
	s_delay_alu instid0(VALU_DEP_1) | instskip(NEXT) | instid1(VALU_DEP_1)
	v_mul_f64 v[37:38], v[35:36], v[33:34]
	v_fma_f64 v[31:32], -v[31:32], v[37:38], v[35:36]
	s_delay_alu instid0(VALU_DEP_1) | instskip(NEXT) | instid1(VALU_DEP_1)
	v_div_fmas_f64 v[31:32], v[31:32], v[33:34], v[37:38]
	v_div_fixup_f64 v[27:28], v[31:32], v[27:28], 1.0
	s_delay_alu instid0(VALU_DEP_1) | instskip(NEXT) | instid1(VALU_DEP_1)
	v_mul_f64 v[27:28], v[29:30], v[27:28]
	v_mul_f64 v[29:30], v[27:28], s[60:61]
	v_cmp_nlt_f64_e32 vcc_lo, 0x40900000, v[27:28]
	v_cmp_ngt_f64_e64 s0, 0xc090cc00, v[27:28]
	s_delay_alu instid0(VALU_DEP_3) | instskip(NEXT) | instid1(VALU_DEP_1)
	v_rndne_f64_e32 v[29:30], v[29:30]
	v_fma_f64 v[31:32], v[29:30], s[66:67], v[27:28]
	v_cvt_i32_f64_e32 v1, v[29:30]
	s_delay_alu instid0(VALU_DEP_2) | instskip(NEXT) | instid1(VALU_DEP_1)
	v_fma_f64 v[31:32], v[29:30], s[62:63], v[31:32]
	v_mul_f64 v[33:34], v[31:32], s[68:69]
	s_delay_alu instid0(VALU_DEP_1) | instskip(NEXT) | instid1(VALU_DEP_1)
	v_fma_f64 v[31:32], v[31:32], s[70:71], v[33:34]
	v_fma_f64 v[33:34], v[31:32], s[4:5], s[2:3]
	s_delay_alu instid0(VALU_DEP_1) | instskip(NEXT) | instid1(VALU_DEP_1)
	v_fma_f64 v[33:34], v[31:32], v[33:34], s[6:7]
	v_fma_f64 v[33:34], v[31:32], v[33:34], s[12:13]
	;; [unrolled: 3-line block ×5, first 2 shown]
	s_delay_alu instid0(VALU_DEP_1) | instskip(NEXT) | instid1(VALU_DEP_1)
	v_fma_f64 v[33:34], v[31:32], v[33:34], 1.0
	v_fma_f64 v[31:32], v[31:32], v[33:34], 1.0
	s_delay_alu instid0(VALU_DEP_1) | instskip(NEXT) | instid1(VALU_DEP_1)
	v_ldexp_f64 v[29:30], v[31:32], v1
	v_cndmask_b32_e32 v1, 0x7ff00000, v30, vcc_lo
	s_and_b32 vcc_lo, s0, vcc_lo
	s_delay_alu instid0(VALU_DEP_2) | instskip(SKIP_1) | instid1(VALU_DEP_3)
	v_cndmask_b32_e32 v27, 0, v29, vcc_lo
	v_add_co_u32 v19, vcc_lo, s10, v19
	v_cndmask_b32_e64 v28, 0, v1, s0
	v_add_co_ci_u32_e32 v20, vcc_lo, s11, v20, vcc_lo
	s_delay_alu instid0(VALU_DEP_2) | instskip(NEXT) | instid1(VALU_DEP_1)
	v_mul_f64 v[25:26], v[25:26], v[27:28]
	v_mul_f64 v[23:24], v[23:24], v[25:26]
	global_store_b64 v[21:22], v[23:24], off
	global_load_b64 v[21:22], v[19:20], off
	s_waitcnt vmcnt(0)
	v_mul_f64 v[21:22], v[21:22], v[25:26]
	global_store_b64 v[19:20], v[21:22], off
	v_mad_u64_u32 v[19:20], null, 0xffffff7d, s1, v[0:1]
	v_mov_b32_e32 v20, v2
	s_delay_alu instid0(VALU_DEP_1) | instskip(NEXT) | instid1(VALU_DEP_1)
	v_lshlrev_b64 v[0:1], 3, v[19:20]
	v_add_co_u32 v0, vcc_lo, s16, v0
	s_delay_alu instid0(VALU_DEP_2) | instskip(SKIP_3) | instid1(VALU_DEP_1)
	v_add_co_ci_u32_e32 v1, vcc_lo, s17, v1, vcc_lo
	global_load_b64 v[25:26], v[0:1], off
	v_mad_u64_u32 v[0:1], null, 0x8a, s1, v[19:20]
	v_mov_b32_e32 v1, v2
	v_lshlrev_b64 v[19:20], 3, v[0:1]
	s_delay_alu instid0(VALU_DEP_1) | instskip(NEXT) | instid1(VALU_DEP_2)
	v_add_co_u32 v21, vcc_lo, s8, v19
	v_add_co_ci_u32_e32 v22, vcc_lo, s9, v20, vcc_lo
	global_load_b64 v[23:24], v[21:22], off
	s_waitcnt vmcnt(0)
	v_div_scale_f64 v[27:28], null, v[23:24], v[23:24], 1.0
	s_delay_alu instid0(VALU_DEP_1) | instskip(SKIP_2) | instid1(VALU_DEP_1)
	v_rcp_f64_e32 v[29:30], v[27:28]
	s_waitcnt_depctr 0xfff
	v_fma_f64 v[31:32], -v[27:28], v[29:30], 1.0
	v_fma_f64 v[29:30], v[29:30], v[31:32], v[29:30]
	s_delay_alu instid0(VALU_DEP_1) | instskip(NEXT) | instid1(VALU_DEP_1)
	v_fma_f64 v[31:32], -v[27:28], v[29:30], 1.0
	v_fma_f64 v[29:30], v[29:30], v[31:32], v[29:30]
	v_div_scale_f64 v[31:32], vcc_lo, 1.0, v[23:24], 1.0
	s_delay_alu instid0(VALU_DEP_1) | instskip(NEXT) | instid1(VALU_DEP_1)
	v_mul_f64 v[33:34], v[31:32], v[29:30]
	v_fma_f64 v[27:28], -v[27:28], v[33:34], v[31:32]
	s_delay_alu instid0(VALU_DEP_1) | instskip(NEXT) | instid1(VALU_DEP_1)
	v_div_fmas_f64 v[27:28], v[27:28], v[29:30], v[33:34]
	v_div_fixup_f64 v[27:28], v[27:28], v[23:24], 1.0
	s_delay_alu instid0(VALU_DEP_1) | instskip(NEXT) | instid1(VALU_DEP_1)
	v_mul_f64 v[27:28], v[11:12], v[27:28]
	v_mul_f64 v[29:30], v[25:26], v[27:28]
	v_fma_f64 v[25:26], v[25:26], v[27:28], 1.0
	s_delay_alu instid0(VALU_DEP_1) | instskip(NEXT) | instid1(VALU_DEP_1)
	v_div_scale_f64 v[27:28], null, v[25:26], v[25:26], 1.0
	v_rcp_f64_e32 v[31:32], v[27:28]
	s_waitcnt_depctr 0xfff
	v_fma_f64 v[33:34], -v[27:28], v[31:32], 1.0
	s_delay_alu instid0(VALU_DEP_1) | instskip(NEXT) | instid1(VALU_DEP_1)
	v_fma_f64 v[31:32], v[31:32], v[33:34], v[31:32]
	v_fma_f64 v[33:34], -v[27:28], v[31:32], 1.0
	s_delay_alu instid0(VALU_DEP_1) | instskip(SKIP_1) | instid1(VALU_DEP_1)
	v_fma_f64 v[31:32], v[31:32], v[33:34], v[31:32]
	v_div_scale_f64 v[33:34], vcc_lo, 1.0, v[25:26], 1.0
	v_mul_f64 v[35:36], v[33:34], v[31:32]
	s_delay_alu instid0(VALU_DEP_1) | instskip(NEXT) | instid1(VALU_DEP_1)
	v_fma_f64 v[27:28], -v[27:28], v[35:36], v[33:34]
	v_div_fmas_f64 v[27:28], v[27:28], v[31:32], v[35:36]
	v_mov_b32_e32 v31, v2
	s_delay_alu instid0(VALU_DEP_2) | instskip(SKIP_1) | instid1(VALU_DEP_2)
	v_div_fixup_f64 v[25:26], v[27:28], v[25:26], 1.0
	v_max_f64 v[27:28], 0x38100000, v[29:30]
	v_mul_f64 v[25:26], v[29:30], v[25:26]
	s_delay_alu instid0(VALU_DEP_2) | instskip(SKIP_1) | instid1(VALU_DEP_2)
	v_frexp_mant_f64_e32 v[29:30], v[27:28]
	v_frexp_exp_i32_f64_e32 v1, v[27:28]
	v_cmp_gt_f64_e32 vcc_lo, s[52:53], v[29:30]
	v_cndmask_b32_e64 v32, 0x3ff00000, 2.0, vcc_lo
	s_delay_alu instid0(VALU_DEP_3) | instskip(SKIP_1) | instid1(VALU_DEP_3)
	v_subrev_co_ci_u32_e32 v1, vcc_lo, 0, v1, vcc_lo
	v_cmp_eq_f64_e32 vcc_lo, 0x7ff00000, v[27:28]
	v_mul_f64 v[29:30], v[29:30], v[31:32]
	s_delay_alu instid0(VALU_DEP_1) | instskip(SKIP_1) | instid1(VALU_DEP_2)
	v_add_f64 v[33:34], v[29:30], 1.0
	v_add_f64 v[31:32], v[29:30], -1.0
	v_add_f64 v[35:36], v[33:34], -1.0
	s_delay_alu instid0(VALU_DEP_1) | instskip(SKIP_3) | instid1(VALU_DEP_1)
	v_add_f64 v[29:30], v[29:30], -v[35:36]
	v_rcp_f64_e32 v[35:36], v[33:34]
	s_waitcnt_depctr 0xfff
	v_fma_f64 v[37:38], -v[33:34], v[35:36], 1.0
	v_fma_f64 v[35:36], v[37:38], v[35:36], v[35:36]
	s_delay_alu instid0(VALU_DEP_1) | instskip(NEXT) | instid1(VALU_DEP_1)
	v_fma_f64 v[37:38], -v[33:34], v[35:36], 1.0
	v_fma_f64 v[35:36], v[37:38], v[35:36], v[35:36]
	s_delay_alu instid0(VALU_DEP_1) | instskip(NEXT) | instid1(VALU_DEP_1)
	v_mul_f64 v[37:38], v[31:32], v[35:36]
	v_mul_f64 v[39:40], v[33:34], v[37:38]
	s_delay_alu instid0(VALU_DEP_1) | instskip(NEXT) | instid1(VALU_DEP_1)
	v_fma_f64 v[33:34], v[37:38], v[33:34], -v[39:40]
	v_fma_f64 v[29:30], v[37:38], v[29:30], v[33:34]
	s_delay_alu instid0(VALU_DEP_1) | instskip(NEXT) | instid1(VALU_DEP_1)
	v_add_f64 v[33:34], v[39:40], v[29:30]
	v_add_f64 v[41:42], v[31:32], -v[33:34]
	v_add_f64 v[39:40], v[33:34], -v[39:40]
	s_delay_alu instid0(VALU_DEP_2) | instskip(NEXT) | instid1(VALU_DEP_2)
	v_add_f64 v[31:32], v[31:32], -v[41:42]
	v_add_f64 v[29:30], v[39:40], -v[29:30]
	s_delay_alu instid0(VALU_DEP_2) | instskip(NEXT) | instid1(VALU_DEP_1)
	v_add_f64 v[31:32], v[31:32], -v[33:34]
	v_add_f64 v[29:30], v[29:30], v[31:32]
	s_delay_alu instid0(VALU_DEP_1) | instskip(NEXT) | instid1(VALU_DEP_1)
	v_add_f64 v[29:30], v[41:42], v[29:30]
	v_mul_f64 v[29:30], v[35:36], v[29:30]
	s_delay_alu instid0(VALU_DEP_1) | instskip(NEXT) | instid1(VALU_DEP_1)
	v_add_f64 v[31:32], v[37:38], v[29:30]
	v_add_f64 v[33:34], v[31:32], -v[37:38]
	v_ldexp_f64 v[37:38], v[31:32], 1
	s_delay_alu instid0(VALU_DEP_2) | instskip(SKIP_1) | instid1(VALU_DEP_2)
	v_add_f64 v[29:30], v[29:30], -v[33:34]
	v_mul_f64 v[33:34], v[31:32], v[31:32]
	v_ldexp_f64 v[29:30], v[29:30], 1
	s_delay_alu instid0(VALU_DEP_2) | instskip(SKIP_1) | instid1(VALU_DEP_2)
	v_fma_f64 v[35:36], v[33:34], s[50:51], s[46:47]
	v_mul_f64 v[31:32], v[31:32], v[33:34]
	v_fma_f64 v[35:36], v[33:34], v[35:36], s[38:39]
	s_delay_alu instid0(VALU_DEP_1) | instskip(NEXT) | instid1(VALU_DEP_1)
	v_fma_f64 v[35:36], v[33:34], v[35:36], s[40:41]
	v_fma_f64 v[35:36], v[33:34], v[35:36], s[42:43]
	s_delay_alu instid0(VALU_DEP_1) | instskip(NEXT) | instid1(VALU_DEP_1)
	v_fma_f64 v[35:36], v[33:34], v[35:36], s[44:45]
	v_fma_f64 v[35:36], v[33:34], v[35:36], s[48:49]
	s_delay_alu instid0(VALU_DEP_1) | instskip(NEXT) | instid1(VALU_DEP_1)
	v_mul_f64 v[31:32], v[31:32], v[35:36]
	v_add_f64 v[33:34], v[37:38], v[31:32]
	s_delay_alu instid0(VALU_DEP_1) | instskip(NEXT) | instid1(VALU_DEP_1)
	v_add_f64 v[35:36], v[33:34], -v[37:38]
	v_add_f64 v[31:32], v[31:32], -v[35:36]
	s_delay_alu instid0(VALU_DEP_1) | instskip(NEXT) | instid1(VALU_DEP_1)
	v_add_f64 v[29:30], v[29:30], v[31:32]
	v_add_f64 v[31:32], v[33:34], v[29:30]
	s_delay_alu instid0(VALU_DEP_1) | instskip(NEXT) | instid1(VALU_DEP_1)
	v_add_f64 v[33:34], v[31:32], -v[33:34]
	v_add_f64 v[29:30], v[29:30], -v[33:34]
	v_cvt_f64_i32_e32 v[33:34], v1
	s_delay_alu instid0(VALU_DEP_1) | instskip(NEXT) | instid1(VALU_DEP_1)
	v_mul_f64 v[35:36], v[33:34], s[34:35]
	v_fma_f64 v[37:38], v[33:34], s[34:35], -v[35:36]
	s_delay_alu instid0(VALU_DEP_1) | instskip(NEXT) | instid1(VALU_DEP_1)
	v_fma_f64 v[33:34], v[33:34], s[36:37], v[37:38]
	v_add_f64 v[37:38], v[35:36], v[33:34]
	s_delay_alu instid0(VALU_DEP_1) | instskip(NEXT) | instid1(VALU_DEP_1)
	v_add_f64 v[35:36], v[37:38], -v[35:36]
	v_add_f64 v[33:34], v[33:34], -v[35:36]
	v_mul_f64 v[35:36], v[31:32], s[30:31]
	s_delay_alu instid0(VALU_DEP_1) | instskip(NEXT) | instid1(VALU_DEP_1)
	v_fma_f64 v[39:40], v[31:32], s[30:31], -v[35:36]
	v_fma_f64 v[29:30], v[29:30], s[30:31], v[39:40]
	s_delay_alu instid0(VALU_DEP_1) | instskip(NEXT) | instid1(VALU_DEP_1)
	v_fma_f64 v[29:30], v[31:32], s[28:29], v[29:30]
	v_add_f64 v[31:32], v[35:36], v[29:30]
	s_delay_alu instid0(VALU_DEP_1) | instskip(NEXT) | instid1(VALU_DEP_1)
	v_add_f64 v[35:36], v[31:32], -v[35:36]
	v_add_f64 v[29:30], v[29:30], -v[35:36]
	v_add_f64 v[35:36], v[37:38], v[31:32]
	s_delay_alu instid0(VALU_DEP_1) | instskip(NEXT) | instid1(VALU_DEP_1)
	v_add_f64 v[39:40], v[35:36], -v[37:38]
	v_add_f64 v[41:42], v[35:36], -v[39:40]
	;; [unrolled: 1-line block ×3, first 2 shown]
	s_delay_alu instid0(VALU_DEP_2) | instskip(NEXT) | instid1(VALU_DEP_1)
	v_add_f64 v[37:38], v[37:38], -v[41:42]
	v_add_f64 v[31:32], v[31:32], v[37:38]
	v_add_f64 v[37:38], v[33:34], v[29:30]
	s_delay_alu instid0(VALU_DEP_1) | instskip(NEXT) | instid1(VALU_DEP_3)
	v_add_f64 v[39:40], v[37:38], -v[33:34]
	v_add_f64 v[31:32], v[37:38], v[31:32]
	s_delay_alu instid0(VALU_DEP_2) | instskip(SKIP_1) | instid1(VALU_DEP_2)
	v_add_f64 v[41:42], v[37:38], -v[39:40]
	v_add_f64 v[29:30], v[29:30], -v[39:40]
	;; [unrolled: 1-line block ×3, first 2 shown]
	s_delay_alu instid0(VALU_DEP_1) | instskip(SKIP_1) | instid1(VALU_DEP_1)
	v_add_f64 v[29:30], v[29:30], v[33:34]
	v_add_f64 v[33:34], v[35:36], v[31:32]
	v_add_f64 v[35:36], v[33:34], -v[35:36]
	s_delay_alu instid0(VALU_DEP_1) | instskip(NEXT) | instid1(VALU_DEP_1)
	v_add_f64 v[31:32], v[31:32], -v[35:36]
	v_add_f64 v[29:30], v[29:30], v[31:32]
	s_delay_alu instid0(VALU_DEP_1) | instskip(NEXT) | instid1(VALU_DEP_1)
	v_add_f64 v[29:30], v[33:34], v[29:30]
	v_dual_cndmask_b32 v28, v30, v28 :: v_dual_cndmask_b32 v27, v29, v27
	v_mul_f64 v[29:30], v[3:4], s[80:81]
	s_mov_b32 s80, 0xb645a1cb
	s_mov_b32 s81, 0x3fd0fdf3
	s_delay_alu instid0(VALU_DEP_1) | instskip(SKIP_2) | instid1(VALU_DEP_3)
	v_mul_f64 v[31:32], v[29:30], s[58:59]
	v_cmp_nlt_f64_e32 vcc_lo, 0x40900000, v[29:30]
	v_cmp_ngt_f64_e64 s0, 0xc090cc00, v[29:30]
	v_rndne_f64_e32 v[31:32], v[31:32]
	s_delay_alu instid0(VALU_DEP_1) | instskip(SKIP_1) | instid1(VALU_DEP_2)
	v_fma_f64 v[33:34], v[31:32], s[56:57], v[29:30]
	v_cvt_i32_f64_e32 v1, v[31:32]
	v_fma_f64 v[33:34], v[31:32], s[54:55], v[33:34]
	s_delay_alu instid0(VALU_DEP_1) | instskip(NEXT) | instid1(VALU_DEP_1)
	v_fma_f64 v[35:36], v[33:34], s[4:5], s[2:3]
	v_fma_f64 v[35:36], v[33:34], v[35:36], s[6:7]
	s_delay_alu instid0(VALU_DEP_1) | instskip(NEXT) | instid1(VALU_DEP_1)
	v_fma_f64 v[35:36], v[33:34], v[35:36], s[12:13]
	;; [unrolled: 3-line block ×5, first 2 shown]
	v_fma_f64 v[35:36], v[33:34], v[35:36], 1.0
	s_delay_alu instid0(VALU_DEP_1) | instskip(NEXT) | instid1(VALU_DEP_1)
	v_fma_f64 v[33:34], v[33:34], v[35:36], 1.0
	v_ldexp_f64 v[31:32], v[33:34], v1
	s_delay_alu instid0(VALU_DEP_1) | instskip(SKIP_2) | instid1(VALU_DEP_1)
	v_mul_f64 v[31:32], v[31:32], s[80:81]
	s_mov_b32 s80, 0x6d92aca5
	s_mov_b32 s81, 0xbf4fa8ef
	v_cndmask_b32_e32 v1, 0x7ff00000, v32, vcc_lo
	s_and_b32 vcc_lo, s0, vcc_lo
	s_delay_alu instid0(VALU_DEP_2) | instskip(SKIP_1) | instid1(VALU_DEP_3)
	v_cndmask_b32_e32 v29, 0, v31, vcc_lo
	v_mul_f64 v[31:32], v[3:4], s[80:81]
	v_cndmask_b32_e64 v30, 0, v1, s0
	s_mov_b32 s80, 0x24dd2f1b
	s_mov_b32 s81, 0x3fe78106
	s_delay_alu instid0(VALU_DEP_2) | instskip(SKIP_2) | instid1(VALU_DEP_3)
	v_mul_f64 v[33:34], v[31:32], s[58:59]
	v_cmp_nlt_f64_e32 vcc_lo, 0x40900000, v[31:32]
	v_cmp_ngt_f64_e64 s0, 0xc090cc00, v[31:32]
	v_rndne_f64_e32 v[33:34], v[33:34]
	s_delay_alu instid0(VALU_DEP_1) | instskip(SKIP_1) | instid1(VALU_DEP_2)
	v_fma_f64 v[35:36], v[33:34], s[56:57], v[31:32]
	v_cvt_i32_f64_e32 v1, v[33:34]
	v_fma_f64 v[35:36], v[33:34], s[54:55], v[35:36]
	s_delay_alu instid0(VALU_DEP_1) | instskip(NEXT) | instid1(VALU_DEP_1)
	v_fma_f64 v[37:38], v[35:36], s[4:5], s[2:3]
	v_fma_f64 v[37:38], v[35:36], v[37:38], s[6:7]
	s_delay_alu instid0(VALU_DEP_1) | instskip(NEXT) | instid1(VALU_DEP_1)
	v_fma_f64 v[37:38], v[35:36], v[37:38], s[12:13]
	v_fma_f64 v[37:38], v[35:36], v[37:38], s[14:15]
	s_delay_alu instid0(VALU_DEP_1) | instskip(NEXT) | instid1(VALU_DEP_1)
	v_fma_f64 v[37:38], v[35:36], v[37:38], s[18:19]
	v_fma_f64 v[37:38], v[35:36], v[37:38], s[20:21]
	s_delay_alu instid0(VALU_DEP_1) | instskip(NEXT) | instid1(VALU_DEP_1)
	v_fma_f64 v[37:38], v[35:36], v[37:38], s[22:23]
	v_fma_f64 v[37:38], v[35:36], v[37:38], s[24:25]
	s_delay_alu instid0(VALU_DEP_1) | instskip(NEXT) | instid1(VALU_DEP_1)
	v_fma_f64 v[37:38], v[35:36], v[37:38], s[26:27]
	v_fma_f64 v[37:38], v[35:36], v[37:38], 1.0
	s_delay_alu instid0(VALU_DEP_1) | instskip(NEXT) | instid1(VALU_DEP_1)
	v_fma_f64 v[35:36], v[35:36], v[37:38], 1.0
	v_ldexp_f64 v[33:34], v[35:36], v1
	s_delay_alu instid0(VALU_DEP_1) | instskip(SKIP_2) | instid1(VALU_DEP_1)
	v_mul_f64 v[33:34], v[33:34], s[80:81]
	s_mov_b32 s80, 0x13813814
	s_mov_b32 s81, 0xbf738138
	v_cndmask_b32_e32 v1, 0x7ff00000, v34, vcc_lo
	s_and_b32 vcc_lo, s0, vcc_lo
	s_delay_alu instid0(VALU_DEP_2) | instskip(NEXT) | instid1(VALU_DEP_2)
	v_cndmask_b32_e32 v31, 0, v33, vcc_lo
	v_cndmask_b32_e64 v32, 0, v1, s0
	s_delay_alu instid0(VALU_DEP_1) | instskip(SKIP_1) | instid1(VALU_DEP_1)
	v_add_f64 v[29:30], v[29:30], v[31:32]
	v_mul_f64 v[31:32], 0xc0b52900, v[13:14]
	v_mul_f64 v[33:34], v[31:32], s[58:59]
	v_cmp_nlt_f64_e32 vcc_lo, 0x40900000, v[31:32]
	v_cmp_ngt_f64_e64 s0, 0xc090cc00, v[31:32]
	s_delay_alu instid0(VALU_DEP_3) | instskip(NEXT) | instid1(VALU_DEP_1)
	v_rndne_f64_e32 v[33:34], v[33:34]
	v_fma_f64 v[35:36], v[33:34], s[56:57], v[31:32]
	v_cvt_i32_f64_e32 v1, v[33:34]
	s_delay_alu instid0(VALU_DEP_2) | instskip(NEXT) | instid1(VALU_DEP_1)
	v_fma_f64 v[35:36], v[33:34], s[54:55], v[35:36]
	v_fma_f64 v[37:38], v[35:36], s[4:5], s[2:3]
	s_delay_alu instid0(VALU_DEP_1) | instskip(NEXT) | instid1(VALU_DEP_1)
	v_fma_f64 v[37:38], v[35:36], v[37:38], s[6:7]
	v_fma_f64 v[37:38], v[35:36], v[37:38], s[12:13]
	s_delay_alu instid0(VALU_DEP_1) | instskip(NEXT) | instid1(VALU_DEP_1)
	;; [unrolled: 3-line block ×5, first 2 shown]
	v_fma_f64 v[37:38], v[35:36], v[37:38], 1.0
	v_fma_f64 v[35:36], v[35:36], v[37:38], 1.0
	s_delay_alu instid0(VALU_DEP_1) | instskip(NEXT) | instid1(VALU_DEP_1)
	v_ldexp_f64 v[33:34], v[35:36], v1
	v_cndmask_b32_e32 v1, 0x7ff00000, v34, vcc_lo
	s_and_b32 vcc_lo, s0, vcc_lo
	s_delay_alu instid0(VALU_DEP_2) | instskip(SKIP_1) | instid1(VALU_DEP_3)
	v_cndmask_b32_e32 v31, 0, v33, vcc_lo
	v_mov_b32_e32 v33, v2
	v_cndmask_b32_e64 v32, 0, v1, s0
	s_delay_alu instid0(VALU_DEP_1) | instskip(NEXT) | instid1(VALU_DEP_1)
	v_add_f64 v[29:30], v[31:32], v[29:30]
	v_max_f64 v[29:30], 0x38100000, v[29:30]
	s_delay_alu instid0(VALU_DEP_1) | instskip(SKIP_1) | instid1(VALU_DEP_2)
	v_frexp_mant_f64_e32 v[31:32], v[29:30]
	v_frexp_exp_i32_f64_e32 v1, v[29:30]
	v_cmp_gt_f64_e32 vcc_lo, s[52:53], v[31:32]
	v_cndmask_b32_e64 v34, 0x3ff00000, 2.0, vcc_lo
	s_delay_alu instid0(VALU_DEP_3) | instskip(SKIP_1) | instid1(VALU_DEP_3)
	v_subrev_co_ci_u32_e32 v1, vcc_lo, 0, v1, vcc_lo
	v_cmp_eq_f64_e32 vcc_lo, 0x7ff00000, v[29:30]
	v_mul_f64 v[31:32], v[31:32], v[33:34]
	s_delay_alu instid0(VALU_DEP_1) | instskip(SKIP_1) | instid1(VALU_DEP_2)
	v_add_f64 v[35:36], v[31:32], 1.0
	v_add_f64 v[33:34], v[31:32], -1.0
	v_add_f64 v[37:38], v[35:36], -1.0
	s_delay_alu instid0(VALU_DEP_1) | instskip(SKIP_3) | instid1(VALU_DEP_1)
	v_add_f64 v[31:32], v[31:32], -v[37:38]
	v_rcp_f64_e32 v[37:38], v[35:36]
	s_waitcnt_depctr 0xfff
	v_fma_f64 v[39:40], -v[35:36], v[37:38], 1.0
	v_fma_f64 v[37:38], v[39:40], v[37:38], v[37:38]
	s_delay_alu instid0(VALU_DEP_1) | instskip(NEXT) | instid1(VALU_DEP_1)
	v_fma_f64 v[39:40], -v[35:36], v[37:38], 1.0
	v_fma_f64 v[37:38], v[39:40], v[37:38], v[37:38]
	s_delay_alu instid0(VALU_DEP_1) | instskip(NEXT) | instid1(VALU_DEP_1)
	v_mul_f64 v[39:40], v[33:34], v[37:38]
	v_mul_f64 v[41:42], v[35:36], v[39:40]
	s_delay_alu instid0(VALU_DEP_1) | instskip(NEXT) | instid1(VALU_DEP_1)
	v_fma_f64 v[35:36], v[39:40], v[35:36], -v[41:42]
	v_fma_f64 v[31:32], v[39:40], v[31:32], v[35:36]
	s_delay_alu instid0(VALU_DEP_1) | instskip(NEXT) | instid1(VALU_DEP_1)
	v_add_f64 v[35:36], v[41:42], v[31:32]
	v_add_f64 v[43:44], v[33:34], -v[35:36]
	v_add_f64 v[41:42], v[35:36], -v[41:42]
	s_delay_alu instid0(VALU_DEP_2) | instskip(NEXT) | instid1(VALU_DEP_2)
	v_add_f64 v[33:34], v[33:34], -v[43:44]
	v_add_f64 v[31:32], v[41:42], -v[31:32]
	s_delay_alu instid0(VALU_DEP_2) | instskip(NEXT) | instid1(VALU_DEP_1)
	v_add_f64 v[33:34], v[33:34], -v[35:36]
	v_add_f64 v[31:32], v[31:32], v[33:34]
	s_delay_alu instid0(VALU_DEP_1) | instskip(NEXT) | instid1(VALU_DEP_1)
	v_add_f64 v[31:32], v[43:44], v[31:32]
	v_mul_f64 v[31:32], v[37:38], v[31:32]
	s_delay_alu instid0(VALU_DEP_1) | instskip(NEXT) | instid1(VALU_DEP_1)
	v_add_f64 v[33:34], v[39:40], v[31:32]
	v_add_f64 v[35:36], v[33:34], -v[39:40]
	v_ldexp_f64 v[39:40], v[33:34], 1
	s_delay_alu instid0(VALU_DEP_2) | instskip(SKIP_1) | instid1(VALU_DEP_2)
	v_add_f64 v[31:32], v[31:32], -v[35:36]
	v_mul_f64 v[35:36], v[33:34], v[33:34]
	v_ldexp_f64 v[31:32], v[31:32], 1
	s_delay_alu instid0(VALU_DEP_2) | instskip(SKIP_1) | instid1(VALU_DEP_2)
	v_fma_f64 v[37:38], v[35:36], s[50:51], s[46:47]
	v_mul_f64 v[33:34], v[33:34], v[35:36]
	v_fma_f64 v[37:38], v[35:36], v[37:38], s[38:39]
	s_delay_alu instid0(VALU_DEP_1) | instskip(NEXT) | instid1(VALU_DEP_1)
	v_fma_f64 v[37:38], v[35:36], v[37:38], s[40:41]
	v_fma_f64 v[37:38], v[35:36], v[37:38], s[42:43]
	s_delay_alu instid0(VALU_DEP_1) | instskip(NEXT) | instid1(VALU_DEP_1)
	v_fma_f64 v[37:38], v[35:36], v[37:38], s[44:45]
	v_fma_f64 v[37:38], v[35:36], v[37:38], s[48:49]
	s_delay_alu instid0(VALU_DEP_1) | instskip(NEXT) | instid1(VALU_DEP_1)
	v_mul_f64 v[33:34], v[33:34], v[37:38]
	v_add_f64 v[35:36], v[39:40], v[33:34]
	s_delay_alu instid0(VALU_DEP_1) | instskip(NEXT) | instid1(VALU_DEP_1)
	v_add_f64 v[37:38], v[35:36], -v[39:40]
	v_add_f64 v[33:34], v[33:34], -v[37:38]
	s_delay_alu instid0(VALU_DEP_1) | instskip(NEXT) | instid1(VALU_DEP_1)
	v_add_f64 v[31:32], v[31:32], v[33:34]
	v_add_f64 v[33:34], v[35:36], v[31:32]
	s_delay_alu instid0(VALU_DEP_1) | instskip(NEXT) | instid1(VALU_DEP_1)
	v_add_f64 v[35:36], v[33:34], -v[35:36]
	v_add_f64 v[31:32], v[31:32], -v[35:36]
	v_cvt_f64_i32_e32 v[35:36], v1
	s_delay_alu instid0(VALU_DEP_1) | instskip(NEXT) | instid1(VALU_DEP_1)
	v_mul_f64 v[37:38], v[35:36], s[34:35]
	v_fma_f64 v[39:40], v[35:36], s[34:35], -v[37:38]
	s_delay_alu instid0(VALU_DEP_1) | instskip(NEXT) | instid1(VALU_DEP_1)
	v_fma_f64 v[35:36], v[35:36], s[36:37], v[39:40]
	v_add_f64 v[39:40], v[37:38], v[35:36]
	s_delay_alu instid0(VALU_DEP_1) | instskip(NEXT) | instid1(VALU_DEP_1)
	v_add_f64 v[37:38], v[39:40], -v[37:38]
	v_add_f64 v[35:36], v[35:36], -v[37:38]
	v_mul_f64 v[37:38], v[33:34], s[30:31]
	s_delay_alu instid0(VALU_DEP_1) | instskip(NEXT) | instid1(VALU_DEP_1)
	v_fma_f64 v[41:42], v[33:34], s[30:31], -v[37:38]
	v_fma_f64 v[31:32], v[31:32], s[30:31], v[41:42]
	s_delay_alu instid0(VALU_DEP_1) | instskip(NEXT) | instid1(VALU_DEP_1)
	v_fma_f64 v[31:32], v[33:34], s[28:29], v[31:32]
	v_add_f64 v[33:34], v[37:38], v[31:32]
	s_delay_alu instid0(VALU_DEP_1) | instskip(NEXT) | instid1(VALU_DEP_1)
	v_add_f64 v[37:38], v[33:34], -v[37:38]
	v_add_f64 v[31:32], v[31:32], -v[37:38]
	v_add_f64 v[37:38], v[39:40], v[33:34]
	s_delay_alu instid0(VALU_DEP_1) | instskip(NEXT) | instid1(VALU_DEP_1)
	v_add_f64 v[41:42], v[37:38], -v[39:40]
	v_add_f64 v[43:44], v[37:38], -v[41:42]
	;; [unrolled: 1-line block ×3, first 2 shown]
	s_delay_alu instid0(VALU_DEP_2) | instskip(NEXT) | instid1(VALU_DEP_1)
	v_add_f64 v[39:40], v[39:40], -v[43:44]
	v_add_f64 v[33:34], v[33:34], v[39:40]
	v_add_f64 v[39:40], v[35:36], v[31:32]
	s_delay_alu instid0(VALU_DEP_1) | instskip(NEXT) | instid1(VALU_DEP_3)
	v_add_f64 v[41:42], v[39:40], -v[35:36]
	v_add_f64 v[33:34], v[39:40], v[33:34]
	s_delay_alu instid0(VALU_DEP_2) | instskip(SKIP_1) | instid1(VALU_DEP_2)
	v_add_f64 v[43:44], v[39:40], -v[41:42]
	v_add_f64 v[31:32], v[31:32], -v[41:42]
	;; [unrolled: 1-line block ×3, first 2 shown]
	s_delay_alu instid0(VALU_DEP_1) | instskip(SKIP_1) | instid1(VALU_DEP_1)
	v_add_f64 v[31:32], v[31:32], v[35:36]
	v_add_f64 v[35:36], v[37:38], v[33:34]
	v_add_f64 v[37:38], v[35:36], -v[37:38]
	s_delay_alu instid0(VALU_DEP_1) | instskip(NEXT) | instid1(VALU_DEP_1)
	v_add_f64 v[33:34], v[33:34], -v[37:38]
	v_add_f64 v[31:32], v[31:32], v[33:34]
	s_delay_alu instid0(VALU_DEP_1) | instskip(NEXT) | instid1(VALU_DEP_1)
	v_add_f64 v[31:32], v[35:36], v[31:32]
	v_dual_cndmask_b32 v30, v32, v30 :: v_dual_cndmask_b32 v29, v31, v29
	s_delay_alu instid0(VALU_DEP_1) | instskip(SKIP_1) | instid1(VALU_DEP_2)
	v_fma_f64 v[33:34], v[29:30], s[74:75], s[72:73]
	v_fma_f64 v[31:32], v[29:30], s[64:65], 0x3fe80000
	v_add_f64 v[27:28], v[27:28], -v[33:34]
	s_delay_alu instid0(VALU_DEP_1) | instskip(NEXT) | instid1(VALU_DEP_1)
	v_fma_f64 v[31:32], v[27:28], s[76:77], v[31:32]
	v_div_scale_f64 v[33:34], null, v[31:32], v[31:32], 1.0
	s_delay_alu instid0(VALU_DEP_1) | instskip(SKIP_2) | instid1(VALU_DEP_1)
	v_rcp_f64_e32 v[35:36], v[33:34]
	s_waitcnt_depctr 0xfff
	v_fma_f64 v[37:38], -v[33:34], v[35:36], 1.0
	v_fma_f64 v[35:36], v[35:36], v[37:38], v[35:36]
	s_delay_alu instid0(VALU_DEP_1) | instskip(NEXT) | instid1(VALU_DEP_1)
	v_fma_f64 v[37:38], -v[33:34], v[35:36], 1.0
	v_fma_f64 v[35:36], v[35:36], v[37:38], v[35:36]
	v_div_scale_f64 v[37:38], vcc_lo, 1.0, v[31:32], 1.0
	s_delay_alu instid0(VALU_DEP_1) | instskip(NEXT) | instid1(VALU_DEP_1)
	v_mul_f64 v[39:40], v[37:38], v[35:36]
	v_fma_f64 v[33:34], -v[33:34], v[39:40], v[37:38]
	s_delay_alu instid0(VALU_DEP_1) | instskip(NEXT) | instid1(VALU_DEP_1)
	v_div_fmas_f64 v[33:34], v[33:34], v[35:36], v[39:40]
	v_div_fixup_f64 v[31:32], v[33:34], v[31:32], 1.0
	s_delay_alu instid0(VALU_DEP_1) | instskip(NEXT) | instid1(VALU_DEP_1)
	v_mul_f64 v[27:28], v[27:28], v[31:32]
	v_fma_f64 v[27:28], v[27:28], v[27:28], 1.0
	s_delay_alu instid0(VALU_DEP_1) | instskip(NEXT) | instid1(VALU_DEP_1)
	v_div_scale_f64 v[31:32], null, v[27:28], v[27:28], 1.0
	v_rcp_f64_e32 v[33:34], v[31:32]
	s_waitcnt_depctr 0xfff
	v_fma_f64 v[35:36], -v[31:32], v[33:34], 1.0
	s_delay_alu instid0(VALU_DEP_1) | instskip(NEXT) | instid1(VALU_DEP_1)
	v_fma_f64 v[33:34], v[33:34], v[35:36], v[33:34]
	v_fma_f64 v[35:36], -v[31:32], v[33:34], 1.0
	s_delay_alu instid0(VALU_DEP_1) | instskip(SKIP_1) | instid1(VALU_DEP_1)
	v_fma_f64 v[33:34], v[33:34], v[35:36], v[33:34]
	v_div_scale_f64 v[35:36], vcc_lo, 1.0, v[27:28], 1.0
	v_mul_f64 v[37:38], v[35:36], v[33:34]
	s_delay_alu instid0(VALU_DEP_1) | instskip(NEXT) | instid1(VALU_DEP_1)
	v_fma_f64 v[31:32], -v[31:32], v[37:38], v[35:36]
	v_div_fmas_f64 v[31:32], v[31:32], v[33:34], v[37:38]
	s_delay_alu instid0(VALU_DEP_1) | instskip(NEXT) | instid1(VALU_DEP_1)
	v_div_fixup_f64 v[27:28], v[31:32], v[27:28], 1.0
	v_mul_f64 v[27:28], v[29:30], v[27:28]
	s_delay_alu instid0(VALU_DEP_1) | instskip(SKIP_2) | instid1(VALU_DEP_3)
	v_mul_f64 v[29:30], v[27:28], s[60:61]
	v_cmp_nlt_f64_e32 vcc_lo, 0x40900000, v[27:28]
	v_cmp_ngt_f64_e64 s0, 0xc090cc00, v[27:28]
	v_rndne_f64_e32 v[29:30], v[29:30]
	s_delay_alu instid0(VALU_DEP_1) | instskip(SKIP_1) | instid1(VALU_DEP_2)
	v_fma_f64 v[31:32], v[29:30], s[66:67], v[27:28]
	v_cvt_i32_f64_e32 v1, v[29:30]
	v_fma_f64 v[31:32], v[29:30], s[62:63], v[31:32]
	s_delay_alu instid0(VALU_DEP_1) | instskip(NEXT) | instid1(VALU_DEP_1)
	v_mul_f64 v[33:34], v[31:32], s[68:69]
	v_fma_f64 v[31:32], v[31:32], s[70:71], v[33:34]
	s_delay_alu instid0(VALU_DEP_1) | instskip(NEXT) | instid1(VALU_DEP_1)
	v_fma_f64 v[33:34], v[31:32], s[4:5], s[2:3]
	v_fma_f64 v[33:34], v[31:32], v[33:34], s[6:7]
	s_delay_alu instid0(VALU_DEP_1) | instskip(NEXT) | instid1(VALU_DEP_1)
	v_fma_f64 v[33:34], v[31:32], v[33:34], s[12:13]
	;; [unrolled: 3-line block ×5, first 2 shown]
	v_fma_f64 v[33:34], v[31:32], v[33:34], 1.0
	s_delay_alu instid0(VALU_DEP_1) | instskip(NEXT) | instid1(VALU_DEP_1)
	v_fma_f64 v[31:32], v[31:32], v[33:34], 1.0
	v_ldexp_f64 v[29:30], v[31:32], v1
	s_delay_alu instid0(VALU_DEP_1) | instskip(SKIP_1) | instid1(VALU_DEP_2)
	v_cndmask_b32_e32 v1, 0x7ff00000, v30, vcc_lo
	s_and_b32 vcc_lo, s0, vcc_lo
	v_cndmask_b32_e32 v27, 0, v29, vcc_lo
	v_add_co_u32 v19, vcc_lo, s10, v19
	s_delay_alu instid0(VALU_DEP_3) | instskip(SKIP_2) | instid1(VALU_DEP_3)
	v_cndmask_b32_e64 v28, 0, v1, s0
	v_add_co_ci_u32_e32 v20, vcc_lo, s11, v20, vcc_lo
	v_add_co_u32 v17, vcc_lo, s16, v17
	v_mul_f64 v[25:26], v[25:26], v[27:28]
	v_add_co_ci_u32_e32 v18, vcc_lo, s17, v18, vcc_lo
	v_add_nc_u32_e32 v1, s1, v0
	s_delay_alu instid0(VALU_DEP_3)
	v_mul_f64 v[23:24], v[23:24], v[25:26]
	global_store_b64 v[21:22], v[23:24], off
	global_load_b64 v[21:22], v[19:20], off
	global_load_b64 v[23:24], v[17:18], off
	v_lshlrev_b64 v[17:18], 3, v[1:2]
	s_waitcnt vmcnt(1)
	v_mul_f64 v[21:22], v[21:22], v[25:26]
	global_store_b64 v[19:20], v[21:22], off
	v_add_co_u32 v19, vcc_lo, s8, v17
	v_add_co_ci_u32_e32 v20, vcc_lo, s9, v18, vcc_lo
	global_load_b64 v[21:22], v[19:20], off
	s_waitcnt vmcnt(0)
	v_div_scale_f64 v[25:26], null, v[21:22], v[21:22], 1.0
	s_delay_alu instid0(VALU_DEP_1) | instskip(SKIP_2) | instid1(VALU_DEP_1)
	v_rcp_f64_e32 v[27:28], v[25:26]
	s_waitcnt_depctr 0xfff
	v_fma_f64 v[29:30], -v[25:26], v[27:28], 1.0
	v_fma_f64 v[27:28], v[27:28], v[29:30], v[27:28]
	s_delay_alu instid0(VALU_DEP_1) | instskip(NEXT) | instid1(VALU_DEP_1)
	v_fma_f64 v[29:30], -v[25:26], v[27:28], 1.0
	v_fma_f64 v[27:28], v[27:28], v[29:30], v[27:28]
	v_div_scale_f64 v[29:30], vcc_lo, 1.0, v[21:22], 1.0
	s_delay_alu instid0(VALU_DEP_1) | instskip(NEXT) | instid1(VALU_DEP_1)
	v_mul_f64 v[31:32], v[29:30], v[27:28]
	v_fma_f64 v[25:26], -v[25:26], v[31:32], v[29:30]
	s_delay_alu instid0(VALU_DEP_1) | instskip(NEXT) | instid1(VALU_DEP_1)
	v_div_fmas_f64 v[25:26], v[25:26], v[27:28], v[31:32]
	v_div_fixup_f64 v[25:26], v[25:26], v[21:22], 1.0
	s_delay_alu instid0(VALU_DEP_1) | instskip(NEXT) | instid1(VALU_DEP_1)
	v_mul_f64 v[25:26], v[11:12], v[25:26]
	v_mul_f64 v[27:28], v[23:24], v[25:26]
	v_fma_f64 v[23:24], v[23:24], v[25:26], 1.0
	s_delay_alu instid0(VALU_DEP_1) | instskip(NEXT) | instid1(VALU_DEP_1)
	v_div_scale_f64 v[25:26], null, v[23:24], v[23:24], 1.0
	v_rcp_f64_e32 v[29:30], v[25:26]
	s_waitcnt_depctr 0xfff
	v_fma_f64 v[31:32], -v[25:26], v[29:30], 1.0
	s_delay_alu instid0(VALU_DEP_1) | instskip(NEXT) | instid1(VALU_DEP_1)
	v_fma_f64 v[29:30], v[29:30], v[31:32], v[29:30]
	v_fma_f64 v[31:32], -v[25:26], v[29:30], 1.0
	s_delay_alu instid0(VALU_DEP_1) | instskip(SKIP_1) | instid1(VALU_DEP_1)
	v_fma_f64 v[29:30], v[29:30], v[31:32], v[29:30]
	v_div_scale_f64 v[31:32], vcc_lo, 1.0, v[23:24], 1.0
	v_mul_f64 v[33:34], v[31:32], v[29:30]
	s_delay_alu instid0(VALU_DEP_1) | instskip(NEXT) | instid1(VALU_DEP_1)
	v_fma_f64 v[25:26], -v[25:26], v[33:34], v[31:32]
	v_div_fmas_f64 v[25:26], v[25:26], v[29:30], v[33:34]
	v_mov_b32_e32 v29, v2
	s_delay_alu instid0(VALU_DEP_2) | instskip(SKIP_1) | instid1(VALU_DEP_2)
	v_div_fixup_f64 v[23:24], v[25:26], v[23:24], 1.0
	v_max_f64 v[25:26], 0x38100000, v[27:28]
	v_mul_f64 v[23:24], v[27:28], v[23:24]
	s_delay_alu instid0(VALU_DEP_2) | instskip(SKIP_1) | instid1(VALU_DEP_2)
	v_frexp_mant_f64_e32 v[27:28], v[25:26]
	v_frexp_exp_i32_f64_e32 v0, v[25:26]
	v_cmp_gt_f64_e32 vcc_lo, s[52:53], v[27:28]
	v_cndmask_b32_e64 v30, 0x3ff00000, 2.0, vcc_lo
	s_delay_alu instid0(VALU_DEP_3) | instskip(SKIP_1) | instid1(VALU_DEP_3)
	v_subrev_co_ci_u32_e32 v0, vcc_lo, 0, v0, vcc_lo
	v_cmp_eq_f64_e32 vcc_lo, 0x7ff00000, v[25:26]
	v_mul_f64 v[27:28], v[27:28], v[29:30]
	s_delay_alu instid0(VALU_DEP_1) | instskip(SKIP_1) | instid1(VALU_DEP_2)
	v_add_f64 v[31:32], v[27:28], 1.0
	v_add_f64 v[29:30], v[27:28], -1.0
	v_add_f64 v[33:34], v[31:32], -1.0
	s_delay_alu instid0(VALU_DEP_1) | instskip(SKIP_3) | instid1(VALU_DEP_1)
	v_add_f64 v[27:28], v[27:28], -v[33:34]
	v_rcp_f64_e32 v[33:34], v[31:32]
	s_waitcnt_depctr 0xfff
	v_fma_f64 v[35:36], -v[31:32], v[33:34], 1.0
	v_fma_f64 v[33:34], v[35:36], v[33:34], v[33:34]
	s_delay_alu instid0(VALU_DEP_1) | instskip(NEXT) | instid1(VALU_DEP_1)
	v_fma_f64 v[35:36], -v[31:32], v[33:34], 1.0
	v_fma_f64 v[33:34], v[35:36], v[33:34], v[33:34]
	s_delay_alu instid0(VALU_DEP_1) | instskip(NEXT) | instid1(VALU_DEP_1)
	v_mul_f64 v[35:36], v[29:30], v[33:34]
	v_mul_f64 v[37:38], v[31:32], v[35:36]
	s_delay_alu instid0(VALU_DEP_1) | instskip(NEXT) | instid1(VALU_DEP_1)
	v_fma_f64 v[31:32], v[35:36], v[31:32], -v[37:38]
	v_fma_f64 v[27:28], v[35:36], v[27:28], v[31:32]
	s_delay_alu instid0(VALU_DEP_1) | instskip(NEXT) | instid1(VALU_DEP_1)
	v_add_f64 v[31:32], v[37:38], v[27:28]
	v_add_f64 v[39:40], v[29:30], -v[31:32]
	v_add_f64 v[37:38], v[31:32], -v[37:38]
	s_delay_alu instid0(VALU_DEP_2) | instskip(NEXT) | instid1(VALU_DEP_2)
	v_add_f64 v[29:30], v[29:30], -v[39:40]
	v_add_f64 v[27:28], v[37:38], -v[27:28]
	s_delay_alu instid0(VALU_DEP_2) | instskip(NEXT) | instid1(VALU_DEP_1)
	v_add_f64 v[29:30], v[29:30], -v[31:32]
	v_add_f64 v[27:28], v[27:28], v[29:30]
	s_delay_alu instid0(VALU_DEP_1) | instskip(NEXT) | instid1(VALU_DEP_1)
	v_add_f64 v[27:28], v[39:40], v[27:28]
	v_mul_f64 v[27:28], v[33:34], v[27:28]
	s_delay_alu instid0(VALU_DEP_1) | instskip(NEXT) | instid1(VALU_DEP_1)
	v_add_f64 v[29:30], v[35:36], v[27:28]
	v_add_f64 v[31:32], v[29:30], -v[35:36]
	v_ldexp_f64 v[35:36], v[29:30], 1
	s_delay_alu instid0(VALU_DEP_2) | instskip(SKIP_1) | instid1(VALU_DEP_2)
	v_add_f64 v[27:28], v[27:28], -v[31:32]
	v_mul_f64 v[31:32], v[29:30], v[29:30]
	v_ldexp_f64 v[27:28], v[27:28], 1
	s_delay_alu instid0(VALU_DEP_2) | instskip(SKIP_1) | instid1(VALU_DEP_2)
	v_fma_f64 v[33:34], v[31:32], s[50:51], s[46:47]
	v_mul_f64 v[29:30], v[29:30], v[31:32]
	v_fma_f64 v[33:34], v[31:32], v[33:34], s[38:39]
	s_delay_alu instid0(VALU_DEP_1) | instskip(NEXT) | instid1(VALU_DEP_1)
	v_fma_f64 v[33:34], v[31:32], v[33:34], s[40:41]
	v_fma_f64 v[33:34], v[31:32], v[33:34], s[42:43]
	s_delay_alu instid0(VALU_DEP_1) | instskip(NEXT) | instid1(VALU_DEP_1)
	v_fma_f64 v[33:34], v[31:32], v[33:34], s[44:45]
	v_fma_f64 v[33:34], v[31:32], v[33:34], s[48:49]
	s_delay_alu instid0(VALU_DEP_1) | instskip(NEXT) | instid1(VALU_DEP_1)
	v_mul_f64 v[29:30], v[29:30], v[33:34]
	v_add_f64 v[31:32], v[35:36], v[29:30]
	s_delay_alu instid0(VALU_DEP_1) | instskip(NEXT) | instid1(VALU_DEP_1)
	v_add_f64 v[33:34], v[31:32], -v[35:36]
	v_add_f64 v[29:30], v[29:30], -v[33:34]
	s_delay_alu instid0(VALU_DEP_1) | instskip(NEXT) | instid1(VALU_DEP_1)
	v_add_f64 v[27:28], v[27:28], v[29:30]
	v_add_f64 v[29:30], v[31:32], v[27:28]
	s_delay_alu instid0(VALU_DEP_1) | instskip(NEXT) | instid1(VALU_DEP_1)
	v_add_f64 v[31:32], v[29:30], -v[31:32]
	v_add_f64 v[27:28], v[27:28], -v[31:32]
	v_cvt_f64_i32_e32 v[31:32], v0
	s_delay_alu instid0(VALU_DEP_1) | instskip(NEXT) | instid1(VALU_DEP_1)
	v_mul_f64 v[33:34], v[31:32], s[34:35]
	v_fma_f64 v[35:36], v[31:32], s[34:35], -v[33:34]
	s_delay_alu instid0(VALU_DEP_1) | instskip(NEXT) | instid1(VALU_DEP_1)
	v_fma_f64 v[31:32], v[31:32], s[36:37], v[35:36]
	v_add_f64 v[35:36], v[33:34], v[31:32]
	s_delay_alu instid0(VALU_DEP_1) | instskip(NEXT) | instid1(VALU_DEP_1)
	v_add_f64 v[33:34], v[35:36], -v[33:34]
	v_add_f64 v[31:32], v[31:32], -v[33:34]
	v_mul_f64 v[33:34], v[29:30], s[30:31]
	s_delay_alu instid0(VALU_DEP_1) | instskip(NEXT) | instid1(VALU_DEP_1)
	v_fma_f64 v[37:38], v[29:30], s[30:31], -v[33:34]
	v_fma_f64 v[27:28], v[27:28], s[30:31], v[37:38]
	s_delay_alu instid0(VALU_DEP_1) | instskip(NEXT) | instid1(VALU_DEP_1)
	v_fma_f64 v[27:28], v[29:30], s[28:29], v[27:28]
	v_add_f64 v[29:30], v[33:34], v[27:28]
	s_delay_alu instid0(VALU_DEP_1) | instskip(NEXT) | instid1(VALU_DEP_1)
	v_add_f64 v[33:34], v[29:30], -v[33:34]
	v_add_f64 v[27:28], v[27:28], -v[33:34]
	v_add_f64 v[33:34], v[35:36], v[29:30]
	s_delay_alu instid0(VALU_DEP_1) | instskip(NEXT) | instid1(VALU_DEP_1)
	v_add_f64 v[37:38], v[33:34], -v[35:36]
	v_add_f64 v[39:40], v[33:34], -v[37:38]
	;; [unrolled: 1-line block ×3, first 2 shown]
	s_delay_alu instid0(VALU_DEP_2) | instskip(NEXT) | instid1(VALU_DEP_1)
	v_add_f64 v[35:36], v[35:36], -v[39:40]
	v_add_f64 v[29:30], v[29:30], v[35:36]
	v_add_f64 v[35:36], v[31:32], v[27:28]
	s_delay_alu instid0(VALU_DEP_1) | instskip(NEXT) | instid1(VALU_DEP_3)
	v_add_f64 v[37:38], v[35:36], -v[31:32]
	v_add_f64 v[29:30], v[35:36], v[29:30]
	s_delay_alu instid0(VALU_DEP_2) | instskip(SKIP_1) | instid1(VALU_DEP_2)
	v_add_f64 v[39:40], v[35:36], -v[37:38]
	v_add_f64 v[27:28], v[27:28], -v[37:38]
	;; [unrolled: 1-line block ×3, first 2 shown]
	s_delay_alu instid0(VALU_DEP_1) | instskip(SKIP_1) | instid1(VALU_DEP_1)
	v_add_f64 v[27:28], v[27:28], v[31:32]
	v_add_f64 v[31:32], v[33:34], v[29:30]
	v_add_f64 v[33:34], v[31:32], -v[33:34]
	s_delay_alu instid0(VALU_DEP_1) | instskip(NEXT) | instid1(VALU_DEP_1)
	v_add_f64 v[29:30], v[29:30], -v[33:34]
	v_add_f64 v[27:28], v[27:28], v[29:30]
	s_delay_alu instid0(VALU_DEP_1) | instskip(NEXT) | instid1(VALU_DEP_1)
	v_add_f64 v[27:28], v[31:32], v[27:28]
	v_dual_cndmask_b32 v26, v28, v26 :: v_dual_cndmask_b32 v25, v27, v25
	v_mul_f64 v[27:28], v[3:4], s[80:81]
	s_mov_b32 s80, 0xf0d844d0
	s_mov_b32 s81, 0x3f994af4
	s_delay_alu instid0(VALU_DEP_1) | instskip(SKIP_2) | instid1(VALU_DEP_3)
	v_mul_f64 v[29:30], v[27:28], s[58:59]
	v_cmp_nlt_f64_e32 vcc_lo, 0x40900000, v[27:28]
	v_cmp_ngt_f64_e64 s0, 0xc090cc00, v[27:28]
	v_rndne_f64_e32 v[29:30], v[29:30]
	s_delay_alu instid0(VALU_DEP_1) | instskip(SKIP_1) | instid1(VALU_DEP_2)
	v_fma_f64 v[31:32], v[29:30], s[56:57], v[27:28]
	v_cvt_i32_f64_e32 v0, v[29:30]
	v_fma_f64 v[31:32], v[29:30], s[54:55], v[31:32]
	s_delay_alu instid0(VALU_DEP_1) | instskip(NEXT) | instid1(VALU_DEP_1)
	v_fma_f64 v[33:34], v[31:32], s[4:5], s[2:3]
	v_fma_f64 v[33:34], v[31:32], v[33:34], s[6:7]
	s_delay_alu instid0(VALU_DEP_1) | instskip(NEXT) | instid1(VALU_DEP_1)
	v_fma_f64 v[33:34], v[31:32], v[33:34], s[12:13]
	;; [unrolled: 3-line block ×5, first 2 shown]
	v_fma_f64 v[33:34], v[31:32], v[33:34], 1.0
	s_delay_alu instid0(VALU_DEP_1) | instskip(NEXT) | instid1(VALU_DEP_1)
	v_fma_f64 v[31:32], v[31:32], v[33:34], 1.0
	v_ldexp_f64 v[29:30], v[31:32], v0
	s_delay_alu instid0(VALU_DEP_1) | instskip(SKIP_2) | instid1(VALU_DEP_1)
	v_mul_f64 v[29:30], v[29:30], s[80:81]
	s_mov_b32 s80, 0xa6810a7
	s_mov_b32 s81, 0xbf50a681
	v_cndmask_b32_e32 v0, 0x7ff00000, v30, vcc_lo
	s_and_b32 vcc_lo, s0, vcc_lo
	s_delay_alu instid0(VALU_DEP_2) | instskip(SKIP_1) | instid1(VALU_DEP_3)
	v_cndmask_b32_e32 v27, 0, v29, vcc_lo
	v_mul_f64 v[29:30], v[3:4], s[80:81]
	v_cndmask_b32_e64 v28, 0, v0, s0
	s_mov_b32 s80, 0x58793dd9
	s_mov_b32 s81, 0x3fef35a8
	s_delay_alu instid0(VALU_DEP_2) | instskip(SKIP_2) | instid1(VALU_DEP_3)
	v_mul_f64 v[31:32], v[29:30], s[58:59]
	v_cmp_nlt_f64_e32 vcc_lo, 0x40900000, v[29:30]
	v_cmp_ngt_f64_e64 s0, 0xc090cc00, v[29:30]
	v_rndne_f64_e32 v[31:32], v[31:32]
	s_delay_alu instid0(VALU_DEP_1) | instskip(SKIP_1) | instid1(VALU_DEP_2)
	v_fma_f64 v[33:34], v[31:32], s[56:57], v[29:30]
	v_cvt_i32_f64_e32 v0, v[31:32]
	v_fma_f64 v[33:34], v[31:32], s[54:55], v[33:34]
	s_delay_alu instid0(VALU_DEP_1) | instskip(NEXT) | instid1(VALU_DEP_1)
	v_fma_f64 v[35:36], v[33:34], s[4:5], s[2:3]
	v_fma_f64 v[35:36], v[33:34], v[35:36], s[6:7]
	s_delay_alu instid0(VALU_DEP_1) | instskip(NEXT) | instid1(VALU_DEP_1)
	v_fma_f64 v[35:36], v[33:34], v[35:36], s[12:13]
	;; [unrolled: 3-line block ×5, first 2 shown]
	v_fma_f64 v[35:36], v[33:34], v[35:36], 1.0
	s_delay_alu instid0(VALU_DEP_1) | instskip(NEXT) | instid1(VALU_DEP_1)
	v_fma_f64 v[33:34], v[33:34], v[35:36], 1.0
	v_ldexp_f64 v[31:32], v[33:34], v0
	s_delay_alu instid0(VALU_DEP_1) | instskip(SKIP_2) | instid1(VALU_DEP_1)
	v_mul_f64 v[31:32], v[31:32], s[80:81]
	s_mov_b32 s81, 0xbf80624d
	s_mov_b32 s80, 0xd2f1a9fc
	v_cndmask_b32_e32 v0, 0x7ff00000, v32, vcc_lo
	s_and_b32 vcc_lo, s0, vcc_lo
	s_delay_alu instid0(VALU_DEP_2) | instskip(NEXT) | instid1(VALU_DEP_2)
	v_cndmask_b32_e32 v29, 0, v31, vcc_lo
	v_cndmask_b32_e64 v30, 0, v0, s0
	s_delay_alu instid0(VALU_DEP_1) | instskip(SKIP_1) | instid1(VALU_DEP_1)
	v_add_f64 v[27:28], v[27:28], v[29:30]
	v_mul_f64 v[29:30], 0xc0b11600, v[13:14]
	v_mul_f64 v[31:32], v[29:30], s[58:59]
	v_cmp_nlt_f64_e32 vcc_lo, 0x40900000, v[29:30]
	v_cmp_ngt_f64_e64 s0, 0xc090cc00, v[29:30]
	s_delay_alu instid0(VALU_DEP_3) | instskip(NEXT) | instid1(VALU_DEP_1)
	v_rndne_f64_e32 v[31:32], v[31:32]
	v_fma_f64 v[33:34], v[31:32], s[56:57], v[29:30]
	v_cvt_i32_f64_e32 v0, v[31:32]
	s_delay_alu instid0(VALU_DEP_2) | instskip(NEXT) | instid1(VALU_DEP_1)
	v_fma_f64 v[33:34], v[31:32], s[54:55], v[33:34]
	v_fma_f64 v[35:36], v[33:34], s[4:5], s[2:3]
	s_delay_alu instid0(VALU_DEP_1) | instskip(NEXT) | instid1(VALU_DEP_1)
	v_fma_f64 v[35:36], v[33:34], v[35:36], s[6:7]
	v_fma_f64 v[35:36], v[33:34], v[35:36], s[12:13]
	s_delay_alu instid0(VALU_DEP_1) | instskip(NEXT) | instid1(VALU_DEP_1)
	;; [unrolled: 3-line block ×5, first 2 shown]
	v_fma_f64 v[35:36], v[33:34], v[35:36], 1.0
	v_fma_f64 v[33:34], v[33:34], v[35:36], 1.0
	s_delay_alu instid0(VALU_DEP_1) | instskip(NEXT) | instid1(VALU_DEP_1)
	v_ldexp_f64 v[31:32], v[33:34], v0
	v_cndmask_b32_e32 v0, 0x7ff00000, v32, vcc_lo
	s_and_b32 vcc_lo, s0, vcc_lo
	s_delay_alu instid0(VALU_DEP_2) | instskip(SKIP_1) | instid1(VALU_DEP_3)
	v_cndmask_b32_e32 v29, 0, v31, vcc_lo
	v_mov_b32_e32 v31, v2
	v_cndmask_b32_e64 v30, 0, v0, s0
	s_delay_alu instid0(VALU_DEP_1) | instskip(NEXT) | instid1(VALU_DEP_1)
	v_add_f64 v[27:28], v[29:30], v[27:28]
	v_max_f64 v[27:28], 0x38100000, v[27:28]
	s_delay_alu instid0(VALU_DEP_1) | instskip(SKIP_1) | instid1(VALU_DEP_2)
	v_frexp_mant_f64_e32 v[29:30], v[27:28]
	v_frexp_exp_i32_f64_e32 v0, v[27:28]
	v_cmp_gt_f64_e32 vcc_lo, s[52:53], v[29:30]
	v_cndmask_b32_e64 v32, 0x3ff00000, 2.0, vcc_lo
	s_delay_alu instid0(VALU_DEP_3) | instskip(SKIP_1) | instid1(VALU_DEP_3)
	v_subrev_co_ci_u32_e32 v0, vcc_lo, 0, v0, vcc_lo
	v_cmp_eq_f64_e32 vcc_lo, 0x7ff00000, v[27:28]
	v_mul_f64 v[29:30], v[29:30], v[31:32]
	s_delay_alu instid0(VALU_DEP_1) | instskip(SKIP_1) | instid1(VALU_DEP_2)
	v_add_f64 v[33:34], v[29:30], 1.0
	v_add_f64 v[31:32], v[29:30], -1.0
	v_add_f64 v[35:36], v[33:34], -1.0
	s_delay_alu instid0(VALU_DEP_1) | instskip(SKIP_3) | instid1(VALU_DEP_1)
	v_add_f64 v[29:30], v[29:30], -v[35:36]
	v_rcp_f64_e32 v[35:36], v[33:34]
	s_waitcnt_depctr 0xfff
	v_fma_f64 v[37:38], -v[33:34], v[35:36], 1.0
	v_fma_f64 v[35:36], v[37:38], v[35:36], v[35:36]
	s_delay_alu instid0(VALU_DEP_1) | instskip(NEXT) | instid1(VALU_DEP_1)
	v_fma_f64 v[37:38], -v[33:34], v[35:36], 1.0
	v_fma_f64 v[35:36], v[37:38], v[35:36], v[35:36]
	s_delay_alu instid0(VALU_DEP_1) | instskip(NEXT) | instid1(VALU_DEP_1)
	v_mul_f64 v[37:38], v[31:32], v[35:36]
	v_mul_f64 v[39:40], v[33:34], v[37:38]
	s_delay_alu instid0(VALU_DEP_1) | instskip(NEXT) | instid1(VALU_DEP_1)
	v_fma_f64 v[33:34], v[37:38], v[33:34], -v[39:40]
	v_fma_f64 v[29:30], v[37:38], v[29:30], v[33:34]
	s_delay_alu instid0(VALU_DEP_1) | instskip(NEXT) | instid1(VALU_DEP_1)
	v_add_f64 v[33:34], v[39:40], v[29:30]
	v_add_f64 v[41:42], v[31:32], -v[33:34]
	v_add_f64 v[39:40], v[33:34], -v[39:40]
	s_delay_alu instid0(VALU_DEP_2) | instskip(NEXT) | instid1(VALU_DEP_2)
	v_add_f64 v[31:32], v[31:32], -v[41:42]
	v_add_f64 v[29:30], v[39:40], -v[29:30]
	s_delay_alu instid0(VALU_DEP_2) | instskip(NEXT) | instid1(VALU_DEP_1)
	v_add_f64 v[31:32], v[31:32], -v[33:34]
	v_add_f64 v[29:30], v[29:30], v[31:32]
	s_delay_alu instid0(VALU_DEP_1) | instskip(NEXT) | instid1(VALU_DEP_1)
	v_add_f64 v[29:30], v[41:42], v[29:30]
	v_mul_f64 v[29:30], v[35:36], v[29:30]
	s_delay_alu instid0(VALU_DEP_1) | instskip(NEXT) | instid1(VALU_DEP_1)
	v_add_f64 v[31:32], v[37:38], v[29:30]
	v_add_f64 v[33:34], v[31:32], -v[37:38]
	v_ldexp_f64 v[37:38], v[31:32], 1
	s_delay_alu instid0(VALU_DEP_2) | instskip(SKIP_1) | instid1(VALU_DEP_2)
	v_add_f64 v[29:30], v[29:30], -v[33:34]
	v_mul_f64 v[33:34], v[31:32], v[31:32]
	v_ldexp_f64 v[29:30], v[29:30], 1
	s_delay_alu instid0(VALU_DEP_2) | instskip(SKIP_1) | instid1(VALU_DEP_2)
	v_fma_f64 v[35:36], v[33:34], s[50:51], s[46:47]
	v_mul_f64 v[31:32], v[31:32], v[33:34]
	v_fma_f64 v[35:36], v[33:34], v[35:36], s[38:39]
	s_delay_alu instid0(VALU_DEP_1) | instskip(NEXT) | instid1(VALU_DEP_1)
	v_fma_f64 v[35:36], v[33:34], v[35:36], s[40:41]
	v_fma_f64 v[35:36], v[33:34], v[35:36], s[42:43]
	s_delay_alu instid0(VALU_DEP_1) | instskip(NEXT) | instid1(VALU_DEP_1)
	v_fma_f64 v[35:36], v[33:34], v[35:36], s[44:45]
	v_fma_f64 v[35:36], v[33:34], v[35:36], s[48:49]
	s_delay_alu instid0(VALU_DEP_1) | instskip(NEXT) | instid1(VALU_DEP_1)
	v_mul_f64 v[31:32], v[31:32], v[35:36]
	v_add_f64 v[33:34], v[37:38], v[31:32]
	s_delay_alu instid0(VALU_DEP_1) | instskip(NEXT) | instid1(VALU_DEP_1)
	v_add_f64 v[35:36], v[33:34], -v[37:38]
	v_add_f64 v[31:32], v[31:32], -v[35:36]
	s_delay_alu instid0(VALU_DEP_1) | instskip(NEXT) | instid1(VALU_DEP_1)
	v_add_f64 v[29:30], v[29:30], v[31:32]
	v_add_f64 v[31:32], v[33:34], v[29:30]
	s_delay_alu instid0(VALU_DEP_1) | instskip(NEXT) | instid1(VALU_DEP_1)
	v_add_f64 v[33:34], v[31:32], -v[33:34]
	v_add_f64 v[29:30], v[29:30], -v[33:34]
	v_cvt_f64_i32_e32 v[33:34], v0
	s_delay_alu instid0(VALU_DEP_1) | instskip(NEXT) | instid1(VALU_DEP_1)
	v_mul_f64 v[35:36], v[33:34], s[34:35]
	v_fma_f64 v[37:38], v[33:34], s[34:35], -v[35:36]
	s_delay_alu instid0(VALU_DEP_1) | instskip(NEXT) | instid1(VALU_DEP_1)
	v_fma_f64 v[33:34], v[33:34], s[36:37], v[37:38]
	v_add_f64 v[37:38], v[35:36], v[33:34]
	s_delay_alu instid0(VALU_DEP_1) | instskip(NEXT) | instid1(VALU_DEP_1)
	v_add_f64 v[35:36], v[37:38], -v[35:36]
	v_add_f64 v[33:34], v[33:34], -v[35:36]
	v_mul_f64 v[35:36], v[31:32], s[30:31]
	s_delay_alu instid0(VALU_DEP_1) | instskip(NEXT) | instid1(VALU_DEP_1)
	v_fma_f64 v[39:40], v[31:32], s[30:31], -v[35:36]
	v_fma_f64 v[29:30], v[29:30], s[30:31], v[39:40]
	s_delay_alu instid0(VALU_DEP_1) | instskip(NEXT) | instid1(VALU_DEP_1)
	v_fma_f64 v[29:30], v[31:32], s[28:29], v[29:30]
	v_add_f64 v[31:32], v[35:36], v[29:30]
	s_delay_alu instid0(VALU_DEP_1) | instskip(NEXT) | instid1(VALU_DEP_1)
	v_add_f64 v[35:36], v[31:32], -v[35:36]
	v_add_f64 v[29:30], v[29:30], -v[35:36]
	v_add_f64 v[35:36], v[37:38], v[31:32]
	s_delay_alu instid0(VALU_DEP_1) | instskip(NEXT) | instid1(VALU_DEP_1)
	v_add_f64 v[39:40], v[35:36], -v[37:38]
	v_add_f64 v[41:42], v[35:36], -v[39:40]
	v_add_f64 v[31:32], v[31:32], -v[39:40]
	s_delay_alu instid0(VALU_DEP_2) | instskip(NEXT) | instid1(VALU_DEP_1)
	v_add_f64 v[37:38], v[37:38], -v[41:42]
	v_add_f64 v[31:32], v[31:32], v[37:38]
	v_add_f64 v[37:38], v[33:34], v[29:30]
	s_delay_alu instid0(VALU_DEP_1) | instskip(NEXT) | instid1(VALU_DEP_3)
	v_add_f64 v[39:40], v[37:38], -v[33:34]
	v_add_f64 v[31:32], v[37:38], v[31:32]
	s_delay_alu instid0(VALU_DEP_2) | instskip(SKIP_1) | instid1(VALU_DEP_2)
	v_add_f64 v[41:42], v[37:38], -v[39:40]
	v_add_f64 v[29:30], v[29:30], -v[39:40]
	;; [unrolled: 1-line block ×3, first 2 shown]
	s_delay_alu instid0(VALU_DEP_1) | instskip(SKIP_1) | instid1(VALU_DEP_1)
	v_add_f64 v[29:30], v[29:30], v[33:34]
	v_add_f64 v[33:34], v[35:36], v[31:32]
	v_add_f64 v[35:36], v[33:34], -v[35:36]
	s_delay_alu instid0(VALU_DEP_1) | instskip(NEXT) | instid1(VALU_DEP_1)
	v_add_f64 v[31:32], v[31:32], -v[35:36]
	v_add_f64 v[29:30], v[29:30], v[31:32]
	s_delay_alu instid0(VALU_DEP_1) | instskip(NEXT) | instid1(VALU_DEP_1)
	v_add_f64 v[29:30], v[33:34], v[29:30]
	v_dual_cndmask_b32 v28, v30, v28 :: v_dual_cndmask_b32 v27, v29, v27
	s_delay_alu instid0(VALU_DEP_1) | instskip(SKIP_1) | instid1(VALU_DEP_2)
	v_fma_f64 v[31:32], v[27:28], s[74:75], s[72:73]
	v_fma_f64 v[29:30], v[27:28], s[64:65], 0x3fe80000
	v_add_f64 v[25:26], v[25:26], -v[31:32]
	s_delay_alu instid0(VALU_DEP_1) | instskip(NEXT) | instid1(VALU_DEP_1)
	v_fma_f64 v[29:30], v[25:26], s[76:77], v[29:30]
	v_div_scale_f64 v[31:32], null, v[29:30], v[29:30], 1.0
	s_delay_alu instid0(VALU_DEP_1) | instskip(SKIP_2) | instid1(VALU_DEP_1)
	v_rcp_f64_e32 v[33:34], v[31:32]
	s_waitcnt_depctr 0xfff
	v_fma_f64 v[35:36], -v[31:32], v[33:34], 1.0
	v_fma_f64 v[33:34], v[33:34], v[35:36], v[33:34]
	s_delay_alu instid0(VALU_DEP_1) | instskip(NEXT) | instid1(VALU_DEP_1)
	v_fma_f64 v[35:36], -v[31:32], v[33:34], 1.0
	v_fma_f64 v[33:34], v[33:34], v[35:36], v[33:34]
	v_div_scale_f64 v[35:36], vcc_lo, 1.0, v[29:30], 1.0
	s_delay_alu instid0(VALU_DEP_1) | instskip(NEXT) | instid1(VALU_DEP_1)
	v_mul_f64 v[37:38], v[35:36], v[33:34]
	v_fma_f64 v[31:32], -v[31:32], v[37:38], v[35:36]
	s_delay_alu instid0(VALU_DEP_1) | instskip(NEXT) | instid1(VALU_DEP_1)
	v_div_fmas_f64 v[31:32], v[31:32], v[33:34], v[37:38]
	v_div_fixup_f64 v[29:30], v[31:32], v[29:30], 1.0
	s_delay_alu instid0(VALU_DEP_1) | instskip(NEXT) | instid1(VALU_DEP_1)
	v_mul_f64 v[25:26], v[25:26], v[29:30]
	v_fma_f64 v[25:26], v[25:26], v[25:26], 1.0
	s_delay_alu instid0(VALU_DEP_1) | instskip(NEXT) | instid1(VALU_DEP_1)
	v_div_scale_f64 v[29:30], null, v[25:26], v[25:26], 1.0
	v_rcp_f64_e32 v[31:32], v[29:30]
	s_waitcnt_depctr 0xfff
	v_fma_f64 v[33:34], -v[29:30], v[31:32], 1.0
	s_delay_alu instid0(VALU_DEP_1) | instskip(NEXT) | instid1(VALU_DEP_1)
	v_fma_f64 v[31:32], v[31:32], v[33:34], v[31:32]
	v_fma_f64 v[33:34], -v[29:30], v[31:32], 1.0
	s_delay_alu instid0(VALU_DEP_1) | instskip(SKIP_1) | instid1(VALU_DEP_1)
	v_fma_f64 v[31:32], v[31:32], v[33:34], v[31:32]
	v_div_scale_f64 v[33:34], vcc_lo, 1.0, v[25:26], 1.0
	v_mul_f64 v[35:36], v[33:34], v[31:32]
	s_delay_alu instid0(VALU_DEP_1) | instskip(NEXT) | instid1(VALU_DEP_1)
	v_fma_f64 v[29:30], -v[29:30], v[35:36], v[33:34]
	v_div_fmas_f64 v[29:30], v[29:30], v[31:32], v[35:36]
	s_delay_alu instid0(VALU_DEP_1) | instskip(NEXT) | instid1(VALU_DEP_1)
	v_div_fixup_f64 v[25:26], v[29:30], v[25:26], 1.0
	v_mul_f64 v[25:26], v[27:28], v[25:26]
	s_delay_alu instid0(VALU_DEP_1) | instskip(SKIP_2) | instid1(VALU_DEP_3)
	v_mul_f64 v[27:28], v[25:26], s[60:61]
	v_cmp_nlt_f64_e32 vcc_lo, 0x40900000, v[25:26]
	v_cmp_ngt_f64_e64 s0, 0xc090cc00, v[25:26]
	v_rndne_f64_e32 v[27:28], v[27:28]
	s_delay_alu instid0(VALU_DEP_1) | instskip(SKIP_1) | instid1(VALU_DEP_2)
	v_fma_f64 v[29:30], v[27:28], s[66:67], v[25:26]
	v_cvt_i32_f64_e32 v0, v[27:28]
	v_fma_f64 v[29:30], v[27:28], s[62:63], v[29:30]
	s_delay_alu instid0(VALU_DEP_1) | instskip(NEXT) | instid1(VALU_DEP_1)
	v_mul_f64 v[31:32], v[29:30], s[68:69]
	v_fma_f64 v[29:30], v[29:30], s[70:71], v[31:32]
	s_delay_alu instid0(VALU_DEP_1) | instskip(NEXT) | instid1(VALU_DEP_1)
	v_fma_f64 v[31:32], v[29:30], s[4:5], s[2:3]
	v_fma_f64 v[31:32], v[29:30], v[31:32], s[6:7]
	s_delay_alu instid0(VALU_DEP_1) | instskip(NEXT) | instid1(VALU_DEP_1)
	v_fma_f64 v[31:32], v[29:30], v[31:32], s[12:13]
	;; [unrolled: 3-line block ×5, first 2 shown]
	v_fma_f64 v[31:32], v[29:30], v[31:32], 1.0
	s_delay_alu instid0(VALU_DEP_1) | instskip(NEXT) | instid1(VALU_DEP_1)
	v_fma_f64 v[29:30], v[29:30], v[31:32], 1.0
	v_ldexp_f64 v[27:28], v[29:30], v0
	s_delay_alu instid0(VALU_DEP_1) | instskip(SKIP_1) | instid1(VALU_DEP_2)
	v_cndmask_b32_e32 v0, 0x7ff00000, v28, vcc_lo
	s_and_b32 vcc_lo, s0, vcc_lo
	v_cndmask_b32_e32 v25, 0, v27, vcc_lo
	v_add_co_u32 v17, vcc_lo, s10, v17
	s_delay_alu instid0(VALU_DEP_3) | instskip(SKIP_2) | instid1(VALU_DEP_3)
	v_cndmask_b32_e64 v26, 0, v0, s0
	v_add_co_ci_u32_e32 v18, vcc_lo, s11, v18, vcc_lo
	v_add_co_u32 v15, vcc_lo, s16, v15
	v_mul_f64 v[23:24], v[23:24], v[25:26]
	v_add_co_ci_u32_e32 v16, vcc_lo, s17, v16, vcc_lo
	s_delay_alu instid0(VALU_DEP_2)
	v_mul_f64 v[21:22], v[21:22], v[23:24]
	global_store_b64 v[19:20], v[21:22], off
	global_load_b64 v[19:20], v[17:18], off
	s_waitcnt vmcnt(0)
	v_mul_f64 v[19:20], v[19:20], v[23:24]
	global_store_b64 v[17:18], v[19:20], off
	global_load_b64 v[20:21], v[15:16], off
	v_mad_u64_u32 v[15:16], null, s1, 14, v[1:2]
	v_mov_b32_e32 v16, v2
	s_delay_alu instid0(VALU_DEP_1) | instskip(NEXT) | instid1(VALU_DEP_1)
	v_lshlrev_b64 v[0:1], 3, v[15:16]
	v_add_co_u32 v16, vcc_lo, s8, v0
	s_delay_alu instid0(VALU_DEP_2) | instskip(SKIP_3) | instid1(VALU_DEP_1)
	v_add_co_ci_u32_e32 v17, vcc_lo, s9, v1, vcc_lo
	global_load_b64 v[18:19], v[16:17], off
	s_waitcnt vmcnt(0)
	v_div_scale_f64 v[22:23], null, v[18:19], v[18:19], 1.0
	v_rcp_f64_e32 v[24:25], v[22:23]
	s_waitcnt_depctr 0xfff
	v_fma_f64 v[26:27], -v[22:23], v[24:25], 1.0
	s_delay_alu instid0(VALU_DEP_1) | instskip(NEXT) | instid1(VALU_DEP_1)
	v_fma_f64 v[24:25], v[24:25], v[26:27], v[24:25]
	v_fma_f64 v[26:27], -v[22:23], v[24:25], 1.0
	s_delay_alu instid0(VALU_DEP_1) | instskip(SKIP_1) | instid1(VALU_DEP_1)
	v_fma_f64 v[24:25], v[24:25], v[26:27], v[24:25]
	v_div_scale_f64 v[26:27], vcc_lo, 1.0, v[18:19], 1.0
	v_mul_f64 v[28:29], v[26:27], v[24:25]
	s_delay_alu instid0(VALU_DEP_1) | instskip(NEXT) | instid1(VALU_DEP_1)
	v_fma_f64 v[22:23], -v[22:23], v[28:29], v[26:27]
	v_div_fmas_f64 v[22:23], v[22:23], v[24:25], v[28:29]
	s_delay_alu instid0(VALU_DEP_1) | instskip(NEXT) | instid1(VALU_DEP_1)
	v_div_fixup_f64 v[22:23], v[22:23], v[18:19], 1.0
	v_mul_f64 v[22:23], v[11:12], v[22:23]
	s_delay_alu instid0(VALU_DEP_1) | instskip(SKIP_1) | instid1(VALU_DEP_1)
	v_mul_f64 v[24:25], v[20:21], v[22:23]
	v_fma_f64 v[20:21], v[20:21], v[22:23], 1.0
	v_div_scale_f64 v[22:23], null, v[20:21], v[20:21], 1.0
	s_delay_alu instid0(VALU_DEP_1) | instskip(SKIP_2) | instid1(VALU_DEP_1)
	v_rcp_f64_e32 v[26:27], v[22:23]
	s_waitcnt_depctr 0xfff
	v_fma_f64 v[28:29], -v[22:23], v[26:27], 1.0
	v_fma_f64 v[26:27], v[26:27], v[28:29], v[26:27]
	s_delay_alu instid0(VALU_DEP_1) | instskip(NEXT) | instid1(VALU_DEP_1)
	v_fma_f64 v[28:29], -v[22:23], v[26:27], 1.0
	v_fma_f64 v[26:27], v[26:27], v[28:29], v[26:27]
	v_div_scale_f64 v[28:29], vcc_lo, 1.0, v[20:21], 1.0
	s_delay_alu instid0(VALU_DEP_1) | instskip(NEXT) | instid1(VALU_DEP_1)
	v_mul_f64 v[30:31], v[28:29], v[26:27]
	v_fma_f64 v[22:23], -v[22:23], v[30:31], v[28:29]
	s_delay_alu instid0(VALU_DEP_1) | instskip(SKIP_1) | instid1(VALU_DEP_2)
	v_div_fmas_f64 v[22:23], v[22:23], v[26:27], v[30:31]
	v_mov_b32_e32 v26, v2
	v_div_fixup_f64 v[20:21], v[22:23], v[20:21], 1.0
	v_max_f64 v[22:23], 0x38100000, v[24:25]
	s_delay_alu instid0(VALU_DEP_2) | instskip(NEXT) | instid1(VALU_DEP_2)
	v_mul_f64 v[20:21], v[24:25], v[20:21]
	v_frexp_mant_f64_e32 v[24:25], v[22:23]
	v_frexp_exp_i32_f64_e32 v28, v[22:23]
	s_delay_alu instid0(VALU_DEP_2) | instskip(SKIP_1) | instid1(VALU_DEP_3)
	v_cmp_gt_f64_e32 vcc_lo, s[52:53], v[24:25]
	v_cndmask_b32_e64 v27, 0x3ff00000, 2.0, vcc_lo
	v_subrev_co_ci_u32_e32 v38, vcc_lo, 0, v28, vcc_lo
	v_cmp_eq_f64_e32 vcc_lo, 0x7ff00000, v[22:23]
	s_delay_alu instid0(VALU_DEP_3) | instskip(NEXT) | instid1(VALU_DEP_1)
	v_mul_f64 v[24:25], v[24:25], v[26:27]
	v_add_f64 v[28:29], v[24:25], 1.0
	v_add_f64 v[26:27], v[24:25], -1.0
	s_delay_alu instid0(VALU_DEP_2) | instskip(NEXT) | instid1(VALU_DEP_1)
	v_add_f64 v[30:31], v[28:29], -1.0
	v_add_f64 v[24:25], v[24:25], -v[30:31]
	v_rcp_f64_e32 v[30:31], v[28:29]
	s_waitcnt_depctr 0xfff
	v_fma_f64 v[32:33], -v[28:29], v[30:31], 1.0
	s_delay_alu instid0(VALU_DEP_1) | instskip(NEXT) | instid1(VALU_DEP_1)
	v_fma_f64 v[30:31], v[32:33], v[30:31], v[30:31]
	v_fma_f64 v[32:33], -v[28:29], v[30:31], 1.0
	s_delay_alu instid0(VALU_DEP_1) | instskip(NEXT) | instid1(VALU_DEP_1)
	v_fma_f64 v[30:31], v[32:33], v[30:31], v[30:31]
	v_mul_f64 v[32:33], v[26:27], v[30:31]
	s_delay_alu instid0(VALU_DEP_1) | instskip(NEXT) | instid1(VALU_DEP_1)
	v_mul_f64 v[34:35], v[28:29], v[32:33]
	v_fma_f64 v[28:29], v[32:33], v[28:29], -v[34:35]
	s_delay_alu instid0(VALU_DEP_1) | instskip(NEXT) | instid1(VALU_DEP_1)
	v_fma_f64 v[24:25], v[32:33], v[24:25], v[28:29]
	v_add_f64 v[28:29], v[34:35], v[24:25]
	s_delay_alu instid0(VALU_DEP_1) | instskip(SKIP_1) | instid1(VALU_DEP_2)
	v_add_f64 v[36:37], v[26:27], -v[28:29]
	v_add_f64 v[34:35], v[28:29], -v[34:35]
	;; [unrolled: 1-line block ×3, first 2 shown]
	s_delay_alu instid0(VALU_DEP_2) | instskip(NEXT) | instid1(VALU_DEP_2)
	v_add_f64 v[24:25], v[34:35], -v[24:25]
	v_add_f64 v[26:27], v[26:27], -v[28:29]
	s_delay_alu instid0(VALU_DEP_1) | instskip(NEXT) | instid1(VALU_DEP_1)
	v_add_f64 v[24:25], v[24:25], v[26:27]
	v_add_f64 v[24:25], v[36:37], v[24:25]
	s_delay_alu instid0(VALU_DEP_1) | instskip(NEXT) | instid1(VALU_DEP_1)
	v_mul_f64 v[24:25], v[30:31], v[24:25]
	v_add_f64 v[26:27], v[32:33], v[24:25]
	s_delay_alu instid0(VALU_DEP_1) | instskip(SKIP_1) | instid1(VALU_DEP_2)
	v_add_f64 v[28:29], v[26:27], -v[32:33]
	v_ldexp_f64 v[32:33], v[26:27], 1
	v_add_f64 v[24:25], v[24:25], -v[28:29]
	v_mul_f64 v[28:29], v[26:27], v[26:27]
	s_delay_alu instid0(VALU_DEP_2) | instskip(NEXT) | instid1(VALU_DEP_2)
	v_ldexp_f64 v[24:25], v[24:25], 1
	v_fma_f64 v[30:31], v[28:29], s[50:51], s[46:47]
	v_mul_f64 v[26:27], v[26:27], v[28:29]
	s_delay_alu instid0(VALU_DEP_2) | instskip(NEXT) | instid1(VALU_DEP_1)
	v_fma_f64 v[30:31], v[28:29], v[30:31], s[38:39]
	v_fma_f64 v[30:31], v[28:29], v[30:31], s[40:41]
	s_delay_alu instid0(VALU_DEP_1) | instskip(NEXT) | instid1(VALU_DEP_1)
	v_fma_f64 v[30:31], v[28:29], v[30:31], s[42:43]
	v_fma_f64 v[30:31], v[28:29], v[30:31], s[44:45]
	s_delay_alu instid0(VALU_DEP_1) | instskip(NEXT) | instid1(VALU_DEP_1)
	v_fma_f64 v[30:31], v[28:29], v[30:31], s[48:49]
	v_mul_f64 v[26:27], v[26:27], v[30:31]
	s_delay_alu instid0(VALU_DEP_1) | instskip(NEXT) | instid1(VALU_DEP_1)
	v_add_f64 v[28:29], v[32:33], v[26:27]
	v_add_f64 v[30:31], v[28:29], -v[32:33]
	s_delay_alu instid0(VALU_DEP_1) | instskip(NEXT) | instid1(VALU_DEP_1)
	v_add_f64 v[26:27], v[26:27], -v[30:31]
	v_add_f64 v[24:25], v[24:25], v[26:27]
	s_delay_alu instid0(VALU_DEP_1) | instskip(NEXT) | instid1(VALU_DEP_1)
	v_add_f64 v[26:27], v[28:29], v[24:25]
	v_add_f64 v[28:29], v[26:27], -v[28:29]
	s_delay_alu instid0(VALU_DEP_1) | instskip(SKIP_1) | instid1(VALU_DEP_1)
	v_add_f64 v[24:25], v[24:25], -v[28:29]
	v_cvt_f64_i32_e32 v[28:29], v38
	v_mul_f64 v[30:31], v[28:29], s[34:35]
	s_delay_alu instid0(VALU_DEP_1) | instskip(NEXT) | instid1(VALU_DEP_1)
	v_fma_f64 v[32:33], v[28:29], s[34:35], -v[30:31]
	v_fma_f64 v[28:29], v[28:29], s[36:37], v[32:33]
	s_delay_alu instid0(VALU_DEP_1) | instskip(NEXT) | instid1(VALU_DEP_1)
	v_add_f64 v[32:33], v[30:31], v[28:29]
	v_add_f64 v[30:31], v[32:33], -v[30:31]
	s_delay_alu instid0(VALU_DEP_1) | instskip(SKIP_1) | instid1(VALU_DEP_1)
	v_add_f64 v[28:29], v[28:29], -v[30:31]
	v_mul_f64 v[30:31], v[26:27], s[30:31]
	v_fma_f64 v[34:35], v[26:27], s[30:31], -v[30:31]
	s_delay_alu instid0(VALU_DEP_1) | instskip(NEXT) | instid1(VALU_DEP_1)
	v_fma_f64 v[24:25], v[24:25], s[30:31], v[34:35]
	v_fma_f64 v[24:25], v[26:27], s[28:29], v[24:25]
	s_delay_alu instid0(VALU_DEP_1) | instskip(NEXT) | instid1(VALU_DEP_1)
	v_add_f64 v[26:27], v[30:31], v[24:25]
	v_add_f64 v[30:31], v[26:27], -v[30:31]
	s_delay_alu instid0(VALU_DEP_1) | instskip(SKIP_1) | instid1(VALU_DEP_1)
	v_add_f64 v[24:25], v[24:25], -v[30:31]
	v_add_f64 v[30:31], v[32:33], v[26:27]
	v_add_f64 v[34:35], v[30:31], -v[32:33]
	s_delay_alu instid0(VALU_DEP_1) | instskip(SKIP_1) | instid1(VALU_DEP_2)
	v_add_f64 v[36:37], v[30:31], -v[34:35]
	v_add_f64 v[26:27], v[26:27], -v[34:35]
	;; [unrolled: 1-line block ×3, first 2 shown]
	s_delay_alu instid0(VALU_DEP_1) | instskip(SKIP_1) | instid1(VALU_DEP_1)
	v_add_f64 v[26:27], v[26:27], v[32:33]
	v_add_f64 v[32:33], v[28:29], v[24:25]
	v_add_f64 v[34:35], v[32:33], -v[28:29]
	s_delay_alu instid0(VALU_DEP_3) | instskip(NEXT) | instid1(VALU_DEP_2)
	v_add_f64 v[26:27], v[32:33], v[26:27]
	v_add_f64 v[36:37], v[32:33], -v[34:35]
	v_add_f64 v[24:25], v[24:25], -v[34:35]
	s_delay_alu instid0(VALU_DEP_2) | instskip(NEXT) | instid1(VALU_DEP_1)
	v_add_f64 v[28:29], v[28:29], -v[36:37]
	v_add_f64 v[24:25], v[24:25], v[28:29]
	v_add_f64 v[28:29], v[30:31], v[26:27]
	s_delay_alu instid0(VALU_DEP_1) | instskip(NEXT) | instid1(VALU_DEP_1)
	v_add_f64 v[30:31], v[28:29], -v[30:31]
	v_add_f64 v[26:27], v[26:27], -v[30:31]
	s_delay_alu instid0(VALU_DEP_1) | instskip(NEXT) | instid1(VALU_DEP_1)
	v_add_f64 v[24:25], v[24:25], v[26:27]
	v_add_f64 v[24:25], v[28:29], v[24:25]
	s_delay_alu instid0(VALU_DEP_1) | instskip(SKIP_2) | instid1(VALU_DEP_1)
	v_dual_cndmask_b32 v23, v25, v23 :: v_dual_cndmask_b32 v22, v24, v22
	v_mul_f64 v[24:25], v[3:4], s[80:81]
	s_mov_b32 s81, 0xbf50624d
	v_mul_f64 v[26:27], v[24:25], s[58:59]
	v_cmp_nlt_f64_e32 vcc_lo, 0x40900000, v[24:25]
	v_cmp_ngt_f64_e64 s0, 0xc090cc00, v[24:25]
	s_delay_alu instid0(VALU_DEP_3) | instskip(NEXT) | instid1(VALU_DEP_1)
	v_rndne_f64_e32 v[26:27], v[26:27]
	v_fma_f64 v[28:29], v[26:27], s[56:57], v[24:25]
	s_delay_alu instid0(VALU_DEP_1) | instskip(SKIP_1) | instid1(VALU_DEP_2)
	v_fma_f64 v[28:29], v[26:27], s[54:55], v[28:29]
	v_cvt_i32_f64_e32 v26, v[26:27]
	v_fma_f64 v[30:31], v[28:29], s[4:5], s[2:3]
	s_delay_alu instid0(VALU_DEP_1) | instskip(NEXT) | instid1(VALU_DEP_1)
	v_fma_f64 v[30:31], v[28:29], v[30:31], s[6:7]
	v_fma_f64 v[30:31], v[28:29], v[30:31], s[12:13]
	s_delay_alu instid0(VALU_DEP_1) | instskip(NEXT) | instid1(VALU_DEP_1)
	v_fma_f64 v[30:31], v[28:29], v[30:31], s[14:15]
	;; [unrolled: 3-line block ×4, first 2 shown]
	v_fma_f64 v[30:31], v[28:29], v[30:31], s[26:27]
	s_delay_alu instid0(VALU_DEP_1) | instskip(NEXT) | instid1(VALU_DEP_1)
	v_fma_f64 v[30:31], v[28:29], v[30:31], 1.0
	v_fma_f64 v[28:29], v[28:29], v[30:31], 1.0
	s_delay_alu instid0(VALU_DEP_1) | instskip(NEXT) | instid1(VALU_DEP_1)
	v_ldexp_f64 v[26:27], v[28:29], v26
	v_mul_f64 v[26:27], v[26:27], s[82:83]
	s_mov_b32 s82, 0xd19f527d
	s_mov_b32 s83, 0xbf3d88b5
	s_delay_alu instid0(VALU_DEP_1) | instskip(SKIP_1) | instid1(VALU_DEP_2)
	v_cndmask_b32_e32 v27, 0x7ff00000, v27, vcc_lo
	s_and_b32 vcc_lo, s0, vcc_lo
	v_cndmask_b32_e32 v24, 0, v26, vcc_lo
	s_delay_alu instid0(VALU_DEP_2) | instskip(SKIP_3) | instid1(VALU_DEP_1)
	v_cndmask_b32_e64 v25, 0, v27, s0
	v_mul_f64 v[26:27], v[3:4], s[82:83]
	s_mov_b32 s82, 0x6a161e4f
	s_mov_b32 s83, 0x3feaf34d
	v_mul_f64 v[28:29], v[26:27], s[58:59]
	v_cmp_nlt_f64_e32 vcc_lo, 0x40900000, v[26:27]
	v_cmp_ngt_f64_e64 s0, 0xc090cc00, v[26:27]
	s_delay_alu instid0(VALU_DEP_3) | instskip(NEXT) | instid1(VALU_DEP_1)
	v_rndne_f64_e32 v[28:29], v[28:29]
	v_fma_f64 v[30:31], v[28:29], s[56:57], v[26:27]
	s_delay_alu instid0(VALU_DEP_1) | instskip(SKIP_1) | instid1(VALU_DEP_2)
	v_fma_f64 v[30:31], v[28:29], s[54:55], v[30:31]
	v_cvt_i32_f64_e32 v28, v[28:29]
	v_fma_f64 v[32:33], v[30:31], s[4:5], s[2:3]
	s_delay_alu instid0(VALU_DEP_1) | instskip(NEXT) | instid1(VALU_DEP_1)
	v_fma_f64 v[32:33], v[30:31], v[32:33], s[6:7]
	v_fma_f64 v[32:33], v[30:31], v[32:33], s[12:13]
	s_delay_alu instid0(VALU_DEP_1) | instskip(NEXT) | instid1(VALU_DEP_1)
	v_fma_f64 v[32:33], v[30:31], v[32:33], s[14:15]
	;; [unrolled: 3-line block ×4, first 2 shown]
	v_fma_f64 v[32:33], v[30:31], v[32:33], s[26:27]
	s_delay_alu instid0(VALU_DEP_1) | instskip(NEXT) | instid1(VALU_DEP_1)
	v_fma_f64 v[32:33], v[30:31], v[32:33], 1.0
	v_fma_f64 v[30:31], v[30:31], v[32:33], 1.0
	s_delay_alu instid0(VALU_DEP_1) | instskip(NEXT) | instid1(VALU_DEP_1)
	v_ldexp_f64 v[28:29], v[30:31], v28
	v_mul_f64 v[28:29], v[28:29], s[82:83]
	s_delay_alu instid0(VALU_DEP_1) | instskip(SKIP_1) | instid1(VALU_DEP_2)
	v_cndmask_b32_e32 v29, 0x7ff00000, v29, vcc_lo
	s_and_b32 vcc_lo, s0, vcc_lo
	v_cndmask_b32_e32 v26, 0, v28, vcc_lo
	s_delay_alu instid0(VALU_DEP_2) | instskip(NEXT) | instid1(VALU_DEP_1)
	v_cndmask_b32_e64 v27, 0, v29, s0
	v_add_f64 v[24:25], v[24:25], v[26:27]
	v_mul_f64 v[26:27], 0xc0bae200, v[13:14]
	s_delay_alu instid0(VALU_DEP_1) | instskip(SKIP_2) | instid1(VALU_DEP_3)
	v_mul_f64 v[28:29], v[26:27], s[58:59]
	v_cmp_nlt_f64_e32 vcc_lo, 0x40900000, v[26:27]
	v_cmp_ngt_f64_e64 s0, 0xc090cc00, v[26:27]
	v_rndne_f64_e32 v[28:29], v[28:29]
	s_delay_alu instid0(VALU_DEP_1) | instskip(NEXT) | instid1(VALU_DEP_1)
	v_fma_f64 v[30:31], v[28:29], s[56:57], v[26:27]
	v_fma_f64 v[30:31], v[28:29], s[54:55], v[30:31]
	v_cvt_i32_f64_e32 v28, v[28:29]
	s_delay_alu instid0(VALU_DEP_2) | instskip(NEXT) | instid1(VALU_DEP_1)
	v_fma_f64 v[32:33], v[30:31], s[4:5], s[2:3]
	v_fma_f64 v[32:33], v[30:31], v[32:33], s[6:7]
	s_delay_alu instid0(VALU_DEP_1) | instskip(NEXT) | instid1(VALU_DEP_1)
	v_fma_f64 v[32:33], v[30:31], v[32:33], s[12:13]
	v_fma_f64 v[32:33], v[30:31], v[32:33], s[14:15]
	s_delay_alu instid0(VALU_DEP_1) | instskip(NEXT) | instid1(VALU_DEP_1)
	;; [unrolled: 3-line block ×4, first 2 shown]
	v_fma_f64 v[32:33], v[30:31], v[32:33], s[26:27]
	v_fma_f64 v[32:33], v[30:31], v[32:33], 1.0
	s_delay_alu instid0(VALU_DEP_1) | instskip(NEXT) | instid1(VALU_DEP_1)
	v_fma_f64 v[30:31], v[30:31], v[32:33], 1.0
	v_ldexp_f64 v[28:29], v[30:31], v28
	s_delay_alu instid0(VALU_DEP_1) | instskip(SKIP_1) | instid1(VALU_DEP_2)
	v_cndmask_b32_e32 v29, 0x7ff00000, v29, vcc_lo
	s_and_b32 vcc_lo, s0, vcc_lo
	v_cndmask_b32_e32 v26, 0, v28, vcc_lo
	v_mov_b32_e32 v28, v2
	s_delay_alu instid0(VALU_DEP_3) | instskip(NEXT) | instid1(VALU_DEP_1)
	v_cndmask_b32_e64 v27, 0, v29, s0
	v_add_f64 v[24:25], v[26:27], v[24:25]
	s_delay_alu instid0(VALU_DEP_1) | instskip(NEXT) | instid1(VALU_DEP_1)
	v_max_f64 v[24:25], 0x38100000, v[24:25]
	v_frexp_mant_f64_e32 v[26:27], v[24:25]
	v_frexp_exp_i32_f64_e32 v30, v[24:25]
	s_delay_alu instid0(VALU_DEP_2) | instskip(SKIP_1) | instid1(VALU_DEP_3)
	v_cmp_gt_f64_e32 vcc_lo, s[52:53], v[26:27]
	v_cndmask_b32_e64 v29, 0x3ff00000, 2.0, vcc_lo
	v_subrev_co_ci_u32_e32 v40, vcc_lo, 0, v30, vcc_lo
	v_cmp_eq_f64_e32 vcc_lo, 0x7ff00000, v[24:25]
	s_delay_alu instid0(VALU_DEP_3) | instskip(NEXT) | instid1(VALU_DEP_1)
	v_mul_f64 v[26:27], v[26:27], v[28:29]
	v_add_f64 v[30:31], v[26:27], 1.0
	v_add_f64 v[28:29], v[26:27], -1.0
	s_delay_alu instid0(VALU_DEP_2) | instskip(NEXT) | instid1(VALU_DEP_1)
	v_add_f64 v[32:33], v[30:31], -1.0
	v_add_f64 v[26:27], v[26:27], -v[32:33]
	v_rcp_f64_e32 v[32:33], v[30:31]
	s_waitcnt_depctr 0xfff
	v_fma_f64 v[34:35], -v[30:31], v[32:33], 1.0
	s_delay_alu instid0(VALU_DEP_1) | instskip(NEXT) | instid1(VALU_DEP_1)
	v_fma_f64 v[32:33], v[34:35], v[32:33], v[32:33]
	v_fma_f64 v[34:35], -v[30:31], v[32:33], 1.0
	s_delay_alu instid0(VALU_DEP_1) | instskip(NEXT) | instid1(VALU_DEP_1)
	v_fma_f64 v[32:33], v[34:35], v[32:33], v[32:33]
	v_mul_f64 v[34:35], v[28:29], v[32:33]
	s_delay_alu instid0(VALU_DEP_1) | instskip(NEXT) | instid1(VALU_DEP_1)
	v_mul_f64 v[36:37], v[30:31], v[34:35]
	v_fma_f64 v[30:31], v[34:35], v[30:31], -v[36:37]
	s_delay_alu instid0(VALU_DEP_1) | instskip(NEXT) | instid1(VALU_DEP_1)
	v_fma_f64 v[26:27], v[34:35], v[26:27], v[30:31]
	v_add_f64 v[30:31], v[36:37], v[26:27]
	s_delay_alu instid0(VALU_DEP_1) | instskip(SKIP_1) | instid1(VALU_DEP_2)
	v_add_f64 v[38:39], v[28:29], -v[30:31]
	v_add_f64 v[36:37], v[30:31], -v[36:37]
	;; [unrolled: 1-line block ×3, first 2 shown]
	s_delay_alu instid0(VALU_DEP_2) | instskip(NEXT) | instid1(VALU_DEP_2)
	v_add_f64 v[26:27], v[36:37], -v[26:27]
	v_add_f64 v[28:29], v[28:29], -v[30:31]
	s_delay_alu instid0(VALU_DEP_1) | instskip(NEXT) | instid1(VALU_DEP_1)
	v_add_f64 v[26:27], v[26:27], v[28:29]
	v_add_f64 v[26:27], v[38:39], v[26:27]
	s_delay_alu instid0(VALU_DEP_1) | instskip(NEXT) | instid1(VALU_DEP_1)
	v_mul_f64 v[26:27], v[32:33], v[26:27]
	v_add_f64 v[28:29], v[34:35], v[26:27]
	s_delay_alu instid0(VALU_DEP_1) | instskip(SKIP_1) | instid1(VALU_DEP_2)
	v_add_f64 v[30:31], v[28:29], -v[34:35]
	v_ldexp_f64 v[34:35], v[28:29], 1
	v_add_f64 v[26:27], v[26:27], -v[30:31]
	v_mul_f64 v[30:31], v[28:29], v[28:29]
	s_delay_alu instid0(VALU_DEP_2) | instskip(NEXT) | instid1(VALU_DEP_2)
	v_ldexp_f64 v[26:27], v[26:27], 1
	v_fma_f64 v[32:33], v[30:31], s[50:51], s[46:47]
	v_mul_f64 v[28:29], v[28:29], v[30:31]
	s_delay_alu instid0(VALU_DEP_2) | instskip(NEXT) | instid1(VALU_DEP_1)
	v_fma_f64 v[32:33], v[30:31], v[32:33], s[38:39]
	v_fma_f64 v[32:33], v[30:31], v[32:33], s[40:41]
	s_delay_alu instid0(VALU_DEP_1) | instskip(NEXT) | instid1(VALU_DEP_1)
	v_fma_f64 v[32:33], v[30:31], v[32:33], s[42:43]
	v_fma_f64 v[32:33], v[30:31], v[32:33], s[44:45]
	s_delay_alu instid0(VALU_DEP_1) | instskip(NEXT) | instid1(VALU_DEP_1)
	v_fma_f64 v[32:33], v[30:31], v[32:33], s[48:49]
	v_mul_f64 v[28:29], v[28:29], v[32:33]
	s_delay_alu instid0(VALU_DEP_1) | instskip(NEXT) | instid1(VALU_DEP_1)
	v_add_f64 v[30:31], v[34:35], v[28:29]
	v_add_f64 v[32:33], v[30:31], -v[34:35]
	s_delay_alu instid0(VALU_DEP_1) | instskip(NEXT) | instid1(VALU_DEP_1)
	v_add_f64 v[28:29], v[28:29], -v[32:33]
	v_add_f64 v[26:27], v[26:27], v[28:29]
	s_delay_alu instid0(VALU_DEP_1) | instskip(NEXT) | instid1(VALU_DEP_1)
	v_add_f64 v[28:29], v[30:31], v[26:27]
	v_add_f64 v[30:31], v[28:29], -v[30:31]
	s_delay_alu instid0(VALU_DEP_1) | instskip(SKIP_1) | instid1(VALU_DEP_1)
	v_add_f64 v[26:27], v[26:27], -v[30:31]
	v_cvt_f64_i32_e32 v[30:31], v40
	v_mul_f64 v[32:33], v[30:31], s[34:35]
	s_delay_alu instid0(VALU_DEP_1) | instskip(NEXT) | instid1(VALU_DEP_1)
	v_fma_f64 v[34:35], v[30:31], s[34:35], -v[32:33]
	v_fma_f64 v[30:31], v[30:31], s[36:37], v[34:35]
	s_delay_alu instid0(VALU_DEP_1) | instskip(NEXT) | instid1(VALU_DEP_1)
	v_add_f64 v[34:35], v[32:33], v[30:31]
	v_add_f64 v[32:33], v[34:35], -v[32:33]
	s_delay_alu instid0(VALU_DEP_1) | instskip(SKIP_1) | instid1(VALU_DEP_1)
	v_add_f64 v[30:31], v[30:31], -v[32:33]
	v_mul_f64 v[32:33], v[28:29], s[30:31]
	v_fma_f64 v[36:37], v[28:29], s[30:31], -v[32:33]
	s_delay_alu instid0(VALU_DEP_1) | instskip(NEXT) | instid1(VALU_DEP_1)
	v_fma_f64 v[26:27], v[26:27], s[30:31], v[36:37]
	v_fma_f64 v[26:27], v[28:29], s[28:29], v[26:27]
	s_delay_alu instid0(VALU_DEP_1) | instskip(NEXT) | instid1(VALU_DEP_1)
	v_add_f64 v[28:29], v[32:33], v[26:27]
	v_add_f64 v[32:33], v[28:29], -v[32:33]
	s_delay_alu instid0(VALU_DEP_1) | instskip(SKIP_1) | instid1(VALU_DEP_1)
	v_add_f64 v[26:27], v[26:27], -v[32:33]
	v_add_f64 v[32:33], v[34:35], v[28:29]
	v_add_f64 v[36:37], v[32:33], -v[34:35]
	s_delay_alu instid0(VALU_DEP_1) | instskip(SKIP_1) | instid1(VALU_DEP_2)
	v_add_f64 v[38:39], v[32:33], -v[36:37]
	v_add_f64 v[28:29], v[28:29], -v[36:37]
	;; [unrolled: 1-line block ×3, first 2 shown]
	s_delay_alu instid0(VALU_DEP_1) | instskip(SKIP_1) | instid1(VALU_DEP_1)
	v_add_f64 v[28:29], v[28:29], v[34:35]
	v_add_f64 v[34:35], v[30:31], v[26:27]
	v_add_f64 v[36:37], v[34:35], -v[30:31]
	s_delay_alu instid0(VALU_DEP_3) | instskip(NEXT) | instid1(VALU_DEP_2)
	v_add_f64 v[28:29], v[34:35], v[28:29]
	v_add_f64 v[38:39], v[34:35], -v[36:37]
	v_add_f64 v[26:27], v[26:27], -v[36:37]
	s_delay_alu instid0(VALU_DEP_2) | instskip(NEXT) | instid1(VALU_DEP_1)
	v_add_f64 v[30:31], v[30:31], -v[38:39]
	v_add_f64 v[26:27], v[26:27], v[30:31]
	v_add_f64 v[30:31], v[32:33], v[28:29]
	s_delay_alu instid0(VALU_DEP_1) | instskip(NEXT) | instid1(VALU_DEP_1)
	v_add_f64 v[32:33], v[30:31], -v[32:33]
	v_add_f64 v[28:29], v[28:29], -v[32:33]
	s_delay_alu instid0(VALU_DEP_1) | instskip(NEXT) | instid1(VALU_DEP_1)
	v_add_f64 v[26:27], v[26:27], v[28:29]
	v_add_f64 v[26:27], v[30:31], v[26:27]
	s_delay_alu instid0(VALU_DEP_1) | instskip(NEXT) | instid1(VALU_DEP_1)
	v_dual_cndmask_b32 v25, v27, v25 :: v_dual_cndmask_b32 v24, v26, v24
	v_fma_f64 v[28:29], v[24:25], s[74:75], s[72:73]
	v_fma_f64 v[26:27], v[24:25], s[64:65], 0x3fe80000
	s_delay_alu instid0(VALU_DEP_2) | instskip(NEXT) | instid1(VALU_DEP_1)
	v_add_f64 v[22:23], v[22:23], -v[28:29]
	v_fma_f64 v[26:27], v[22:23], s[76:77], v[26:27]
	s_delay_alu instid0(VALU_DEP_1) | instskip(NEXT) | instid1(VALU_DEP_1)
	v_div_scale_f64 v[28:29], null, v[26:27], v[26:27], 1.0
	v_rcp_f64_e32 v[30:31], v[28:29]
	s_waitcnt_depctr 0xfff
	v_fma_f64 v[32:33], -v[28:29], v[30:31], 1.0
	s_delay_alu instid0(VALU_DEP_1) | instskip(NEXT) | instid1(VALU_DEP_1)
	v_fma_f64 v[30:31], v[30:31], v[32:33], v[30:31]
	v_fma_f64 v[32:33], -v[28:29], v[30:31], 1.0
	s_delay_alu instid0(VALU_DEP_1) | instskip(SKIP_1) | instid1(VALU_DEP_1)
	v_fma_f64 v[30:31], v[30:31], v[32:33], v[30:31]
	v_div_scale_f64 v[32:33], vcc_lo, 1.0, v[26:27], 1.0
	v_mul_f64 v[34:35], v[32:33], v[30:31]
	s_delay_alu instid0(VALU_DEP_1) | instskip(NEXT) | instid1(VALU_DEP_1)
	v_fma_f64 v[28:29], -v[28:29], v[34:35], v[32:33]
	v_div_fmas_f64 v[28:29], v[28:29], v[30:31], v[34:35]
	s_delay_alu instid0(VALU_DEP_1) | instskip(NEXT) | instid1(VALU_DEP_1)
	v_div_fixup_f64 v[26:27], v[28:29], v[26:27], 1.0
	v_mul_f64 v[22:23], v[22:23], v[26:27]
	s_delay_alu instid0(VALU_DEP_1) | instskip(NEXT) | instid1(VALU_DEP_1)
	v_fma_f64 v[22:23], v[22:23], v[22:23], 1.0
	v_div_scale_f64 v[26:27], null, v[22:23], v[22:23], 1.0
	s_delay_alu instid0(VALU_DEP_1) | instskip(SKIP_2) | instid1(VALU_DEP_1)
	v_rcp_f64_e32 v[28:29], v[26:27]
	s_waitcnt_depctr 0xfff
	v_fma_f64 v[30:31], -v[26:27], v[28:29], 1.0
	v_fma_f64 v[28:29], v[28:29], v[30:31], v[28:29]
	s_delay_alu instid0(VALU_DEP_1) | instskip(NEXT) | instid1(VALU_DEP_1)
	v_fma_f64 v[30:31], -v[26:27], v[28:29], 1.0
	v_fma_f64 v[28:29], v[28:29], v[30:31], v[28:29]
	v_div_scale_f64 v[30:31], vcc_lo, 1.0, v[22:23], 1.0
	s_delay_alu instid0(VALU_DEP_1) | instskip(NEXT) | instid1(VALU_DEP_1)
	v_mul_f64 v[32:33], v[30:31], v[28:29]
	v_fma_f64 v[26:27], -v[26:27], v[32:33], v[30:31]
	s_delay_alu instid0(VALU_DEP_1) | instskip(NEXT) | instid1(VALU_DEP_1)
	v_div_fmas_f64 v[26:27], v[26:27], v[28:29], v[32:33]
	v_div_fixup_f64 v[22:23], v[26:27], v[22:23], 1.0
	s_delay_alu instid0(VALU_DEP_1) | instskip(NEXT) | instid1(VALU_DEP_1)
	v_mul_f64 v[22:23], v[24:25], v[22:23]
	v_mul_f64 v[24:25], v[22:23], s[60:61]
	v_cmp_nlt_f64_e32 vcc_lo, 0x40900000, v[22:23]
	v_cmp_ngt_f64_e64 s0, 0xc090cc00, v[22:23]
	s_delay_alu instid0(VALU_DEP_3) | instskip(NEXT) | instid1(VALU_DEP_1)
	v_rndne_f64_e32 v[24:25], v[24:25]
	v_fma_f64 v[26:27], v[24:25], s[66:67], v[22:23]
	s_delay_alu instid0(VALU_DEP_1) | instskip(SKIP_1) | instid1(VALU_DEP_2)
	v_fma_f64 v[26:27], v[24:25], s[62:63], v[26:27]
	v_cvt_i32_f64_e32 v24, v[24:25]
	v_mul_f64 v[28:29], v[26:27], s[68:69]
	s_delay_alu instid0(VALU_DEP_1) | instskip(NEXT) | instid1(VALU_DEP_1)
	v_fma_f64 v[26:27], v[26:27], s[70:71], v[28:29]
	v_fma_f64 v[28:29], v[26:27], s[4:5], s[2:3]
	s_delay_alu instid0(VALU_DEP_1) | instskip(NEXT) | instid1(VALU_DEP_1)
	v_fma_f64 v[28:29], v[26:27], v[28:29], s[6:7]
	v_fma_f64 v[28:29], v[26:27], v[28:29], s[12:13]
	s_delay_alu instid0(VALU_DEP_1) | instskip(NEXT) | instid1(VALU_DEP_1)
	v_fma_f64 v[28:29], v[26:27], v[28:29], s[14:15]
	v_fma_f64 v[28:29], v[26:27], v[28:29], s[18:19]
	s_delay_alu instid0(VALU_DEP_1) | instskip(NEXT) | instid1(VALU_DEP_1)
	v_fma_f64 v[28:29], v[26:27], v[28:29], s[20:21]
	v_fma_f64 v[28:29], v[26:27], v[28:29], s[22:23]
	s_delay_alu instid0(VALU_DEP_1) | instskip(NEXT) | instid1(VALU_DEP_1)
	v_fma_f64 v[28:29], v[26:27], v[28:29], s[24:25]
	v_fma_f64 v[28:29], v[26:27], v[28:29], s[26:27]
	s_delay_alu instid0(VALU_DEP_1) | instskip(NEXT) | instid1(VALU_DEP_1)
	v_fma_f64 v[28:29], v[26:27], v[28:29], 1.0
	v_fma_f64 v[26:27], v[26:27], v[28:29], 1.0
	s_delay_alu instid0(VALU_DEP_1) | instskip(NEXT) | instid1(VALU_DEP_1)
	v_ldexp_f64 v[24:25], v[26:27], v24
	v_cndmask_b32_e32 v25, 0x7ff00000, v25, vcc_lo
	s_and_b32 vcc_lo, s0, vcc_lo
	s_delay_alu instid0(VALU_DEP_2) | instskip(SKIP_1) | instid1(VALU_DEP_3)
	v_cndmask_b32_e32 v22, 0, v24, vcc_lo
	v_add_co_u32 v0, vcc_lo, s10, v0
	v_cndmask_b32_e64 v23, 0, v25, s0
	v_add_co_ci_u32_e32 v1, vcc_lo, s11, v1, vcc_lo
	s_delay_alu instid0(VALU_DEP_2) | instskip(NEXT) | instid1(VALU_DEP_1)
	v_mul_f64 v[20:21], v[20:21], v[22:23]
	v_mul_f64 v[18:19], v[18:19], v[20:21]
	global_store_b64 v[16:17], v[18:19], off
	global_load_b64 v[16:17], v[0:1], off
	s_waitcnt vmcnt(0)
	v_mul_f64 v[16:17], v[16:17], v[20:21]
	global_store_b64 v[0:1], v[16:17], off
	v_add_co_u32 v0, vcc_lo, s16, v9
	v_add_co_ci_u32_e32 v1, vcc_lo, s17, v10, vcc_lo
	global_load_b64 v[19:20], v[0:1], off
	v_mad_u64_u32 v[0:1], null, s1, 15, v[15:16]
	v_mov_b32_e32 v1, v2
	s_mov_b32 s0, 0xd2922395
	s_mov_b32 s1, 0xbf4de1a6
	s_delay_alu instid0(VALU_DEP_1) | instskip(NEXT) | instid1(VALU_DEP_1)
	v_lshlrev_b64 v[9:10], 3, v[0:1]
	v_add_co_u32 v15, vcc_lo, s8, v9
	s_delay_alu instid0(VALU_DEP_2) | instskip(SKIP_3) | instid1(VALU_DEP_1)
	v_add_co_ci_u32_e32 v16, vcc_lo, s9, v10, vcc_lo
	global_load_b64 v[17:18], v[15:16], off
	s_waitcnt vmcnt(0)
	v_div_scale_f64 v[21:22], null, v[17:18], v[17:18], 1.0
	v_rcp_f64_e32 v[23:24], v[21:22]
	s_waitcnt_depctr 0xfff
	v_fma_f64 v[25:26], -v[21:22], v[23:24], 1.0
	s_delay_alu instid0(VALU_DEP_1) | instskip(NEXT) | instid1(VALU_DEP_1)
	v_fma_f64 v[23:24], v[23:24], v[25:26], v[23:24]
	v_fma_f64 v[25:26], -v[21:22], v[23:24], 1.0
	s_delay_alu instid0(VALU_DEP_1) | instskip(SKIP_1) | instid1(VALU_DEP_1)
	v_fma_f64 v[23:24], v[23:24], v[25:26], v[23:24]
	v_div_scale_f64 v[25:26], vcc_lo, 1.0, v[17:18], 1.0
	v_mul_f64 v[27:28], v[25:26], v[23:24]
	s_delay_alu instid0(VALU_DEP_1) | instskip(NEXT) | instid1(VALU_DEP_1)
	v_fma_f64 v[21:22], -v[21:22], v[27:28], v[25:26]
	v_div_fmas_f64 v[21:22], v[21:22], v[23:24], v[27:28]
	s_delay_alu instid0(VALU_DEP_1) | instskip(NEXT) | instid1(VALU_DEP_1)
	v_div_fixup_f64 v[21:22], v[21:22], v[17:18], 1.0
	v_mul_f64 v[11:12], v[11:12], v[21:22]
	s_delay_alu instid0(VALU_DEP_1) | instskip(SKIP_1) | instid1(VALU_DEP_1)
	v_mul_f64 v[21:22], v[19:20], v[11:12]
	v_fma_f64 v[11:12], v[19:20], v[11:12], 1.0
	v_div_scale_f64 v[19:20], null, v[11:12], v[11:12], 1.0
	s_delay_alu instid0(VALU_DEP_1) | instskip(SKIP_2) | instid1(VALU_DEP_1)
	v_rcp_f64_e32 v[23:24], v[19:20]
	s_waitcnt_depctr 0xfff
	v_fma_f64 v[25:26], -v[19:20], v[23:24], 1.0
	v_fma_f64 v[23:24], v[23:24], v[25:26], v[23:24]
	s_delay_alu instid0(VALU_DEP_1) | instskip(NEXT) | instid1(VALU_DEP_1)
	v_fma_f64 v[25:26], -v[19:20], v[23:24], 1.0
	v_fma_f64 v[23:24], v[23:24], v[25:26], v[23:24]
	v_div_scale_f64 v[25:26], vcc_lo, 1.0, v[11:12], 1.0
	s_delay_alu instid0(VALU_DEP_1) | instskip(NEXT) | instid1(VALU_DEP_1)
	v_mul_f64 v[27:28], v[25:26], v[23:24]
	v_fma_f64 v[19:20], -v[19:20], v[27:28], v[25:26]
	s_delay_alu instid0(VALU_DEP_1) | instskip(SKIP_1) | instid1(VALU_DEP_2)
	v_div_fmas_f64 v[19:20], v[19:20], v[23:24], v[27:28]
	v_mov_b32_e32 v23, v2
	v_div_fixup_f64 v[11:12], v[19:20], v[11:12], 1.0
	v_max_f64 v[19:20], 0x38100000, v[21:22]
	s_delay_alu instid0(VALU_DEP_2) | instskip(NEXT) | instid1(VALU_DEP_2)
	v_mul_f64 v[11:12], v[21:22], v[11:12]
	v_frexp_mant_f64_e32 v[21:22], v[19:20]
	v_frexp_exp_i32_f64_e32 v1, v[19:20]
	s_delay_alu instid0(VALU_DEP_2) | instskip(SKIP_1) | instid1(VALU_DEP_3)
	v_cmp_gt_f64_e32 vcc_lo, s[52:53], v[21:22]
	v_cndmask_b32_e64 v24, 0x3ff00000, 2.0, vcc_lo
	v_subrev_co_ci_u32_e32 v1, vcc_lo, 0, v1, vcc_lo
	v_cmp_eq_f64_e32 vcc_lo, 0x7ff00000, v[19:20]
	s_delay_alu instid0(VALU_DEP_3) | instskip(NEXT) | instid1(VALU_DEP_1)
	v_mul_f64 v[21:22], v[21:22], v[23:24]
	v_add_f64 v[25:26], v[21:22], 1.0
	v_add_f64 v[23:24], v[21:22], -1.0
	s_delay_alu instid0(VALU_DEP_2) | instskip(NEXT) | instid1(VALU_DEP_1)
	v_add_f64 v[27:28], v[25:26], -1.0
	v_add_f64 v[21:22], v[21:22], -v[27:28]
	v_rcp_f64_e32 v[27:28], v[25:26]
	s_waitcnt_depctr 0xfff
	v_fma_f64 v[29:30], -v[25:26], v[27:28], 1.0
	s_delay_alu instid0(VALU_DEP_1) | instskip(NEXT) | instid1(VALU_DEP_1)
	v_fma_f64 v[27:28], v[29:30], v[27:28], v[27:28]
	v_fma_f64 v[29:30], -v[25:26], v[27:28], 1.0
	s_delay_alu instid0(VALU_DEP_1) | instskip(NEXT) | instid1(VALU_DEP_1)
	v_fma_f64 v[27:28], v[29:30], v[27:28], v[27:28]
	v_mul_f64 v[29:30], v[23:24], v[27:28]
	s_delay_alu instid0(VALU_DEP_1) | instskip(NEXT) | instid1(VALU_DEP_1)
	v_mul_f64 v[31:32], v[25:26], v[29:30]
	v_fma_f64 v[25:26], v[29:30], v[25:26], -v[31:32]
	s_delay_alu instid0(VALU_DEP_1) | instskip(NEXT) | instid1(VALU_DEP_1)
	v_fma_f64 v[21:22], v[29:30], v[21:22], v[25:26]
	v_add_f64 v[25:26], v[31:32], v[21:22]
	s_delay_alu instid0(VALU_DEP_1) | instskip(SKIP_1) | instid1(VALU_DEP_2)
	v_add_f64 v[33:34], v[23:24], -v[25:26]
	v_add_f64 v[31:32], v[25:26], -v[31:32]
	;; [unrolled: 1-line block ×3, first 2 shown]
	s_delay_alu instid0(VALU_DEP_2) | instskip(NEXT) | instid1(VALU_DEP_2)
	v_add_f64 v[21:22], v[31:32], -v[21:22]
	v_add_f64 v[23:24], v[23:24], -v[25:26]
	s_delay_alu instid0(VALU_DEP_1) | instskip(NEXT) | instid1(VALU_DEP_1)
	v_add_f64 v[21:22], v[21:22], v[23:24]
	v_add_f64 v[21:22], v[33:34], v[21:22]
	s_delay_alu instid0(VALU_DEP_1) | instskip(NEXT) | instid1(VALU_DEP_1)
	v_mul_f64 v[21:22], v[27:28], v[21:22]
	v_add_f64 v[23:24], v[29:30], v[21:22]
	s_delay_alu instid0(VALU_DEP_1) | instskip(SKIP_1) | instid1(VALU_DEP_2)
	v_add_f64 v[25:26], v[23:24], -v[29:30]
	v_ldexp_f64 v[29:30], v[23:24], 1
	v_add_f64 v[21:22], v[21:22], -v[25:26]
	v_mul_f64 v[25:26], v[23:24], v[23:24]
	s_delay_alu instid0(VALU_DEP_2) | instskip(NEXT) | instid1(VALU_DEP_2)
	v_ldexp_f64 v[21:22], v[21:22], 1
	v_fma_f64 v[27:28], v[25:26], s[50:51], s[46:47]
	v_mul_f64 v[23:24], v[23:24], v[25:26]
	s_delay_alu instid0(VALU_DEP_2) | instskip(NEXT) | instid1(VALU_DEP_1)
	v_fma_f64 v[27:28], v[25:26], v[27:28], s[38:39]
	v_fma_f64 v[27:28], v[25:26], v[27:28], s[40:41]
	s_delay_alu instid0(VALU_DEP_1) | instskip(NEXT) | instid1(VALU_DEP_1)
	v_fma_f64 v[27:28], v[25:26], v[27:28], s[42:43]
	v_fma_f64 v[27:28], v[25:26], v[27:28], s[44:45]
	s_delay_alu instid0(VALU_DEP_1) | instskip(NEXT) | instid1(VALU_DEP_1)
	v_fma_f64 v[27:28], v[25:26], v[27:28], s[48:49]
	v_mul_f64 v[23:24], v[23:24], v[27:28]
	s_delay_alu instid0(VALU_DEP_1) | instskip(NEXT) | instid1(VALU_DEP_1)
	v_add_f64 v[25:26], v[29:30], v[23:24]
	v_add_f64 v[27:28], v[25:26], -v[29:30]
	s_delay_alu instid0(VALU_DEP_1) | instskip(NEXT) | instid1(VALU_DEP_1)
	v_add_f64 v[23:24], v[23:24], -v[27:28]
	v_add_f64 v[21:22], v[21:22], v[23:24]
	s_delay_alu instid0(VALU_DEP_1) | instskip(NEXT) | instid1(VALU_DEP_1)
	v_add_f64 v[23:24], v[25:26], v[21:22]
	v_add_f64 v[25:26], v[23:24], -v[25:26]
	s_delay_alu instid0(VALU_DEP_1) | instskip(SKIP_1) | instid1(VALU_DEP_1)
	v_add_f64 v[21:22], v[21:22], -v[25:26]
	v_cvt_f64_i32_e32 v[25:26], v1
	v_mul_f64 v[27:28], v[25:26], s[34:35]
	s_delay_alu instid0(VALU_DEP_1) | instskip(NEXT) | instid1(VALU_DEP_1)
	v_fma_f64 v[29:30], v[25:26], s[34:35], -v[27:28]
	v_fma_f64 v[25:26], v[25:26], s[36:37], v[29:30]
	s_delay_alu instid0(VALU_DEP_1) | instskip(NEXT) | instid1(VALU_DEP_1)
	v_add_f64 v[29:30], v[27:28], v[25:26]
	v_add_f64 v[27:28], v[29:30], -v[27:28]
	s_delay_alu instid0(VALU_DEP_1) | instskip(SKIP_1) | instid1(VALU_DEP_1)
	v_add_f64 v[25:26], v[25:26], -v[27:28]
	v_mul_f64 v[27:28], v[23:24], s[30:31]
	v_fma_f64 v[31:32], v[23:24], s[30:31], -v[27:28]
	s_delay_alu instid0(VALU_DEP_1) | instskip(NEXT) | instid1(VALU_DEP_1)
	v_fma_f64 v[21:22], v[21:22], s[30:31], v[31:32]
	v_fma_f64 v[21:22], v[23:24], s[28:29], v[21:22]
	s_delay_alu instid0(VALU_DEP_1) | instskip(NEXT) | instid1(VALU_DEP_1)
	v_add_f64 v[23:24], v[27:28], v[21:22]
	v_add_f64 v[27:28], v[23:24], -v[27:28]
	s_delay_alu instid0(VALU_DEP_1) | instskip(SKIP_1) | instid1(VALU_DEP_1)
	v_add_f64 v[21:22], v[21:22], -v[27:28]
	v_add_f64 v[27:28], v[29:30], v[23:24]
	v_add_f64 v[31:32], v[27:28], -v[29:30]
	s_delay_alu instid0(VALU_DEP_1) | instskip(SKIP_1) | instid1(VALU_DEP_2)
	v_add_f64 v[33:34], v[27:28], -v[31:32]
	v_add_f64 v[23:24], v[23:24], -v[31:32]
	;; [unrolled: 1-line block ×3, first 2 shown]
	s_delay_alu instid0(VALU_DEP_1) | instskip(SKIP_1) | instid1(VALU_DEP_1)
	v_add_f64 v[23:24], v[23:24], v[29:30]
	v_add_f64 v[29:30], v[25:26], v[21:22]
	v_add_f64 v[31:32], v[29:30], -v[25:26]
	s_delay_alu instid0(VALU_DEP_3) | instskip(NEXT) | instid1(VALU_DEP_2)
	v_add_f64 v[23:24], v[29:30], v[23:24]
	v_add_f64 v[33:34], v[29:30], -v[31:32]
	v_add_f64 v[21:22], v[21:22], -v[31:32]
	s_delay_alu instid0(VALU_DEP_2) | instskip(NEXT) | instid1(VALU_DEP_1)
	v_add_f64 v[25:26], v[25:26], -v[33:34]
	v_add_f64 v[21:22], v[21:22], v[25:26]
	v_add_f64 v[25:26], v[27:28], v[23:24]
	s_delay_alu instid0(VALU_DEP_1) | instskip(NEXT) | instid1(VALU_DEP_1)
	v_add_f64 v[27:28], v[25:26], -v[27:28]
	v_add_f64 v[23:24], v[23:24], -v[27:28]
	s_delay_alu instid0(VALU_DEP_1) | instskip(NEXT) | instid1(VALU_DEP_1)
	v_add_f64 v[21:22], v[21:22], v[23:24]
	v_add_f64 v[21:22], v[25:26], v[21:22]
	s_delay_alu instid0(VALU_DEP_1) | instskip(SKIP_1) | instid1(VALU_DEP_1)
	v_dual_cndmask_b32 v20, v22, v20 :: v_dual_cndmask_b32 v19, v21, v19
	v_mul_f64 v[21:22], v[3:4], s[0:1]
	v_mul_f64 v[23:24], v[21:22], s[58:59]
	v_cmp_nlt_f64_e32 vcc_lo, 0x40900000, v[21:22]
	v_cmp_ngt_f64_e64 s0, 0xc090cc00, v[21:22]
	s_delay_alu instid0(VALU_DEP_3) | instskip(NEXT) | instid1(VALU_DEP_1)
	v_rndne_f64_e32 v[23:24], v[23:24]
	v_fma_f64 v[25:26], v[23:24], s[56:57], v[21:22]
	v_cvt_i32_f64_e32 v1, v[23:24]
	s_delay_alu instid0(VALU_DEP_2) | instskip(NEXT) | instid1(VALU_DEP_1)
	v_fma_f64 v[25:26], v[23:24], s[54:55], v[25:26]
	v_fma_f64 v[27:28], v[25:26], s[4:5], s[2:3]
	s_delay_alu instid0(VALU_DEP_1) | instskip(NEXT) | instid1(VALU_DEP_1)
	v_fma_f64 v[27:28], v[25:26], v[27:28], s[6:7]
	v_fma_f64 v[27:28], v[25:26], v[27:28], s[12:13]
	s_delay_alu instid0(VALU_DEP_1) | instskip(NEXT) | instid1(VALU_DEP_1)
	;; [unrolled: 3-line block ×5, first 2 shown]
	v_fma_f64 v[27:28], v[25:26], v[27:28], 1.0
	v_fma_f64 v[25:26], v[25:26], v[27:28], 1.0
	s_delay_alu instid0(VALU_DEP_1) | instskip(NEXT) | instid1(VALU_DEP_1)
	v_ldexp_f64 v[23:24], v[25:26], v1
	v_cndmask_b32_e32 v1, 0x7ff00000, v24, vcc_lo
	s_and_b32 vcc_lo, s0, vcc_lo
	s_delay_alu instid0(VALU_DEP_2) | instskip(NEXT) | instid1(VALU_DEP_2)
	v_cndmask_b32_e32 v21, 0, v23, vcc_lo
	v_cndmask_b32_e64 v22, 0, v1, s0
	s_mov_b32 s0, 0xf5c28f5c
	s_mov_b32 s1, 0x3fef5c28
	s_delay_alu instid0(VALU_DEP_1) | instskip(NEXT) | instid1(VALU_DEP_1)
	v_mul_f64 v[23:24], v[21:22], s[78:79]
	v_fma_f64 v[21:22], v[21:22], s[0:1], v[23:24]
	v_mul_f64 v[23:24], 0xc0bacb80, v[13:14]
	v_mul_f64 v[13:14], 0xc0e77c20, v[13:14]
	s_delay_alu instid0(VALU_DEP_2) | instskip(SKIP_2) | instid1(VALU_DEP_3)
	v_mul_f64 v[25:26], v[23:24], s[58:59]
	v_cmp_nlt_f64_e32 vcc_lo, 0x40900000, v[23:24]
	v_cmp_ngt_f64_e64 s0, 0xc090cc00, v[23:24]
	v_rndne_f64_e32 v[25:26], v[25:26]
	s_delay_alu instid0(VALU_DEP_1) | instskip(SKIP_1) | instid1(VALU_DEP_2)
	v_fma_f64 v[27:28], v[25:26], s[56:57], v[23:24]
	v_cvt_i32_f64_e32 v1, v[25:26]
	v_fma_f64 v[27:28], v[25:26], s[54:55], v[27:28]
	s_delay_alu instid0(VALU_DEP_1) | instskip(NEXT) | instid1(VALU_DEP_1)
	v_fma_f64 v[29:30], v[27:28], s[4:5], s[2:3]
	v_fma_f64 v[29:30], v[27:28], v[29:30], s[6:7]
	s_delay_alu instid0(VALU_DEP_1) | instskip(NEXT) | instid1(VALU_DEP_1)
	v_fma_f64 v[29:30], v[27:28], v[29:30], s[12:13]
	;; [unrolled: 3-line block ×5, first 2 shown]
	v_fma_f64 v[29:30], v[27:28], v[29:30], 1.0
	s_delay_alu instid0(VALU_DEP_1) | instskip(NEXT) | instid1(VALU_DEP_1)
	v_fma_f64 v[27:28], v[27:28], v[29:30], 1.0
	v_ldexp_f64 v[25:26], v[27:28], v1
	s_delay_alu instid0(VALU_DEP_1) | instskip(SKIP_1) | instid1(VALU_DEP_2)
	v_cndmask_b32_e32 v1, 0x7ff00000, v26, vcc_lo
	s_and_b32 vcc_lo, s0, vcc_lo
	v_cndmask_b32_e32 v23, 0, v25, vcc_lo
	v_mov_b32_e32 v25, v2
	s_delay_alu instid0(VALU_DEP_3) | instskip(NEXT) | instid1(VALU_DEP_1)
	v_cndmask_b32_e64 v24, 0, v1, s0
	v_add_f64 v[21:22], v[23:24], v[21:22]
	s_delay_alu instid0(VALU_DEP_1) | instskip(NEXT) | instid1(VALU_DEP_1)
	v_max_f64 v[21:22], 0x38100000, v[21:22]
	v_frexp_mant_f64_e32 v[23:24], v[21:22]
	v_frexp_exp_i32_f64_e32 v1, v[21:22]
	s_delay_alu instid0(VALU_DEP_2) | instskip(SKIP_1) | instid1(VALU_DEP_3)
	v_cmp_gt_f64_e32 vcc_lo, s[52:53], v[23:24]
	v_cndmask_b32_e64 v26, 0x3ff00000, 2.0, vcc_lo
	v_subrev_co_ci_u32_e32 v1, vcc_lo, 0, v1, vcc_lo
	v_cmp_eq_f64_e32 vcc_lo, 0x7ff00000, v[21:22]
	s_delay_alu instid0(VALU_DEP_3) | instskip(NEXT) | instid1(VALU_DEP_1)
	v_mul_f64 v[23:24], v[23:24], v[25:26]
	v_add_f64 v[27:28], v[23:24], 1.0
	v_add_f64 v[25:26], v[23:24], -1.0
	s_delay_alu instid0(VALU_DEP_2) | instskip(NEXT) | instid1(VALU_DEP_1)
	v_add_f64 v[29:30], v[27:28], -1.0
	v_add_f64 v[23:24], v[23:24], -v[29:30]
	v_rcp_f64_e32 v[29:30], v[27:28]
	s_waitcnt_depctr 0xfff
	v_fma_f64 v[31:32], -v[27:28], v[29:30], 1.0
	s_delay_alu instid0(VALU_DEP_1) | instskip(NEXT) | instid1(VALU_DEP_1)
	v_fma_f64 v[29:30], v[31:32], v[29:30], v[29:30]
	v_fma_f64 v[31:32], -v[27:28], v[29:30], 1.0
	s_delay_alu instid0(VALU_DEP_1) | instskip(NEXT) | instid1(VALU_DEP_1)
	v_fma_f64 v[29:30], v[31:32], v[29:30], v[29:30]
	v_mul_f64 v[31:32], v[25:26], v[29:30]
	s_delay_alu instid0(VALU_DEP_1) | instskip(NEXT) | instid1(VALU_DEP_1)
	v_mul_f64 v[33:34], v[27:28], v[31:32]
	v_fma_f64 v[27:28], v[31:32], v[27:28], -v[33:34]
	s_delay_alu instid0(VALU_DEP_1) | instskip(NEXT) | instid1(VALU_DEP_1)
	v_fma_f64 v[23:24], v[31:32], v[23:24], v[27:28]
	v_add_f64 v[27:28], v[33:34], v[23:24]
	s_delay_alu instid0(VALU_DEP_1) | instskip(SKIP_1) | instid1(VALU_DEP_2)
	v_add_f64 v[35:36], v[25:26], -v[27:28]
	v_add_f64 v[33:34], v[27:28], -v[33:34]
	;; [unrolled: 1-line block ×3, first 2 shown]
	s_delay_alu instid0(VALU_DEP_2) | instskip(NEXT) | instid1(VALU_DEP_2)
	v_add_f64 v[23:24], v[33:34], -v[23:24]
	v_add_f64 v[25:26], v[25:26], -v[27:28]
	s_delay_alu instid0(VALU_DEP_1) | instskip(NEXT) | instid1(VALU_DEP_1)
	v_add_f64 v[23:24], v[23:24], v[25:26]
	v_add_f64 v[23:24], v[35:36], v[23:24]
	s_delay_alu instid0(VALU_DEP_1) | instskip(NEXT) | instid1(VALU_DEP_1)
	v_mul_f64 v[23:24], v[29:30], v[23:24]
	v_add_f64 v[25:26], v[31:32], v[23:24]
	s_delay_alu instid0(VALU_DEP_1) | instskip(SKIP_1) | instid1(VALU_DEP_2)
	v_add_f64 v[27:28], v[25:26], -v[31:32]
	v_ldexp_f64 v[31:32], v[25:26], 1
	v_add_f64 v[23:24], v[23:24], -v[27:28]
	v_mul_f64 v[27:28], v[25:26], v[25:26]
	s_delay_alu instid0(VALU_DEP_2) | instskip(NEXT) | instid1(VALU_DEP_2)
	v_ldexp_f64 v[23:24], v[23:24], 1
	v_fma_f64 v[29:30], v[27:28], s[50:51], s[46:47]
	v_mul_f64 v[25:26], v[25:26], v[27:28]
	s_delay_alu instid0(VALU_DEP_2) | instskip(NEXT) | instid1(VALU_DEP_1)
	v_fma_f64 v[29:30], v[27:28], v[29:30], s[38:39]
	v_fma_f64 v[29:30], v[27:28], v[29:30], s[40:41]
	s_delay_alu instid0(VALU_DEP_1) | instskip(NEXT) | instid1(VALU_DEP_1)
	v_fma_f64 v[29:30], v[27:28], v[29:30], s[42:43]
	v_fma_f64 v[29:30], v[27:28], v[29:30], s[44:45]
	s_delay_alu instid0(VALU_DEP_1) | instskip(NEXT) | instid1(VALU_DEP_1)
	v_fma_f64 v[29:30], v[27:28], v[29:30], s[48:49]
	v_mul_f64 v[25:26], v[25:26], v[29:30]
	s_delay_alu instid0(VALU_DEP_1) | instskip(NEXT) | instid1(VALU_DEP_1)
	v_add_f64 v[27:28], v[31:32], v[25:26]
	v_add_f64 v[29:30], v[27:28], -v[31:32]
	s_delay_alu instid0(VALU_DEP_1) | instskip(NEXT) | instid1(VALU_DEP_1)
	v_add_f64 v[25:26], v[25:26], -v[29:30]
	v_add_f64 v[23:24], v[23:24], v[25:26]
	s_delay_alu instid0(VALU_DEP_1) | instskip(NEXT) | instid1(VALU_DEP_1)
	v_add_f64 v[25:26], v[27:28], v[23:24]
	v_add_f64 v[27:28], v[25:26], -v[27:28]
	s_delay_alu instid0(VALU_DEP_1) | instskip(SKIP_1) | instid1(VALU_DEP_1)
	v_add_f64 v[23:24], v[23:24], -v[27:28]
	v_cvt_f64_i32_e32 v[27:28], v1
	v_mul_f64 v[29:30], v[27:28], s[34:35]
	s_delay_alu instid0(VALU_DEP_1) | instskip(NEXT) | instid1(VALU_DEP_1)
	v_fma_f64 v[31:32], v[27:28], s[34:35], -v[29:30]
	v_fma_f64 v[27:28], v[27:28], s[36:37], v[31:32]
	s_delay_alu instid0(VALU_DEP_1) | instskip(NEXT) | instid1(VALU_DEP_1)
	v_add_f64 v[31:32], v[29:30], v[27:28]
	v_add_f64 v[29:30], v[31:32], -v[29:30]
	s_delay_alu instid0(VALU_DEP_1) | instskip(SKIP_1) | instid1(VALU_DEP_1)
	v_add_f64 v[27:28], v[27:28], -v[29:30]
	v_mul_f64 v[29:30], v[25:26], s[30:31]
	v_fma_f64 v[33:34], v[25:26], s[30:31], -v[29:30]
	s_delay_alu instid0(VALU_DEP_1) | instskip(NEXT) | instid1(VALU_DEP_1)
	v_fma_f64 v[23:24], v[23:24], s[30:31], v[33:34]
	v_fma_f64 v[23:24], v[25:26], s[28:29], v[23:24]
	s_delay_alu instid0(VALU_DEP_1) | instskip(NEXT) | instid1(VALU_DEP_1)
	v_add_f64 v[25:26], v[29:30], v[23:24]
	v_add_f64 v[29:30], v[25:26], -v[29:30]
	s_delay_alu instid0(VALU_DEP_1) | instskip(SKIP_1) | instid1(VALU_DEP_1)
	v_add_f64 v[23:24], v[23:24], -v[29:30]
	v_add_f64 v[29:30], v[31:32], v[25:26]
	v_add_f64 v[33:34], v[29:30], -v[31:32]
	s_delay_alu instid0(VALU_DEP_1) | instskip(SKIP_1) | instid1(VALU_DEP_2)
	v_add_f64 v[35:36], v[29:30], -v[33:34]
	v_add_f64 v[25:26], v[25:26], -v[33:34]
	v_add_f64 v[31:32], v[31:32], -v[35:36]
	s_delay_alu instid0(VALU_DEP_1) | instskip(SKIP_1) | instid1(VALU_DEP_1)
	v_add_f64 v[25:26], v[25:26], v[31:32]
	v_add_f64 v[31:32], v[27:28], v[23:24]
	v_add_f64 v[33:34], v[31:32], -v[27:28]
	s_delay_alu instid0(VALU_DEP_3) | instskip(NEXT) | instid1(VALU_DEP_2)
	v_add_f64 v[25:26], v[31:32], v[25:26]
	v_add_f64 v[35:36], v[31:32], -v[33:34]
	v_add_f64 v[23:24], v[23:24], -v[33:34]
	s_delay_alu instid0(VALU_DEP_2) | instskip(NEXT) | instid1(VALU_DEP_1)
	v_add_f64 v[27:28], v[27:28], -v[35:36]
	v_add_f64 v[23:24], v[23:24], v[27:28]
	v_add_f64 v[27:28], v[29:30], v[25:26]
	s_delay_alu instid0(VALU_DEP_1) | instskip(NEXT) | instid1(VALU_DEP_1)
	v_add_f64 v[29:30], v[27:28], -v[29:30]
	v_add_f64 v[25:26], v[25:26], -v[29:30]
	s_delay_alu instid0(VALU_DEP_1) | instskip(NEXT) | instid1(VALU_DEP_1)
	v_add_f64 v[23:24], v[23:24], v[25:26]
	v_add_f64 v[23:24], v[27:28], v[23:24]
	s_delay_alu instid0(VALU_DEP_1) | instskip(NEXT) | instid1(VALU_DEP_1)
	v_dual_cndmask_b32 v22, v24, v22 :: v_dual_cndmask_b32 v21, v23, v21
	v_fma_f64 v[25:26], v[21:22], s[74:75], s[72:73]
	v_fma_f64 v[23:24], v[21:22], s[64:65], 0x3fe80000
	s_delay_alu instid0(VALU_DEP_2) | instskip(NEXT) | instid1(VALU_DEP_1)
	v_add_f64 v[19:20], v[19:20], -v[25:26]
	v_fma_f64 v[23:24], v[19:20], s[76:77], v[23:24]
	s_delay_alu instid0(VALU_DEP_1) | instskip(NEXT) | instid1(VALU_DEP_1)
	v_div_scale_f64 v[25:26], null, v[23:24], v[23:24], 1.0
	v_rcp_f64_e32 v[27:28], v[25:26]
	s_waitcnt_depctr 0xfff
	v_fma_f64 v[29:30], -v[25:26], v[27:28], 1.0
	s_delay_alu instid0(VALU_DEP_1) | instskip(NEXT) | instid1(VALU_DEP_1)
	v_fma_f64 v[27:28], v[27:28], v[29:30], v[27:28]
	v_fma_f64 v[29:30], -v[25:26], v[27:28], 1.0
	s_delay_alu instid0(VALU_DEP_1) | instskip(SKIP_1) | instid1(VALU_DEP_1)
	v_fma_f64 v[27:28], v[27:28], v[29:30], v[27:28]
	v_div_scale_f64 v[29:30], vcc_lo, 1.0, v[23:24], 1.0
	v_mul_f64 v[31:32], v[29:30], v[27:28]
	s_delay_alu instid0(VALU_DEP_1) | instskip(NEXT) | instid1(VALU_DEP_1)
	v_fma_f64 v[25:26], -v[25:26], v[31:32], v[29:30]
	v_div_fmas_f64 v[25:26], v[25:26], v[27:28], v[31:32]
	s_delay_alu instid0(VALU_DEP_1) | instskip(NEXT) | instid1(VALU_DEP_1)
	v_div_fixup_f64 v[23:24], v[25:26], v[23:24], 1.0
	v_mul_f64 v[19:20], v[19:20], v[23:24]
	s_delay_alu instid0(VALU_DEP_1) | instskip(NEXT) | instid1(VALU_DEP_1)
	v_fma_f64 v[19:20], v[19:20], v[19:20], 1.0
	v_div_scale_f64 v[23:24], null, v[19:20], v[19:20], 1.0
	s_delay_alu instid0(VALU_DEP_1) | instskip(SKIP_2) | instid1(VALU_DEP_1)
	v_rcp_f64_e32 v[25:26], v[23:24]
	s_waitcnt_depctr 0xfff
	v_fma_f64 v[27:28], -v[23:24], v[25:26], 1.0
	v_fma_f64 v[25:26], v[25:26], v[27:28], v[25:26]
	s_delay_alu instid0(VALU_DEP_1) | instskip(NEXT) | instid1(VALU_DEP_1)
	v_fma_f64 v[27:28], -v[23:24], v[25:26], 1.0
	v_fma_f64 v[25:26], v[25:26], v[27:28], v[25:26]
	v_div_scale_f64 v[27:28], vcc_lo, 1.0, v[19:20], 1.0
	s_delay_alu instid0(VALU_DEP_1) | instskip(NEXT) | instid1(VALU_DEP_1)
	v_mul_f64 v[29:30], v[27:28], v[25:26]
	v_fma_f64 v[23:24], -v[23:24], v[29:30], v[27:28]
	s_delay_alu instid0(VALU_DEP_1) | instskip(NEXT) | instid1(VALU_DEP_1)
	v_div_fmas_f64 v[23:24], v[23:24], v[25:26], v[29:30]
	v_div_fixup_f64 v[19:20], v[23:24], v[19:20], 1.0
	s_delay_alu instid0(VALU_DEP_1) | instskip(NEXT) | instid1(VALU_DEP_1)
	v_mul_f64 v[19:20], v[21:22], v[19:20]
	v_mul_f64 v[21:22], v[19:20], s[60:61]
	v_cmp_nlt_f64_e32 vcc_lo, 0x40900000, v[19:20]
	v_cmp_ngt_f64_e64 s0, 0xc090cc00, v[19:20]
	s_delay_alu instid0(VALU_DEP_3) | instskip(NEXT) | instid1(VALU_DEP_1)
	v_rndne_f64_e32 v[21:22], v[21:22]
	v_fma_f64 v[23:24], v[21:22], s[66:67], v[19:20]
	v_cvt_i32_f64_e32 v1, v[21:22]
	s_delay_alu instid0(VALU_DEP_2) | instskip(NEXT) | instid1(VALU_DEP_1)
	v_fma_f64 v[23:24], v[21:22], s[62:63], v[23:24]
	v_mul_f64 v[25:26], v[23:24], s[68:69]
	s_delay_alu instid0(VALU_DEP_1) | instskip(NEXT) | instid1(VALU_DEP_1)
	v_fma_f64 v[23:24], v[23:24], s[70:71], v[25:26]
	v_fma_f64 v[25:26], v[23:24], s[4:5], s[2:3]
	s_delay_alu instid0(VALU_DEP_1) | instskip(NEXT) | instid1(VALU_DEP_1)
	v_fma_f64 v[25:26], v[23:24], v[25:26], s[6:7]
	v_fma_f64 v[25:26], v[23:24], v[25:26], s[12:13]
	s_delay_alu instid0(VALU_DEP_1) | instskip(NEXT) | instid1(VALU_DEP_1)
	v_fma_f64 v[25:26], v[23:24], v[25:26], s[14:15]
	v_fma_f64 v[25:26], v[23:24], v[25:26], s[18:19]
	s_delay_alu instid0(VALU_DEP_1) | instskip(NEXT) | instid1(VALU_DEP_1)
	v_fma_f64 v[25:26], v[23:24], v[25:26], s[20:21]
	v_fma_f64 v[25:26], v[23:24], v[25:26], s[22:23]
	s_delay_alu instid0(VALU_DEP_1) | instskip(NEXT) | instid1(VALU_DEP_1)
	v_fma_f64 v[25:26], v[23:24], v[25:26], s[24:25]
	v_fma_f64 v[25:26], v[23:24], v[25:26], s[26:27]
	s_delay_alu instid0(VALU_DEP_1) | instskip(NEXT) | instid1(VALU_DEP_1)
	v_fma_f64 v[25:26], v[23:24], v[25:26], 1.0
	v_fma_f64 v[23:24], v[23:24], v[25:26], 1.0
	s_delay_alu instid0(VALU_DEP_1) | instskip(NEXT) | instid1(VALU_DEP_1)
	v_ldexp_f64 v[21:22], v[23:24], v1
	v_cndmask_b32_e32 v1, 0x7ff00000, v22, vcc_lo
	s_and_b32 vcc_lo, s0, vcc_lo
	s_delay_alu instid0(VALU_DEP_2) | instskip(SKIP_1) | instid1(VALU_DEP_3)
	v_cndmask_b32_e32 v19, 0, v21, vcc_lo
	v_add_co_u32 v9, vcc_lo, s10, v9
	v_cndmask_b32_e64 v20, 0, v1, s0
	v_add_co_ci_u32_e32 v10, vcc_lo, s11, v10, vcc_lo
	v_add_nc_u32_e32 v1, s33, v0
	v_add_co_u32 v5, vcc_lo, s16, v5
	s_delay_alu instid0(VALU_DEP_4) | instskip(SKIP_1) | instid1(VALU_DEP_4)
	v_mul_f64 v[11:12], v[11:12], v[19:20]
	v_add_co_ci_u32_e32 v6, vcc_lo, s17, v6, vcc_lo
	v_lshlrev_b64 v[0:1], 3, v[1:2]
	s_delay_alu instid0(VALU_DEP_3)
	v_mul_f64 v[17:18], v[17:18], v[11:12]
	global_store_b64 v[15:16], v[17:18], off
	global_load_b64 v[15:16], v[9:10], off
	s_waitcnt vmcnt(0)
	v_mul_f64 v[11:12], v[15:16], v[11:12]
	global_store_b64 v[9:10], v[11:12], off
	global_load_b64 v[11:12], v[5:6], off
	v_add_co_u32 v5, vcc_lo, s8, v0
	v_add_co_ci_u32_e32 v6, vcc_lo, s9, v1, vcc_lo
	global_load_b64 v[9:10], v[5:6], off
	s_waitcnt vmcnt(0)
	v_div_scale_f64 v[15:16], null, v[9:10], v[9:10], 1.0
	s_delay_alu instid0(VALU_DEP_1) | instskip(SKIP_2) | instid1(VALU_DEP_1)
	v_rcp_f64_e32 v[17:18], v[15:16]
	s_waitcnt_depctr 0xfff
	v_fma_f64 v[19:20], -v[15:16], v[17:18], 1.0
	v_fma_f64 v[17:18], v[17:18], v[19:20], v[17:18]
	s_delay_alu instid0(VALU_DEP_1) | instskip(NEXT) | instid1(VALU_DEP_1)
	v_fma_f64 v[19:20], -v[15:16], v[17:18], 1.0
	v_fma_f64 v[17:18], v[17:18], v[19:20], v[17:18]
	v_div_scale_f64 v[19:20], vcc_lo, 1.0, v[9:10], 1.0
	s_delay_alu instid0(VALU_DEP_1) | instskip(NEXT) | instid1(VALU_DEP_1)
	v_mul_f64 v[21:22], v[19:20], v[17:18]
	v_fma_f64 v[15:16], -v[15:16], v[21:22], v[19:20]
	s_delay_alu instid0(VALU_DEP_1) | instskip(NEXT) | instid1(VALU_DEP_1)
	v_div_fmas_f64 v[15:16], v[15:16], v[17:18], v[21:22]
	v_div_fixup_f64 v[15:16], v[15:16], v[9:10], 1.0
	s_delay_alu instid0(VALU_DEP_1) | instskip(NEXT) | instid1(VALU_DEP_1)
	v_mul_f64 v[7:8], v[7:8], v[15:16]
	v_mul_f64 v[15:16], v[11:12], v[7:8]
	v_fma_f64 v[7:8], v[11:12], v[7:8], 1.0
	s_delay_alu instid0(VALU_DEP_1) | instskip(NEXT) | instid1(VALU_DEP_1)
	v_div_scale_f64 v[11:12], null, v[7:8], v[7:8], 1.0
	v_rcp_f64_e32 v[17:18], v[11:12]
	s_waitcnt_depctr 0xfff
	v_fma_f64 v[19:20], -v[11:12], v[17:18], 1.0
	s_delay_alu instid0(VALU_DEP_1) | instskip(NEXT) | instid1(VALU_DEP_1)
	v_fma_f64 v[17:18], v[17:18], v[19:20], v[17:18]
	v_fma_f64 v[19:20], -v[11:12], v[17:18], 1.0
	s_delay_alu instid0(VALU_DEP_1) | instskip(SKIP_1) | instid1(VALU_DEP_1)
	v_fma_f64 v[17:18], v[17:18], v[19:20], v[17:18]
	v_div_scale_f64 v[19:20], vcc_lo, 1.0, v[7:8], 1.0
	v_mul_f64 v[21:22], v[19:20], v[17:18]
	s_delay_alu instid0(VALU_DEP_1) | instskip(NEXT) | instid1(VALU_DEP_1)
	v_fma_f64 v[11:12], -v[11:12], v[21:22], v[19:20]
	v_div_fmas_f64 v[11:12], v[11:12], v[17:18], v[21:22]
	v_mov_b32_e32 v17, v2
	s_delay_alu instid0(VALU_DEP_2) | instskip(SKIP_1) | instid1(VALU_DEP_2)
	v_div_fixup_f64 v[7:8], v[11:12], v[7:8], 1.0
	v_max_f64 v[11:12], 0x38100000, v[15:16]
	v_mul_f64 v[7:8], v[15:16], v[7:8]
	s_delay_alu instid0(VALU_DEP_2) | instskip(SKIP_1) | instid1(VALU_DEP_2)
	v_frexp_mant_f64_e32 v[15:16], v[11:12]
	v_frexp_exp_i32_f64_e32 v19, v[11:12]
	v_cmp_gt_f64_e32 vcc_lo, s[52:53], v[15:16]
	v_cndmask_b32_e64 v18, 0x3ff00000, 2.0, vcc_lo
	s_delay_alu instid0(VALU_DEP_3) | instskip(SKIP_1) | instid1(VALU_DEP_3)
	v_subrev_co_ci_u32_e32 v29, vcc_lo, 0, v19, vcc_lo
	v_cmp_eq_f64_e32 vcc_lo, 0x7ff00000, v[11:12]
	v_mul_f64 v[15:16], v[15:16], v[17:18]
	s_delay_alu instid0(VALU_DEP_1) | instskip(SKIP_1) | instid1(VALU_DEP_2)
	v_add_f64 v[19:20], v[15:16], 1.0
	v_add_f64 v[17:18], v[15:16], -1.0
	v_add_f64 v[21:22], v[19:20], -1.0
	s_delay_alu instid0(VALU_DEP_1) | instskip(SKIP_3) | instid1(VALU_DEP_1)
	v_add_f64 v[15:16], v[15:16], -v[21:22]
	v_rcp_f64_e32 v[21:22], v[19:20]
	s_waitcnt_depctr 0xfff
	v_fma_f64 v[23:24], -v[19:20], v[21:22], 1.0
	v_fma_f64 v[21:22], v[23:24], v[21:22], v[21:22]
	s_delay_alu instid0(VALU_DEP_1) | instskip(NEXT) | instid1(VALU_DEP_1)
	v_fma_f64 v[23:24], -v[19:20], v[21:22], 1.0
	v_fma_f64 v[21:22], v[23:24], v[21:22], v[21:22]
	s_delay_alu instid0(VALU_DEP_1) | instskip(NEXT) | instid1(VALU_DEP_1)
	v_mul_f64 v[23:24], v[17:18], v[21:22]
	v_mul_f64 v[25:26], v[19:20], v[23:24]
	s_delay_alu instid0(VALU_DEP_1) | instskip(NEXT) | instid1(VALU_DEP_1)
	v_fma_f64 v[19:20], v[23:24], v[19:20], -v[25:26]
	v_fma_f64 v[15:16], v[23:24], v[15:16], v[19:20]
	s_delay_alu instid0(VALU_DEP_1) | instskip(NEXT) | instid1(VALU_DEP_1)
	v_add_f64 v[19:20], v[25:26], v[15:16]
	v_add_f64 v[27:28], v[17:18], -v[19:20]
	v_add_f64 v[25:26], v[19:20], -v[25:26]
	s_delay_alu instid0(VALU_DEP_2) | instskip(NEXT) | instid1(VALU_DEP_2)
	v_add_f64 v[17:18], v[17:18], -v[27:28]
	v_add_f64 v[15:16], v[25:26], -v[15:16]
	s_delay_alu instid0(VALU_DEP_2) | instskip(NEXT) | instid1(VALU_DEP_1)
	v_add_f64 v[17:18], v[17:18], -v[19:20]
	v_add_f64 v[15:16], v[15:16], v[17:18]
	s_delay_alu instid0(VALU_DEP_1) | instskip(NEXT) | instid1(VALU_DEP_1)
	v_add_f64 v[15:16], v[27:28], v[15:16]
	v_mul_f64 v[15:16], v[21:22], v[15:16]
	s_delay_alu instid0(VALU_DEP_1) | instskip(NEXT) | instid1(VALU_DEP_1)
	v_add_f64 v[17:18], v[23:24], v[15:16]
	v_add_f64 v[19:20], v[17:18], -v[23:24]
	v_ldexp_f64 v[23:24], v[17:18], 1
	s_delay_alu instid0(VALU_DEP_2) | instskip(SKIP_1) | instid1(VALU_DEP_2)
	v_add_f64 v[15:16], v[15:16], -v[19:20]
	v_mul_f64 v[19:20], v[17:18], v[17:18]
	v_ldexp_f64 v[15:16], v[15:16], 1
	s_delay_alu instid0(VALU_DEP_2) | instskip(SKIP_1) | instid1(VALU_DEP_2)
	v_fma_f64 v[21:22], v[19:20], s[50:51], s[46:47]
	v_mul_f64 v[17:18], v[17:18], v[19:20]
	v_fma_f64 v[21:22], v[19:20], v[21:22], s[38:39]
	s_delay_alu instid0(VALU_DEP_1) | instskip(NEXT) | instid1(VALU_DEP_1)
	v_fma_f64 v[21:22], v[19:20], v[21:22], s[40:41]
	v_fma_f64 v[21:22], v[19:20], v[21:22], s[42:43]
	s_delay_alu instid0(VALU_DEP_1) | instskip(NEXT) | instid1(VALU_DEP_1)
	v_fma_f64 v[21:22], v[19:20], v[21:22], s[44:45]
	v_fma_f64 v[21:22], v[19:20], v[21:22], s[48:49]
	s_delay_alu instid0(VALU_DEP_1) | instskip(NEXT) | instid1(VALU_DEP_1)
	v_mul_f64 v[17:18], v[17:18], v[21:22]
	v_add_f64 v[19:20], v[23:24], v[17:18]
	s_delay_alu instid0(VALU_DEP_1) | instskip(NEXT) | instid1(VALU_DEP_1)
	v_add_f64 v[21:22], v[19:20], -v[23:24]
	v_add_f64 v[17:18], v[17:18], -v[21:22]
	s_delay_alu instid0(VALU_DEP_1) | instskip(NEXT) | instid1(VALU_DEP_1)
	v_add_f64 v[15:16], v[15:16], v[17:18]
	v_add_f64 v[17:18], v[19:20], v[15:16]
	s_delay_alu instid0(VALU_DEP_1) | instskip(NEXT) | instid1(VALU_DEP_1)
	v_add_f64 v[19:20], v[17:18], -v[19:20]
	v_add_f64 v[15:16], v[15:16], -v[19:20]
	v_cvt_f64_i32_e32 v[19:20], v29
	s_delay_alu instid0(VALU_DEP_1) | instskip(NEXT) | instid1(VALU_DEP_1)
	v_mul_f64 v[21:22], v[19:20], s[34:35]
	v_fma_f64 v[23:24], v[19:20], s[34:35], -v[21:22]
	s_delay_alu instid0(VALU_DEP_1) | instskip(NEXT) | instid1(VALU_DEP_1)
	v_fma_f64 v[19:20], v[19:20], s[36:37], v[23:24]
	v_add_f64 v[23:24], v[21:22], v[19:20]
	s_delay_alu instid0(VALU_DEP_1) | instskip(NEXT) | instid1(VALU_DEP_1)
	v_add_f64 v[21:22], v[23:24], -v[21:22]
	v_add_f64 v[19:20], v[19:20], -v[21:22]
	v_mul_f64 v[21:22], v[17:18], s[30:31]
	s_delay_alu instid0(VALU_DEP_1) | instskip(NEXT) | instid1(VALU_DEP_1)
	v_fma_f64 v[25:26], v[17:18], s[30:31], -v[21:22]
	v_fma_f64 v[15:16], v[15:16], s[30:31], v[25:26]
	s_delay_alu instid0(VALU_DEP_1) | instskip(NEXT) | instid1(VALU_DEP_1)
	v_fma_f64 v[15:16], v[17:18], s[28:29], v[15:16]
	v_add_f64 v[17:18], v[21:22], v[15:16]
	s_delay_alu instid0(VALU_DEP_1) | instskip(NEXT) | instid1(VALU_DEP_1)
	v_add_f64 v[21:22], v[17:18], -v[21:22]
	v_add_f64 v[15:16], v[15:16], -v[21:22]
	v_add_f64 v[21:22], v[23:24], v[17:18]
	s_delay_alu instid0(VALU_DEP_1) | instskip(NEXT) | instid1(VALU_DEP_1)
	v_add_f64 v[25:26], v[21:22], -v[23:24]
	v_add_f64 v[27:28], v[21:22], -v[25:26]
	;; [unrolled: 1-line block ×3, first 2 shown]
	s_delay_alu instid0(VALU_DEP_2) | instskip(NEXT) | instid1(VALU_DEP_1)
	v_add_f64 v[23:24], v[23:24], -v[27:28]
	v_add_f64 v[17:18], v[17:18], v[23:24]
	v_add_f64 v[23:24], v[19:20], v[15:16]
	s_delay_alu instid0(VALU_DEP_1) | instskip(NEXT) | instid1(VALU_DEP_3)
	v_add_f64 v[25:26], v[23:24], -v[19:20]
	v_add_f64 v[17:18], v[23:24], v[17:18]
	s_delay_alu instid0(VALU_DEP_2) | instskip(SKIP_1) | instid1(VALU_DEP_2)
	v_add_f64 v[27:28], v[23:24], -v[25:26]
	v_add_f64 v[15:16], v[15:16], -v[25:26]
	;; [unrolled: 1-line block ×3, first 2 shown]
	s_delay_alu instid0(VALU_DEP_1) | instskip(SKIP_1) | instid1(VALU_DEP_1)
	v_add_f64 v[15:16], v[15:16], v[19:20]
	v_add_f64 v[19:20], v[21:22], v[17:18]
	v_add_f64 v[21:22], v[19:20], -v[21:22]
	s_delay_alu instid0(VALU_DEP_1) | instskip(NEXT) | instid1(VALU_DEP_1)
	v_add_f64 v[17:18], v[17:18], -v[21:22]
	v_add_f64 v[15:16], v[15:16], v[17:18]
	s_delay_alu instid0(VALU_DEP_1) | instskip(NEXT) | instid1(VALU_DEP_1)
	v_add_f64 v[15:16], v[19:20], v[15:16]
	v_dual_cndmask_b32 v12, v16, v12 :: v_dual_cndmask_b32 v11, v15, v11
	v_mul_f64 v[15:16], v[3:4], s[80:81]
	s_delay_alu instid0(VALU_DEP_1) | instskip(SKIP_2) | instid1(VALU_DEP_3)
	v_mul_f64 v[17:18], v[15:16], s[58:59]
	v_cmp_nlt_f64_e32 vcc_lo, 0x40900000, v[15:16]
	v_cmp_ngt_f64_e64 s0, 0xc090cc00, v[15:16]
	v_rndne_f64_e32 v[17:18], v[17:18]
	s_delay_alu instid0(VALU_DEP_1) | instskip(NEXT) | instid1(VALU_DEP_1)
	v_fma_f64 v[19:20], v[17:18], s[56:57], v[15:16]
	v_fma_f64 v[19:20], v[17:18], s[54:55], v[19:20]
	v_cvt_i32_f64_e32 v17, v[17:18]
	s_delay_alu instid0(VALU_DEP_2) | instskip(NEXT) | instid1(VALU_DEP_1)
	v_fma_f64 v[21:22], v[19:20], s[4:5], s[2:3]
	v_fma_f64 v[21:22], v[19:20], v[21:22], s[6:7]
	s_delay_alu instid0(VALU_DEP_1) | instskip(NEXT) | instid1(VALU_DEP_1)
	v_fma_f64 v[21:22], v[19:20], v[21:22], s[12:13]
	v_fma_f64 v[21:22], v[19:20], v[21:22], s[14:15]
	s_delay_alu instid0(VALU_DEP_1) | instskip(NEXT) | instid1(VALU_DEP_1)
	;; [unrolled: 3-line block ×4, first 2 shown]
	v_fma_f64 v[21:22], v[19:20], v[21:22], s[26:27]
	v_fma_f64 v[21:22], v[19:20], v[21:22], 1.0
	s_delay_alu instid0(VALU_DEP_1) | instskip(NEXT) | instid1(VALU_DEP_1)
	v_fma_f64 v[19:20], v[19:20], v[21:22], 1.0
	v_ldexp_f64 v[17:18], v[19:20], v17
	s_delay_alu instid0(VALU_DEP_1) | instskip(NEXT) | instid1(VALU_DEP_1)
	v_mul_f64 v[17:18], v[17:18], 0
	v_cndmask_b32_e32 v18, 0x7ff80000, v18, vcc_lo
	s_and_b32 vcc_lo, s0, vcc_lo
	s_delay_alu instid0(VALU_DEP_2) | instskip(NEXT) | instid1(VALU_DEP_2)
	v_cndmask_b32_e32 v15, 0, v17, vcc_lo
	v_cndmask_b32_e64 v16, 0, v18, s0
	s_mov_b32 s0, 0x7ea1cec1
	s_mov_b32 s1, 0xbf490384
	s_delay_alu instid0(SALU_CYCLE_1) | instskip(NEXT) | instid1(VALU_DEP_1)
	v_mul_f64 v[3:4], v[3:4], s[0:1]
	v_mul_f64 v[17:18], v[3:4], s[58:59]
	v_cmp_nlt_f64_e32 vcc_lo, 0x40900000, v[3:4]
	v_cmp_ngt_f64_e64 s0, 0xc090cc00, v[3:4]
	s_delay_alu instid0(VALU_DEP_3) | instskip(NEXT) | instid1(VALU_DEP_1)
	v_rndne_f64_e32 v[17:18], v[17:18]
	v_fma_f64 v[19:20], v[17:18], s[56:57], v[3:4]
	s_delay_alu instid0(VALU_DEP_1) | instskip(SKIP_1) | instid1(VALU_DEP_2)
	v_fma_f64 v[19:20], v[17:18], s[54:55], v[19:20]
	v_cvt_i32_f64_e32 v17, v[17:18]
	v_fma_f64 v[21:22], v[19:20], s[4:5], s[2:3]
	s_delay_alu instid0(VALU_DEP_1) | instskip(NEXT) | instid1(VALU_DEP_1)
	v_fma_f64 v[21:22], v[19:20], v[21:22], s[6:7]
	v_fma_f64 v[21:22], v[19:20], v[21:22], s[12:13]
	s_delay_alu instid0(VALU_DEP_1) | instskip(NEXT) | instid1(VALU_DEP_1)
	v_fma_f64 v[21:22], v[19:20], v[21:22], s[14:15]
	;; [unrolled: 3-line block ×4, first 2 shown]
	v_fma_f64 v[21:22], v[19:20], v[21:22], s[26:27]
	s_delay_alu instid0(VALU_DEP_1) | instskip(NEXT) | instid1(VALU_DEP_1)
	v_fma_f64 v[21:22], v[19:20], v[21:22], 1.0
	v_fma_f64 v[19:20], v[19:20], v[21:22], 1.0
	s_delay_alu instid0(VALU_DEP_1) | instskip(NEXT) | instid1(VALU_DEP_1)
	v_ldexp_f64 v[17:18], v[19:20], v17
	v_cndmask_b32_e32 v18, 0x7ff00000, v18, vcc_lo
	s_and_b32 vcc_lo, s0, vcc_lo
	s_delay_alu instid0(VALU_DEP_2) | instskip(SKIP_1) | instid1(VALU_DEP_3)
	v_cndmask_b32_e32 v3, 0, v17, vcc_lo
	v_cmp_nlt_f64_e32 vcc_lo, 0x40900000, v[13:14]
	v_cndmask_b32_e64 v4, 0, v18, s0
	v_cmp_ngt_f64_e64 s0, 0xc090cc00, v[13:14]
	s_delay_alu instid0(VALU_DEP_2) | instskip(SKIP_1) | instid1(VALU_DEP_1)
	v_add_f64 v[3:4], v[3:4], v[15:16]
	v_mul_f64 v[15:16], v[13:14], s[58:59]
	v_rndne_f64_e32 v[15:16], v[15:16]
	s_delay_alu instid0(VALU_DEP_1) | instskip(NEXT) | instid1(VALU_DEP_1)
	v_fma_f64 v[17:18], v[15:16], s[56:57], v[13:14]
	v_fma_f64 v[17:18], v[15:16], s[54:55], v[17:18]
	v_cvt_i32_f64_e32 v15, v[15:16]
	s_delay_alu instid0(VALU_DEP_2) | instskip(NEXT) | instid1(VALU_DEP_1)
	v_fma_f64 v[19:20], v[17:18], s[4:5], s[2:3]
	v_fma_f64 v[19:20], v[17:18], v[19:20], s[6:7]
	s_delay_alu instid0(VALU_DEP_1) | instskip(NEXT) | instid1(VALU_DEP_1)
	v_fma_f64 v[19:20], v[17:18], v[19:20], s[12:13]
	v_fma_f64 v[19:20], v[17:18], v[19:20], s[14:15]
	s_delay_alu instid0(VALU_DEP_1) | instskip(NEXT) | instid1(VALU_DEP_1)
	;; [unrolled: 3-line block ×4, first 2 shown]
	v_fma_f64 v[19:20], v[17:18], v[19:20], s[26:27]
	v_fma_f64 v[19:20], v[17:18], v[19:20], 1.0
	s_delay_alu instid0(VALU_DEP_1) | instskip(NEXT) | instid1(VALU_DEP_1)
	v_fma_f64 v[17:18], v[17:18], v[19:20], 1.0
	v_ldexp_f64 v[15:16], v[17:18], v15
	s_delay_alu instid0(VALU_DEP_1) | instskip(SKIP_1) | instid1(VALU_DEP_2)
	v_cndmask_b32_e32 v16, 0x7ff00000, v16, vcc_lo
	s_and_b32 vcc_lo, s0, vcc_lo
	v_cndmask_b32_e32 v13, 0, v15, vcc_lo
	v_mov_b32_e32 v15, v2
	s_delay_alu instid0(VALU_DEP_3) | instskip(NEXT) | instid1(VALU_DEP_1)
	v_cndmask_b32_e64 v14, 0, v16, s0
	v_add_f64 v[3:4], v[13:14], v[3:4]
	s_delay_alu instid0(VALU_DEP_1) | instskip(NEXT) | instid1(VALU_DEP_1)
	v_max_f64 v[3:4], 0x38100000, v[3:4]
	v_frexp_mant_f64_e32 v[13:14], v[3:4]
	v_frexp_exp_i32_f64_e32 v17, v[3:4]
	s_delay_alu instid0(VALU_DEP_2) | instskip(SKIP_1) | instid1(VALU_DEP_3)
	v_cmp_gt_f64_e32 vcc_lo, s[52:53], v[13:14]
	v_cndmask_b32_e64 v16, 0x3ff00000, 2.0, vcc_lo
	v_subrev_co_ci_u32_e32 v2, vcc_lo, 0, v17, vcc_lo
	v_cmp_eq_f64_e32 vcc_lo, 0x7ff00000, v[3:4]
	s_delay_alu instid0(VALU_DEP_3) | instskip(NEXT) | instid1(VALU_DEP_1)
	v_mul_f64 v[13:14], v[13:14], v[15:16]
	v_add_f64 v[17:18], v[13:14], 1.0
	v_add_f64 v[15:16], v[13:14], -1.0
	s_delay_alu instid0(VALU_DEP_2) | instskip(NEXT) | instid1(VALU_DEP_1)
	v_add_f64 v[19:20], v[17:18], -1.0
	v_add_f64 v[13:14], v[13:14], -v[19:20]
	v_rcp_f64_e32 v[19:20], v[17:18]
	s_waitcnt_depctr 0xfff
	v_fma_f64 v[21:22], -v[17:18], v[19:20], 1.0
	s_delay_alu instid0(VALU_DEP_1) | instskip(NEXT) | instid1(VALU_DEP_1)
	v_fma_f64 v[19:20], v[21:22], v[19:20], v[19:20]
	v_fma_f64 v[21:22], -v[17:18], v[19:20], 1.0
	s_delay_alu instid0(VALU_DEP_1) | instskip(NEXT) | instid1(VALU_DEP_1)
	v_fma_f64 v[19:20], v[21:22], v[19:20], v[19:20]
	v_mul_f64 v[21:22], v[15:16], v[19:20]
	s_delay_alu instid0(VALU_DEP_1) | instskip(NEXT) | instid1(VALU_DEP_1)
	v_mul_f64 v[23:24], v[17:18], v[21:22]
	v_fma_f64 v[17:18], v[21:22], v[17:18], -v[23:24]
	s_delay_alu instid0(VALU_DEP_1) | instskip(NEXT) | instid1(VALU_DEP_1)
	v_fma_f64 v[13:14], v[21:22], v[13:14], v[17:18]
	v_add_f64 v[17:18], v[23:24], v[13:14]
	s_delay_alu instid0(VALU_DEP_1) | instskip(SKIP_1) | instid1(VALU_DEP_2)
	v_add_f64 v[25:26], v[15:16], -v[17:18]
	v_add_f64 v[23:24], v[17:18], -v[23:24]
	;; [unrolled: 1-line block ×3, first 2 shown]
	s_delay_alu instid0(VALU_DEP_2) | instskip(NEXT) | instid1(VALU_DEP_2)
	v_add_f64 v[13:14], v[23:24], -v[13:14]
	v_add_f64 v[15:16], v[15:16], -v[17:18]
	s_delay_alu instid0(VALU_DEP_1) | instskip(NEXT) | instid1(VALU_DEP_1)
	v_add_f64 v[13:14], v[13:14], v[15:16]
	v_add_f64 v[13:14], v[25:26], v[13:14]
	s_delay_alu instid0(VALU_DEP_1) | instskip(NEXT) | instid1(VALU_DEP_1)
	v_mul_f64 v[13:14], v[19:20], v[13:14]
	v_add_f64 v[15:16], v[21:22], v[13:14]
	s_delay_alu instid0(VALU_DEP_1) | instskip(SKIP_1) | instid1(VALU_DEP_2)
	v_add_f64 v[17:18], v[15:16], -v[21:22]
	v_ldexp_f64 v[21:22], v[15:16], 1
	v_add_f64 v[13:14], v[13:14], -v[17:18]
	v_mul_f64 v[17:18], v[15:16], v[15:16]
	s_delay_alu instid0(VALU_DEP_2) | instskip(NEXT) | instid1(VALU_DEP_2)
	v_ldexp_f64 v[13:14], v[13:14], 1
	v_fma_f64 v[19:20], v[17:18], s[50:51], s[46:47]
	v_mul_f64 v[15:16], v[15:16], v[17:18]
	s_delay_alu instid0(VALU_DEP_2) | instskip(NEXT) | instid1(VALU_DEP_1)
	v_fma_f64 v[19:20], v[17:18], v[19:20], s[38:39]
	v_fma_f64 v[19:20], v[17:18], v[19:20], s[40:41]
	s_delay_alu instid0(VALU_DEP_1) | instskip(NEXT) | instid1(VALU_DEP_1)
	v_fma_f64 v[19:20], v[17:18], v[19:20], s[42:43]
	v_fma_f64 v[19:20], v[17:18], v[19:20], s[44:45]
	s_delay_alu instid0(VALU_DEP_1) | instskip(NEXT) | instid1(VALU_DEP_1)
	v_fma_f64 v[19:20], v[17:18], v[19:20], s[48:49]
	v_mul_f64 v[15:16], v[15:16], v[19:20]
	s_delay_alu instid0(VALU_DEP_1) | instskip(NEXT) | instid1(VALU_DEP_1)
	v_add_f64 v[17:18], v[21:22], v[15:16]
	v_add_f64 v[19:20], v[17:18], -v[21:22]
	s_delay_alu instid0(VALU_DEP_1) | instskip(NEXT) | instid1(VALU_DEP_1)
	v_add_f64 v[15:16], v[15:16], -v[19:20]
	v_add_f64 v[13:14], v[13:14], v[15:16]
	s_delay_alu instid0(VALU_DEP_1) | instskip(NEXT) | instid1(VALU_DEP_1)
	v_add_f64 v[15:16], v[17:18], v[13:14]
	v_add_f64 v[17:18], v[15:16], -v[17:18]
	s_delay_alu instid0(VALU_DEP_1) | instskip(SKIP_1) | instid1(VALU_DEP_1)
	v_add_f64 v[13:14], v[13:14], -v[17:18]
	v_cvt_f64_i32_e32 v[17:18], v2
	v_mul_f64 v[19:20], v[17:18], s[34:35]
	s_delay_alu instid0(VALU_DEP_1) | instskip(NEXT) | instid1(VALU_DEP_1)
	v_fma_f64 v[21:22], v[17:18], s[34:35], -v[19:20]
	v_fma_f64 v[17:18], v[17:18], s[36:37], v[21:22]
	s_delay_alu instid0(VALU_DEP_1) | instskip(NEXT) | instid1(VALU_DEP_1)
	v_add_f64 v[21:22], v[19:20], v[17:18]
	v_add_f64 v[19:20], v[21:22], -v[19:20]
	s_delay_alu instid0(VALU_DEP_1) | instskip(SKIP_1) | instid1(VALU_DEP_1)
	v_add_f64 v[17:18], v[17:18], -v[19:20]
	v_mul_f64 v[19:20], v[15:16], s[30:31]
	v_fma_f64 v[23:24], v[15:16], s[30:31], -v[19:20]
	s_delay_alu instid0(VALU_DEP_1) | instskip(NEXT) | instid1(VALU_DEP_1)
	v_fma_f64 v[13:14], v[13:14], s[30:31], v[23:24]
	v_fma_f64 v[13:14], v[15:16], s[28:29], v[13:14]
	s_delay_alu instid0(VALU_DEP_1) | instskip(NEXT) | instid1(VALU_DEP_1)
	v_add_f64 v[15:16], v[19:20], v[13:14]
	v_add_f64 v[19:20], v[15:16], -v[19:20]
	s_delay_alu instid0(VALU_DEP_1) | instskip(SKIP_1) | instid1(VALU_DEP_1)
	v_add_f64 v[13:14], v[13:14], -v[19:20]
	v_add_f64 v[19:20], v[21:22], v[15:16]
	v_add_f64 v[23:24], v[19:20], -v[21:22]
	s_delay_alu instid0(VALU_DEP_1) | instskip(SKIP_1) | instid1(VALU_DEP_2)
	v_add_f64 v[25:26], v[19:20], -v[23:24]
	v_add_f64 v[15:16], v[15:16], -v[23:24]
	v_add_f64 v[21:22], v[21:22], -v[25:26]
	s_delay_alu instid0(VALU_DEP_1) | instskip(SKIP_1) | instid1(VALU_DEP_1)
	v_add_f64 v[15:16], v[15:16], v[21:22]
	v_add_f64 v[21:22], v[17:18], v[13:14]
	v_add_f64 v[23:24], v[21:22], -v[17:18]
	s_delay_alu instid0(VALU_DEP_3) | instskip(NEXT) | instid1(VALU_DEP_2)
	v_add_f64 v[15:16], v[21:22], v[15:16]
	v_add_f64 v[25:26], v[21:22], -v[23:24]
	v_add_f64 v[13:14], v[13:14], -v[23:24]
	s_delay_alu instid0(VALU_DEP_2) | instskip(NEXT) | instid1(VALU_DEP_1)
	v_add_f64 v[17:18], v[17:18], -v[25:26]
	v_add_f64 v[13:14], v[13:14], v[17:18]
	v_add_f64 v[17:18], v[19:20], v[15:16]
	s_delay_alu instid0(VALU_DEP_1) | instskip(NEXT) | instid1(VALU_DEP_1)
	v_add_f64 v[19:20], v[17:18], -v[19:20]
	v_add_f64 v[15:16], v[15:16], -v[19:20]
	s_delay_alu instid0(VALU_DEP_1) | instskip(NEXT) | instid1(VALU_DEP_1)
	v_add_f64 v[13:14], v[13:14], v[15:16]
	v_add_f64 v[13:14], v[17:18], v[13:14]
	s_delay_alu instid0(VALU_DEP_1) | instskip(NEXT) | instid1(VALU_DEP_1)
	v_dual_cndmask_b32 v4, v14, v4 :: v_dual_cndmask_b32 v3, v13, v3
	v_fma_f64 v[15:16], v[3:4], s[74:75], s[72:73]
	v_fma_f64 v[13:14], v[3:4], s[64:65], 0x3fe80000
	s_delay_alu instid0(VALU_DEP_2) | instskip(NEXT) | instid1(VALU_DEP_1)
	v_add_f64 v[11:12], v[11:12], -v[15:16]
	v_fma_f64 v[13:14], v[11:12], s[76:77], v[13:14]
	s_delay_alu instid0(VALU_DEP_1) | instskip(NEXT) | instid1(VALU_DEP_1)
	v_div_scale_f64 v[15:16], null, v[13:14], v[13:14], 1.0
	v_rcp_f64_e32 v[17:18], v[15:16]
	s_waitcnt_depctr 0xfff
	v_fma_f64 v[19:20], -v[15:16], v[17:18], 1.0
	s_delay_alu instid0(VALU_DEP_1) | instskip(NEXT) | instid1(VALU_DEP_1)
	v_fma_f64 v[17:18], v[17:18], v[19:20], v[17:18]
	v_fma_f64 v[19:20], -v[15:16], v[17:18], 1.0
	s_delay_alu instid0(VALU_DEP_1) | instskip(SKIP_1) | instid1(VALU_DEP_1)
	v_fma_f64 v[17:18], v[17:18], v[19:20], v[17:18]
	v_div_scale_f64 v[19:20], vcc_lo, 1.0, v[13:14], 1.0
	v_mul_f64 v[21:22], v[19:20], v[17:18]
	s_delay_alu instid0(VALU_DEP_1) | instskip(NEXT) | instid1(VALU_DEP_1)
	v_fma_f64 v[15:16], -v[15:16], v[21:22], v[19:20]
	v_div_fmas_f64 v[15:16], v[15:16], v[17:18], v[21:22]
	s_delay_alu instid0(VALU_DEP_1) | instskip(NEXT) | instid1(VALU_DEP_1)
	v_div_fixup_f64 v[13:14], v[15:16], v[13:14], 1.0
	v_mul_f64 v[11:12], v[11:12], v[13:14]
	s_delay_alu instid0(VALU_DEP_1) | instskip(NEXT) | instid1(VALU_DEP_1)
	v_fma_f64 v[11:12], v[11:12], v[11:12], 1.0
	v_div_scale_f64 v[13:14], null, v[11:12], v[11:12], 1.0
	s_delay_alu instid0(VALU_DEP_1) | instskip(SKIP_2) | instid1(VALU_DEP_1)
	v_rcp_f64_e32 v[15:16], v[13:14]
	s_waitcnt_depctr 0xfff
	v_fma_f64 v[17:18], -v[13:14], v[15:16], 1.0
	v_fma_f64 v[15:16], v[15:16], v[17:18], v[15:16]
	s_delay_alu instid0(VALU_DEP_1) | instskip(NEXT) | instid1(VALU_DEP_1)
	v_fma_f64 v[17:18], -v[13:14], v[15:16], 1.0
	v_fma_f64 v[15:16], v[15:16], v[17:18], v[15:16]
	v_div_scale_f64 v[17:18], vcc_lo, 1.0, v[11:12], 1.0
	s_delay_alu instid0(VALU_DEP_1) | instskip(NEXT) | instid1(VALU_DEP_1)
	v_mul_f64 v[19:20], v[17:18], v[15:16]
	v_fma_f64 v[13:14], -v[13:14], v[19:20], v[17:18]
	s_delay_alu instid0(VALU_DEP_1) | instskip(NEXT) | instid1(VALU_DEP_1)
	v_div_fmas_f64 v[13:14], v[13:14], v[15:16], v[19:20]
	v_div_fixup_f64 v[11:12], v[13:14], v[11:12], 1.0
	s_delay_alu instid0(VALU_DEP_1) | instskip(NEXT) | instid1(VALU_DEP_1)
	v_mul_f64 v[2:3], v[3:4], v[11:12]
	v_mul_f64 v[11:12], v[2:3], s[60:61]
	v_cmp_nlt_f64_e32 vcc_lo, 0x40900000, v[2:3]
	v_cmp_ngt_f64_e64 s0, 0xc090cc00, v[2:3]
	s_delay_alu instid0(VALU_DEP_3) | instskip(NEXT) | instid1(VALU_DEP_1)
	v_rndne_f64_e32 v[11:12], v[11:12]
	v_fma_f64 v[13:14], v[11:12], s[66:67], v[2:3]
	v_cvt_i32_f64_e32 v4, v[11:12]
	s_delay_alu instid0(VALU_DEP_2) | instskip(NEXT) | instid1(VALU_DEP_1)
	v_fma_f64 v[13:14], v[11:12], s[62:63], v[13:14]
	v_mul_f64 v[15:16], v[13:14], s[68:69]
	s_delay_alu instid0(VALU_DEP_1) | instskip(NEXT) | instid1(VALU_DEP_1)
	v_fma_f64 v[13:14], v[13:14], s[70:71], v[15:16]
	v_fma_f64 v[15:16], v[13:14], s[4:5], s[2:3]
	s_delay_alu instid0(VALU_DEP_1) | instskip(NEXT) | instid1(VALU_DEP_1)
	v_fma_f64 v[15:16], v[13:14], v[15:16], s[6:7]
	v_fma_f64 v[15:16], v[13:14], v[15:16], s[12:13]
	;; [unrolled: 3-line block ×5, first 2 shown]
	s_delay_alu instid0(VALU_DEP_1) | instskip(NEXT) | instid1(VALU_DEP_1)
	v_fma_f64 v[15:16], v[13:14], v[15:16], 1.0
	v_fma_f64 v[13:14], v[13:14], v[15:16], 1.0
	s_delay_alu instid0(VALU_DEP_1) | instskip(NEXT) | instid1(VALU_DEP_1)
	v_ldexp_f64 v[11:12], v[13:14], v4
	v_cndmask_b32_e32 v4, 0x7ff00000, v12, vcc_lo
	s_and_b32 vcc_lo, s0, vcc_lo
	s_delay_alu instid0(VALU_DEP_2) | instskip(SKIP_1) | instid1(VALU_DEP_3)
	v_cndmask_b32_e32 v2, 0, v11, vcc_lo
	v_add_co_u32 v0, vcc_lo, s10, v0
	v_cndmask_b32_e64 v3, 0, v4, s0
	v_add_co_ci_u32_e32 v1, vcc_lo, s11, v1, vcc_lo
	s_delay_alu instid0(VALU_DEP_2) | instskip(NEXT) | instid1(VALU_DEP_1)
	v_mul_f64 v[2:3], v[7:8], v[2:3]
	v_mul_f64 v[7:8], v[9:10], v[2:3]
	global_store_b64 v[5:6], v[7:8], off
	global_load_b64 v[4:5], v[0:1], off
	s_waitcnt vmcnt(0)
	v_mul_f64 v[2:3], v[4:5], v[2:3]
	global_store_b64 v[0:1], v[2:3], off
	s_nop 0
	s_sendmsg sendmsg(MSG_DEALLOC_VGPRS)
	s_endpgm
	.section	.rodata,"a",@progbits
	.p2align	6, 0x0
	.amdhsa_kernel _Z12ratxb_kernelIdEvPKT_S2_PS0_S3_S2_S0_
		.amdhsa_group_segment_fixed_size 0
		.amdhsa_private_segment_fixed_size 0
		.amdhsa_kernarg_size 304
		.amdhsa_user_sgpr_count 15
		.amdhsa_user_sgpr_dispatch_ptr 0
		.amdhsa_user_sgpr_queue_ptr 0
		.amdhsa_user_sgpr_kernarg_segment_ptr 1
		.amdhsa_user_sgpr_dispatch_id 0
		.amdhsa_user_sgpr_private_segment_size 0
		.amdhsa_wavefront_size32 1
		.amdhsa_uses_dynamic_stack 0
		.amdhsa_enable_private_segment 0
		.amdhsa_system_sgpr_workgroup_id_x 1
		.amdhsa_system_sgpr_workgroup_id_y 0
		.amdhsa_system_sgpr_workgroup_id_z 0
		.amdhsa_system_sgpr_workgroup_info 0
		.amdhsa_system_vgpr_workitem_id 0
		.amdhsa_next_free_vgpr 69
		.amdhsa_next_free_sgpr 86
		.amdhsa_reserve_vcc 1
		.amdhsa_float_round_mode_32 0
		.amdhsa_float_round_mode_16_64 0
		.amdhsa_float_denorm_mode_32 3
		.amdhsa_float_denorm_mode_16_64 3
		.amdhsa_dx10_clamp 1
		.amdhsa_ieee_mode 1
		.amdhsa_fp16_overflow 0
		.amdhsa_workgroup_processor_mode 1
		.amdhsa_memory_ordered 1
		.amdhsa_forward_progress 0
		.amdhsa_shared_vgpr_count 0
		.amdhsa_exception_fp_ieee_invalid_op 0
		.amdhsa_exception_fp_denorm_src 0
		.amdhsa_exception_fp_ieee_div_zero 0
		.amdhsa_exception_fp_ieee_overflow 0
		.amdhsa_exception_fp_ieee_underflow 0
		.amdhsa_exception_fp_ieee_inexact 0
		.amdhsa_exception_int_div_zero 0
	.end_amdhsa_kernel
	.section	.text._Z12ratxb_kernelIdEvPKT_S2_PS0_S3_S2_S0_,"axG",@progbits,_Z12ratxb_kernelIdEvPKT_S2_PS0_S3_S2_S0_,comdat
.Lfunc_end40:
	.size	_Z12ratxb_kernelIdEvPKT_S2_PS0_S3_S2_S0_, .Lfunc_end40-_Z12ratxb_kernelIdEvPKT_S2_PS0_S3_S2_S0_
                                        ; -- End function
	.section	.AMDGPU.csdata,"",@progbits
; Kernel info:
; codeLenInByte = 32428
; NumSgprs: 88
; NumVgprs: 69
; ScratchSize: 0
; MemoryBound: 0
; FloatMode: 240
; IeeeMode: 1
; LDSByteSize: 0 bytes/workgroup (compile time only)
; SGPRBlocks: 10
; VGPRBlocks: 8
; NumSGPRsForWavesPerEU: 88
; NumVGPRsForWavesPerEU: 69
; Occupancy: 16
; WaveLimiterHint : 0
; COMPUTE_PGM_RSRC2:SCRATCH_EN: 0
; COMPUTE_PGM_RSRC2:USER_SGPR: 15
; COMPUTE_PGM_RSRC2:TRAP_HANDLER: 0
; COMPUTE_PGM_RSRC2:TGID_X_EN: 1
; COMPUTE_PGM_RSRC2:TGID_Y_EN: 0
; COMPUTE_PGM_RSRC2:TGID_Z_EN: 0
; COMPUTE_PGM_RSRC2:TIDIG_COMP_CNT: 0
	.section	.text._Z12ratx2_kernelIdEvPKT_PS0_S3_,"axG",@progbits,_Z12ratx2_kernelIdEvPKT_PS0_S3_,comdat
	.protected	_Z12ratx2_kernelIdEvPKT_PS0_S3_ ; -- Begin function _Z12ratx2_kernelIdEvPKT_PS0_S3_
	.globl	_Z12ratx2_kernelIdEvPKT_PS0_S3_
	.p2align	8
	.type	_Z12ratx2_kernelIdEvPKT_PS0_S3_,@function
_Z12ratx2_kernelIdEvPKT_PS0_S3_:        ; @_Z12ratx2_kernelIdEvPKT_PS0_S3_
; %bb.0:
	s_clause 0x2
	s_load_b32 s4, s[0:1], 0x24
	s_load_b32 s5, s[0:1], 0x18
	s_load_b128 s[0:3], s[0:1], 0x0
	s_waitcnt lgkmcnt(0)
	s_and_b32 s4, s4, 0xffff
	s_delay_alu instid0(SALU_CYCLE_1) | instskip(SKIP_3) | instid1(VALU_DEP_1)
	v_mad_u64_u32 v[1:2], null, s15, s4, v[0:1]
	s_mul_i32 s4, s5, s4
	v_mov_b32_e32 v2, 0
	s_lshl_b32 s5, s4, 1
	v_dual_mov_b32 v4, v2 :: v_dual_add_nc_u32 v3, s4, v1
	v_lshlrev_b64 v[7:8], 3, v[1:2]
	v_add_nc_u32_e32 v1, s5, v1
	s_delay_alu instid0(VALU_DEP_3) | instskip(SKIP_1) | instid1(VALU_DEP_4)
	v_lshlrev_b64 v[9:10], 3, v[3:4]
	v_add_nc_u32_e32 v3, s5, v3
	v_add_co_u32 v11, vcc_lo, s2, v7
	v_add_co_ci_u32_e32 v12, vcc_lo, s3, v8, vcc_lo
	s_delay_alu instid0(VALU_DEP_4)
	v_add_co_u32 v4, vcc_lo, s0, v9
	v_add_co_ci_u32_e32 v5, vcc_lo, s1, v10, vcc_lo
	global_load_b64 v[13:14], v[11:12], off
	global_load_b64 v[5:6], v[4:5], off
	v_mov_b32_e32 v4, v2
	v_lshlrev_b64 v[17:18], 3, v[1:2]
	v_add_nc_u32_e32 v1, s5, v1
	s_delay_alu instid0(VALU_DEP_3) | instskip(NEXT) | instid1(VALU_DEP_1)
	v_lshlrev_b64 v[15:16], 3, v[3:4]
	v_add_co_u32 v3, vcc_lo, s0, v15
	s_delay_alu instid0(VALU_DEP_2)
	v_add_co_ci_u32_e32 v4, vcc_lo, s1, v16, vcc_lo
	v_add_co_u32 v19, vcc_lo, s0, v17
	v_add_co_ci_u32_e32 v20, vcc_lo, s1, v18, vcc_lo
	global_load_b64 v[3:4], v[3:4], off
	v_add_co_u32 v21, vcc_lo, s0, v7
	v_add_co_ci_u32_e32 v22, vcc_lo, s1, v8, vcc_lo
	s_clause 0x1
	global_load_b64 v[7:8], v[19:20], off
	global_load_b64 v[23:24], v[21:22], off
	v_add_co_u32 v19, vcc_lo, s2, v9
	v_add_co_ci_u32_e32 v20, vcc_lo, s3, v10, vcc_lo
	s_waitcnt vmcnt(3)
	v_mul_f64 v[13:14], v[13:14], v[5:6]
	s_waitcnt vmcnt(2)
	s_delay_alu instid0(VALU_DEP_1) | instskip(SKIP_4) | instid1(VALU_DEP_1)
	v_mul_f64 v[13:14], v[13:14], v[3:4]
	global_store_b64 v[11:12], v[13:14], off
	global_load_b64 v[9:10], v[19:20], off
	s_waitcnt vmcnt(0)
	v_mul_f64 v[9:10], v[9:10], v[7:8]
	v_mul_f64 v[11:12], v[9:10], v[23:24]
	v_lshlrev_b64 v[9:10], 3, v[1:2]
	v_add_nc_u32_e32 v1, s4, v1
	s_delay_alu instid0(VALU_DEP_2) | instskip(NEXT) | instid1(VALU_DEP_3)
	v_add_co_u32 v9, vcc_lo, s0, v9
	v_add_co_ci_u32_e32 v10, vcc_lo, s1, v10, vcc_lo
	v_add_co_u32 v13, vcc_lo, s2, v17
	v_add_co_ci_u32_e32 v14, vcc_lo, s3, v18, vcc_lo
	global_load_b64 v[9:10], v[9:10], off
	v_lshlrev_b64 v[17:18], 3, v[1:2]
	v_add_nc_u32_e32 v1, s4, v1
	s_delay_alu instid0(VALU_DEP_1) | instskip(SKIP_1) | instid1(VALU_DEP_4)
	v_lshlrev_b64 v[25:26], 3, v[1:2]
	v_add_nc_u32_e32 v1, s4, v1
	v_add_co_u32 v31, vcc_lo, s0, v17
	v_add_co_ci_u32_e32 v32, vcc_lo, s1, v18, vcc_lo
	s_delay_alu instid0(VALU_DEP_3) | instskip(SKIP_1) | instid1(VALU_DEP_1)
	v_lshlrev_b64 v[35:36], 3, v[1:2]
	v_lshl_add_u32 v1, s4, 2, v1
	v_lshlrev_b64 v[21:22], 3, v[1:2]
	v_add_nc_u32_e32 v1, s4, v1
	global_store_b64 v[19:20], v[11:12], off
	global_load_b64 v[11:12], v[13:14], off
	v_lshlrev_b64 v[19:20], 3, v[1:2]
	v_add_nc_u32_e32 v1, s4, v1
	v_add_co_u32 v21, vcc_lo, s0, v21
	v_add_co_ci_u32_e32 v22, vcc_lo, s1, v22, vcc_lo
	s_delay_alu instid0(VALU_DEP_3) | instskip(SKIP_1) | instid1(VALU_DEP_1)
	v_lshlrev_b64 v[27:28], 3, v[1:2]
	v_add_nc_u32_e32 v1, s4, v1
	v_mad_u64_u32 v[29:30], null, s4, 7, v[1:2]
	v_mov_b32_e32 v30, v2
	s_delay_alu instid0(VALU_DEP_1) | instskip(NEXT) | instid1(VALU_DEP_1)
	v_lshlrev_b64 v[39:40], 3, v[29:30]
	v_add_co_u32 v37, vcc_lo, s0, v39
	s_delay_alu instid0(VALU_DEP_2)
	v_add_co_ci_u32_e32 v38, vcc_lo, s1, v40, vcc_lo
	v_add_co_u32 v15, vcc_lo, s2, v15
	v_add_co_ci_u32_e32 v16, vcc_lo, s3, v16, vcc_lo
	s_clause 0x2
	global_load_b64 v[33:34], v[31:32], off
	global_load_b64 v[31:32], v[21:22], off
	;; [unrolled: 1-line block ×3, first 2 shown]
	v_lshlrev_b64 v[21:22], 3, v[1:2]
	s_waitcnt vmcnt(3)
	v_mul_f64 v[11:12], v[11:12], v[9:10]
	s_delay_alu instid0(VALU_DEP_1)
	v_mul_f64 v[11:12], v[23:24], v[11:12]
	global_store_b64 v[13:14], v[11:12], off
	global_load_b64 v[11:12], v[15:16], off
	v_add_co_u32 v13, vcc_lo, s2, v17
	v_add_co_ci_u32_e32 v14, vcc_lo, s3, v18, vcc_lo
	s_waitcnt vmcnt(0)
	v_mul_f64 v[11:12], v[9:10], v[11:12]
	s_delay_alu instid0(VALU_DEP_1)
	v_mul_f64 v[11:12], v[9:10], v[11:12]
	global_store_b64 v[15:16], v[11:12], off
	global_load_b64 v[11:12], v[13:14], off
	v_add_co_u32 v15, vcc_lo, s2, v25
	v_add_co_ci_u32_e32 v16, vcc_lo, s3, v26, vcc_lo
	s_waitcnt vmcnt(0)
	v_mul_f64 v[11:12], v[5:6], v[11:12]
	s_delay_alu instid0(VALU_DEP_1) | instskip(NEXT) | instid1(VALU_DEP_1)
	v_mul_f64 v[11:12], v[5:6], v[11:12]
	v_mul_f64 v[11:12], v[23:24], v[11:12]
	global_store_b64 v[13:14], v[11:12], off
	global_load_b64 v[11:12], v[15:16], off
	v_add_co_u32 v13, vcc_lo, s2, v35
	v_add_co_ci_u32_e32 v14, vcc_lo, s3, v36, vcc_lo
	s_waitcnt vmcnt(0)
	v_mul_f64 v[11:12], v[5:6], v[11:12]
	s_delay_alu instid0(VALU_DEP_1) | instskip(NEXT) | instid1(VALU_DEP_1)
	v_mul_f64 v[11:12], v[5:6], v[11:12]
	;; [unrolled: 9-line block ×3, first 2 shown]
	v_mul_f64 v[11:12], v[31:32], v[11:12]
	global_store_b64 v[13:14], v[11:12], off
	global_load_b64 v[11:12], v[15:16], off
	v_add_co_u32 v13, vcc_lo, s2, v27
	v_add_co_ci_u32_e32 v14, vcc_lo, s3, v28, vcc_lo
	v_add_co_u32 v0, vcc_lo, s2, v21
	v_add_co_ci_u32_e32 v1, vcc_lo, s3, v22, vcc_lo
	s_waitcnt vmcnt(0)
	v_mul_f64 v[11:12], v[5:6], v[11:12]
	s_delay_alu instid0(VALU_DEP_1) | instskip(NEXT) | instid1(VALU_DEP_1)
	v_mul_f64 v[11:12], v[3:4], v[11:12]
	v_mul_f64 v[11:12], v[3:4], v[11:12]
	global_store_b64 v[15:16], v[11:12], off
	global_load_b64 v[11:12], v[13:14], off
	s_waitcnt vmcnt(0)
	v_mul_f64 v[11:12], v[5:6], v[11:12]
	s_delay_alu instid0(VALU_DEP_1) | instskip(NEXT) | instid1(VALU_DEP_1)
	v_mul_f64 v[11:12], v[3:4], v[11:12]
	v_mul_f64 v[11:12], v[33:34], v[11:12]
	global_store_b64 v[13:14], v[11:12], off
	global_load_b64 v[11:12], v[0:1], off
	v_mad_u64_u32 v[13:14], null, s4, -6, v[29:30]
	v_mov_b32_e32 v14, v2
	s_delay_alu instid0(VALU_DEP_1) | instskip(NEXT) | instid1(VALU_DEP_1)
	v_lshlrev_b64 v[17:18], 3, v[13:14]
	v_add_co_u32 v14, vcc_lo, s2, v17
	s_delay_alu instid0(VALU_DEP_2) | instskip(SKIP_2) | instid1(VALU_DEP_1)
	v_add_co_ci_u32_e32 v15, vcc_lo, s3, v18, vcc_lo
	s_waitcnt vmcnt(0)
	v_mul_f64 v[11:12], v[5:6], v[11:12]
	v_mul_f64 v[11:12], v[3:4], v[11:12]
	s_delay_alu instid0(VALU_DEP_1)
	v_mul_f64 v[11:12], v[37:38], v[11:12]
	global_store_b64 v[0:1], v[11:12], off
	global_load_b64 v[0:1], v[14:15], off
	v_add_co_u32 v11, vcc_lo, s0, v25
	v_add_co_ci_u32_e32 v12, vcc_lo, s1, v26, vcc_lo
	global_load_b64 v[11:12], v[11:12], off
	s_waitcnt vmcnt(1)
	v_mul_f64 v[0:1], v[9:10], v[0:1]
	s_delay_alu instid0(VALU_DEP_1) | instskip(SKIP_1) | instid1(VALU_DEP_1)
	v_mul_f64 v[43:44], v[9:10], v[0:1]
	v_add_nc_u32_e32 v1, s4, v13
	v_lshlrev_b64 v[29:30], 3, v[1:2]
	v_add_nc_u32_e32 v1, s4, v1
	s_delay_alu instid0(VALU_DEP_1) | instskip(NEXT) | instid1(VALU_DEP_3)
	v_lshlrev_b64 v[25:26], 3, v[1:2]
	v_add_co_u32 v41, vcc_lo, s2, v29
	s_delay_alu instid0(VALU_DEP_4) | instskip(SKIP_3) | instid1(VALU_DEP_3)
	v_add_co_ci_u32_e32 v42, vcc_lo, s3, v30, vcc_lo
	v_add_nc_u32_e32 v1, s4, v1
	v_add_co_u32 v35, vcc_lo, s0, v35
	v_add_co_ci_u32_e32 v36, vcc_lo, s1, v36, vcc_lo
	v_lshlrev_b64 v[45:46], 3, v[1:2]
	v_add_nc_u32_e32 v1, s4, v1
	global_store_b64 v[14:15], v[43:44], off
	global_load_b64 v[43:44], v[41:42], off
	v_lshlrev_b64 v[15:16], 3, v[1:2]
	v_add_nc_u32_e32 v1, s4, v1
	s_delay_alu instid0(VALU_DEP_1) | instskip(SKIP_1) | instid1(VALU_DEP_1)
	v_lshlrev_b64 v[13:14], 3, v[1:2]
	v_add_nc_u32_e32 v1, s5, v1
	v_lshlrev_b64 v[47:48], 3, v[1:2]
	v_add_nc_u32_e32 v1, s4, v1
	s_delay_alu instid0(VALU_DEP_1) | instskip(SKIP_1) | instid1(VALU_DEP_1)
	v_lshlrev_b64 v[49:50], 3, v[1:2]
	v_add_nc_u32_e32 v1, s4, v1
	;; [unrolled: 5-line block ×4, first 2 shown]
	v_mad_u64_u32 v[59:60], null, 0xffffffed, s4, v[1:2]
	v_mov_b32_e32 v60, v2
	v_lshlrev_b64 v[0:1], 3, v[1:2]
	s_delay_alu instid0(VALU_DEP_2) | instskip(NEXT) | instid1(VALU_DEP_1)
	v_lshlrev_b64 v[60:61], 3, v[59:60]
	v_add_co_u32 v60, vcc_lo, s0, v60
	s_delay_alu instid0(VALU_DEP_2)
	v_add_co_ci_u32_e32 v61, vcc_lo, s1, v61, vcc_lo
	v_add_co_u32 v62, vcc_lo, s0, v19
	v_add_co_ci_u32_e32 v63, vcc_lo, s1, v20, vcc_lo
	s_clause 0x2
	global_load_b64 v[19:20], v[35:36], off
	global_load_b64 v[60:61], v[60:61], off
	;; [unrolled: 1-line block ×3, first 2 shown]
	v_add_co_u32 v62, vcc_lo, s2, v25
	v_add_co_ci_u32_e32 v63, vcc_lo, s3, v26, vcc_lo
	s_waitcnt vmcnt(3)
	v_mul_f64 v[43:44], v[43:44], v[11:12]
	s_delay_alu instid0(VALU_DEP_1)
	v_mul_f64 v[43:44], v[5:6], v[43:44]
	global_store_b64 v[41:42], v[43:44], off
	global_load_b64 v[41:42], v[62:63], off
	v_add_co_u32 v43, vcc_lo, s2, v45
	v_add_co_ci_u32_e32 v44, vcc_lo, s3, v46, vcc_lo
	v_add_co_u32 v45, vcc_lo, s2, v15
	v_add_co_ci_u32_e32 v46, vcc_lo, s3, v16, vcc_lo
	s_waitcnt vmcnt(0)
	v_mul_f64 v[41:42], v[11:12], v[41:42]
	s_delay_alu instid0(VALU_DEP_1) | instskip(SKIP_4) | instid1(VALU_DEP_1)
	v_mul_f64 v[41:42], v[5:6], v[41:42]
	global_store_b64 v[62:63], v[41:42], off
	global_load_b64 v[41:42], v[43:44], off
	s_waitcnt vmcnt(0)
	v_mul_f64 v[41:42], v[11:12], v[41:42]
	v_mul_f64 v[41:42], v[5:6], v[41:42]
	global_store_b64 v[43:44], v[41:42], off
	global_load_b64 v[41:42], v[45:46], off
	v_add_co_u32 v43, vcc_lo, s2, v13
	v_add_co_ci_u32_e32 v44, vcc_lo, s3, v14, vcc_lo
	v_add_co_u32 v39, vcc_lo, s2, v39
	v_add_co_ci_u32_e32 v40, vcc_lo, s3, v40, vcc_lo
	s_waitcnt vmcnt(0)
	v_mul_f64 v[41:42], v[11:12], v[41:42]
	s_delay_alu instid0(VALU_DEP_1) | instskip(SKIP_4) | instid1(VALU_DEP_1)
	v_mul_f64 v[41:42], v[7:8], v[41:42]
	global_store_b64 v[45:46], v[41:42], off
	global_load_b64 v[41:42], v[43:44], off
	s_waitcnt vmcnt(0)
	v_mul_f64 v[41:42], v[11:12], v[41:42]
	v_mul_f64 v[41:42], v[9:10], v[41:42]
	global_store_b64 v[43:44], v[41:42], off
	global_load_b64 v[41:42], v[39:40], off
	v_add_co_u32 v43, vcc_lo, s2, v47
	v_add_co_ci_u32_e32 v44, vcc_lo, s3, v48, vcc_lo
	s_waitcnt vmcnt(0)
	v_mul_f64 v[41:42], v[11:12], v[41:42]
	s_delay_alu instid0(VALU_DEP_1)
	v_mul_f64 v[41:42], v[11:12], v[41:42]
	global_store_b64 v[39:40], v[41:42], off
	global_load_b64 v[39:40], v[43:44], off
	v_add_co_u32 v41, vcc_lo, s2, v49
	v_add_co_ci_u32_e32 v42, vcc_lo, s3, v50, vcc_lo
	s_waitcnt vmcnt(0)
	v_mul_f64 v[39:40], v[11:12], v[39:40]
	s_delay_alu instid0(VALU_DEP_1)
	;; [unrolled: 8-line block ×5, first 2 shown]
	v_mul_f64 v[39:40], v[7:8], v[39:40]
	global_store_b64 v[41:42], v[39:40], off
	global_load_b64 v[39:40], v[43:44], off
	v_add_co_u32 v41, vcc_lo, s2, v57
	v_add_co_ci_u32_e32 v42, vcc_lo, s3, v58, vcc_lo
	v_add_co_u32 v0, vcc_lo, s2, v0
	v_add_co_ci_u32_e32 v1, vcc_lo, s3, v1, vcc_lo
	s_waitcnt vmcnt(0)
	v_mul_f64 v[39:40], v[19:20], v[39:40]
	s_delay_alu instid0(VALU_DEP_1) | instskip(SKIP_4) | instid1(VALU_DEP_1)
	v_mul_f64 v[39:40], v[9:10], v[39:40]
	global_store_b64 v[43:44], v[39:40], off
	global_load_b64 v[39:40], v[41:42], off
	s_waitcnt vmcnt(0)
	v_mul_f64 v[39:40], v[19:20], v[39:40]
	v_mul_f64 v[39:40], v[9:10], v[39:40]
	global_store_b64 v[41:42], v[39:40], off
	global_load_b64 v[39:40], v[0:1], off
	v_mad_u64_u32 v[41:42], null, s4, 20, v[59:60]
	v_mov_b32_e32 v42, v2
	s_delay_alu instid0(VALU_DEP_1) | instskip(NEXT) | instid1(VALU_DEP_1)
	v_lshlrev_b64 v[42:43], 3, v[41:42]
	v_add_co_u32 v42, vcc_lo, s2, v42
	s_delay_alu instid0(VALU_DEP_2) | instskip(SKIP_2) | instid1(VALU_DEP_1)
	v_add_co_ci_u32_e32 v43, vcc_lo, s3, v43, vcc_lo
	s_waitcnt vmcnt(0)
	v_mul_f64 v[39:40], v[39:40], v[60:61]
	v_mul_f64 v[39:40], v[9:10], v[39:40]
	global_store_b64 v[0:1], v[39:40], off
	global_load_b64 v[0:1], v[42:43], off
	s_waitcnt vmcnt(0)
	v_mul_f64 v[0:1], v[60:61], v[0:1]
	s_delay_alu instid0(VALU_DEP_1) | instskip(SKIP_1) | instid1(VALU_DEP_1)
	v_mul_f64 v[39:40], v[23:24], v[0:1]
	v_add_nc_u32_e32 v1, s4, v41
	v_lshlrev_b64 v[44:45], 3, v[1:2]
	v_add_nc_u32_e32 v1, s4, v1
	s_delay_alu instid0(VALU_DEP_2) | instskip(NEXT) | instid1(VALU_DEP_3)
	v_add_co_u32 v44, vcc_lo, s2, v44
	v_add_co_ci_u32_e32 v45, vcc_lo, s3, v45, vcc_lo
	global_store_b64 v[42:43], v[39:40], off
	global_load_b64 v[39:40], v[44:45], off
	v_lshlrev_b64 v[41:42], 3, v[1:2]
	v_add_nc_u32_e32 v1, s4, v1
	s_delay_alu instid0(VALU_DEP_2) | instskip(NEXT) | instid1(VALU_DEP_3)
	v_add_co_u32 v41, vcc_lo, s2, v41
	v_add_co_ci_u32_e32 v42, vcc_lo, s3, v42, vcc_lo
	s_waitcnt vmcnt(0)
	v_mul_f64 v[39:40], v[60:61], v[39:40]
	s_delay_alu instid0(VALU_DEP_1) | instskip(SKIP_4) | instid1(VALU_DEP_2)
	v_mul_f64 v[39:40], v[3:4], v[39:40]
	global_store_b64 v[44:45], v[39:40], off
	global_load_b64 v[39:40], v[41:42], off
	v_lshlrev_b64 v[43:44], 3, v[1:2]
	v_add_nc_u32_e32 v1, s4, v1
	v_add_co_u32 v43, vcc_lo, s2, v43
	s_delay_alu instid0(VALU_DEP_3) | instskip(SKIP_2) | instid1(VALU_DEP_1)
	v_add_co_ci_u32_e32 v44, vcc_lo, s3, v44, vcc_lo
	s_waitcnt vmcnt(0)
	v_mul_f64 v[39:40], v[60:61], v[39:40]
	v_mul_f64 v[39:40], v[11:12], v[39:40]
	global_store_b64 v[41:42], v[39:40], off
	global_load_b64 v[39:40], v[43:44], off
	v_lshlrev_b64 v[41:42], 3, v[1:2]
	v_add_nc_u32_e32 v1, s4, v1
	s_delay_alu instid0(VALU_DEP_2) | instskip(NEXT) | instid1(VALU_DEP_3)
	v_add_co_u32 v41, vcc_lo, s2, v41
	v_add_co_ci_u32_e32 v42, vcc_lo, s3, v42, vcc_lo
	s_waitcnt vmcnt(0)
	v_mul_f64 v[39:40], v[7:8], v[39:40]
	global_store_b64 v[43:44], v[39:40], off
	global_load_b64 v[39:40], v[41:42], off
	v_lshlrev_b64 v[43:44], 3, v[1:2]
	v_add_nc_u32_e32 v1, s4, v1
	s_delay_alu instid0(VALU_DEP_2) | instskip(NEXT) | instid1(VALU_DEP_3)
	v_add_co_u32 v43, vcc_lo, s2, v43
	v_add_co_ci_u32_e32 v44, vcc_lo, s3, v44, vcc_lo
	s_waitcnt vmcnt(0)
	;; [unrolled: 9-line block ×20, first 2 shown]
	v_mul_f64 v[39:40], v[9:10], v[39:40]
	global_store_b64 v[41:42], v[39:40], off
	global_load_b64 v[39:40], v[43:44], off
	v_lshlrev_b64 v[41:42], 3, v[1:2]
	s_delay_alu instid0(VALU_DEP_1) | instskip(NEXT) | instid1(VALU_DEP_2)
	v_add_co_u32 v41, vcc_lo, s2, v41
	v_add_co_ci_u32_e32 v42, vcc_lo, s3, v42, vcc_lo
	s_waitcnt vmcnt(0)
	v_mul_f64 v[39:40], v[11:12], v[39:40]
	global_store_b64 v[43:44], v[39:40], off
	global_load_b64 v[39:40], v[41:42], off
	v_mad_u64_u32 v[43:44], null, s4, 3, v[1:2]
	v_mov_b32_e32 v44, v2
	s_delay_alu instid0(VALU_DEP_1) | instskip(NEXT) | instid1(VALU_DEP_1)
	v_lshlrev_b64 v[0:1], 3, v[43:44]
	v_add_co_u32 v44, vcc_lo, s2, v0
	s_delay_alu instid0(VALU_DEP_2)
	v_add_co_ci_u32_e32 v45, vcc_lo, s3, v1, vcc_lo
	s_waitcnt vmcnt(0)
	v_mul_f64 v[39:40], v[60:61], v[39:40]
	global_store_b64 v[41:42], v[39:40], off
	global_load_b64 v[0:1], v[44:45], off
	s_waitcnt vmcnt(0)
	v_mul_f64 v[37:38], v[37:38], v[0:1]
	v_add_nc_u32_e32 v1, s4, v43
	s_delay_alu instid0(VALU_DEP_1) | instskip(SKIP_1) | instid1(VALU_DEP_1)
	v_lshlrev_b64 v[39:40], 3, v[1:2]
	v_add_nc_u32_e32 v1, s4, v1
	v_lshlrev_b64 v[41:42], 3, v[1:2]
	s_delay_alu instid0(VALU_DEP_3) | instskip(NEXT) | instid1(VALU_DEP_4)
	v_add_co_u32 v39, vcc_lo, s2, v39
	v_add_co_ci_u32_e32 v40, vcc_lo, s3, v40, vcc_lo
	v_add_nc_u32_e32 v1, s4, v1
	s_delay_alu instid0(VALU_DEP_4)
	v_add_co_u32 v41, vcc_lo, s2, v41
	v_add_co_ci_u32_e32 v42, vcc_lo, s3, v42, vcc_lo
	global_store_b64 v[44:45], v[37:38], off
	global_load_b64 v[37:38], v[39:40], off
	s_waitcnt vmcnt(0)
	v_mul_f64 v[37:38], v[5:6], v[37:38]
	global_store_b64 v[39:40], v[37:38], off
	global_load_b64 v[37:38], v[41:42], off
	v_lshlrev_b64 v[39:40], 3, v[1:2]
	v_add_nc_u32_e32 v1, s4, v1
	s_delay_alu instid0(VALU_DEP_2) | instskip(NEXT) | instid1(VALU_DEP_3)
	v_add_co_u32 v39, vcc_lo, s2, v39
	v_add_co_ci_u32_e32 v40, vcc_lo, s3, v40, vcc_lo
	s_waitcnt vmcnt(0)
	v_mul_f64 v[37:38], v[7:8], v[37:38]
	global_store_b64 v[41:42], v[37:38], off
	global_load_b64 v[37:38], v[39:40], off
	v_lshlrev_b64 v[41:42], 3, v[1:2]
	v_add_nc_u32_e32 v1, s4, v1
	s_delay_alu instid0(VALU_DEP_2) | instskip(NEXT) | instid1(VALU_DEP_3)
	v_add_co_u32 v41, vcc_lo, s2, v41
	v_add_co_ci_u32_e32 v42, vcc_lo, s3, v42, vcc_lo
	;; [unrolled: 9-line block ×3, first 2 shown]
	s_waitcnt vmcnt(0)
	v_mul_f64 v[37:38], v[9:10], v[37:38]
	global_store_b64 v[41:42], v[37:38], off
	global_load_b64 v[37:38], v[39:40], off
	s_waitcnt vmcnt(0)
	v_mul_f64 v[23:24], v[23:24], v[37:38]
	v_lshlrev_b64 v[37:38], 3, v[1:2]
	v_add_nc_u32_e32 v1, s4, v1
	s_delay_alu instid0(VALU_DEP_2) | instskip(NEXT) | instid1(VALU_DEP_3)
	v_add_co_u32 v37, vcc_lo, s2, v37
	v_add_co_ci_u32_e32 v38, vcc_lo, s3, v38, vcc_lo
	global_store_b64 v[39:40], v[23:24], off
	global_load_b64 v[23:24], v[37:38], off
	v_lshlrev_b64 v[39:40], 3, v[1:2]
	v_add_nc_u32_e32 v1, s4, v1
	s_delay_alu instid0(VALU_DEP_2) | instskip(NEXT) | instid1(VALU_DEP_3)
	v_add_co_u32 v39, vcc_lo, s2, v39
	v_add_co_ci_u32_e32 v40, vcc_lo, s3, v40, vcc_lo
	s_waitcnt vmcnt(0)
	v_mul_f64 v[23:24], v[3:4], v[23:24]
	global_store_b64 v[37:38], v[23:24], off
	global_load_b64 v[23:24], v[39:40], off
	v_lshlrev_b64 v[37:38], 3, v[1:2]
	v_add_nc_u32_e32 v1, s4, v1
	s_delay_alu instid0(VALU_DEP_2) | instskip(NEXT) | instid1(VALU_DEP_3)
	v_add_co_u32 v37, vcc_lo, s2, v37
	v_add_co_ci_u32_e32 v38, vcc_lo, s3, v38, vcc_lo
	s_waitcnt vmcnt(0)
	v_mul_f64 v[23:24], v[3:4], v[23:24]
	global_store_b64 v[39:40], v[23:24], off
	global_load_b64 v[23:24], v[37:38], off
	s_waitcnt vmcnt(0)
	v_mul_f64 v[23:24], v[33:34], v[23:24]
	v_lshlrev_b64 v[33:34], 3, v[1:2]
	v_add_nc_u32_e32 v1, s4, v1
	s_delay_alu instid0(VALU_DEP_2) | instskip(NEXT) | instid1(VALU_DEP_3)
	v_add_co_u32 v33, vcc_lo, s2, v33
	v_add_co_ci_u32_e32 v34, vcc_lo, s3, v34, vcc_lo
	global_store_b64 v[37:38], v[23:24], off
	global_load_b64 v[23:24], v[33:34], off
	v_lshlrev_b64 v[37:38], 3, v[1:2]
	v_add_nc_u32_e32 v1, s4, v1
	s_delay_alu instid0(VALU_DEP_2) | instskip(NEXT) | instid1(VALU_DEP_3)
	v_add_co_u32 v37, vcc_lo, s2, v37
	v_add_co_ci_u32_e32 v38, vcc_lo, s3, v38, vcc_lo
	s_waitcnt vmcnt(0)
	v_mul_f64 v[23:24], v[60:61], v[23:24]
	global_store_b64 v[33:34], v[23:24], off
	global_load_b64 v[23:24], v[37:38], off
	v_lshlrev_b64 v[33:34], 3, v[1:2]
	v_add_nc_u32_e32 v1, s4, v1
	s_delay_alu instid0(VALU_DEP_2) | instskip(NEXT) | instid1(VALU_DEP_3)
	v_add_co_u32 v33, vcc_lo, s2, v33
	v_add_co_ci_u32_e32 v34, vcc_lo, s3, v34, vcc_lo
	s_waitcnt vmcnt(0)
	v_mul_f64 v[23:24], v[31:32], v[23:24]
	global_store_b64 v[37:38], v[23:24], off
	global_load_b64 v[23:24], v[33:34], off
	s_waitcnt vmcnt(0)
	v_mul_f64 v[23:24], v[31:32], v[23:24]
	v_lshlrev_b64 v[31:32], 3, v[1:2]
	v_add_nc_u32_e32 v1, s4, v1
	s_delay_alu instid0(VALU_DEP_2) | instskip(NEXT) | instid1(VALU_DEP_3)
	v_add_co_u32 v31, vcc_lo, s2, v31
	v_add_co_ci_u32_e32 v32, vcc_lo, s3, v32, vcc_lo
	global_store_b64 v[33:34], v[23:24], off
	global_load_b64 v[23:24], v[31:32], off
	v_lshlrev_b64 v[33:34], 3, v[1:2]
	v_add_nc_u32_e32 v1, s4, v1
	s_delay_alu instid0(VALU_DEP_2) | instskip(NEXT) | instid1(VALU_DEP_3)
	v_add_co_u32 v33, vcc_lo, s2, v33
	v_add_co_ci_u32_e32 v34, vcc_lo, s3, v34, vcc_lo
	s_waitcnt vmcnt(0)
	v_mul_f64 v[23:24], v[23:24], v[35:36]
	s_delay_alu instid0(VALU_DEP_1) | instskip(SKIP_4) | instid1(VALU_DEP_2)
	v_mul_f64 v[23:24], v[5:6], v[23:24]
	global_store_b64 v[31:32], v[23:24], off
	global_load_b64 v[23:24], v[33:34], off
	v_lshlrev_b64 v[31:32], 3, v[1:2]
	v_add_nc_u32_e32 v1, s4, v1
	v_add_co_u32 v31, vcc_lo, s2, v31
	s_delay_alu instid0(VALU_DEP_3) | instskip(SKIP_2) | instid1(VALU_DEP_1)
	v_add_co_ci_u32_e32 v32, vcc_lo, s3, v32, vcc_lo
	s_waitcnt vmcnt(0)
	v_mul_f64 v[23:24], v[35:36], v[23:24]
	v_mul_f64 v[23:24], v[5:6], v[23:24]
	global_store_b64 v[33:34], v[23:24], off
	global_load_b64 v[23:24], v[31:32], off
	v_lshlrev_b64 v[33:34], 3, v[1:2]
	v_add_nc_u32_e32 v1, s4, v1
	s_delay_alu instid0(VALU_DEP_2) | instskip(NEXT) | instid1(VALU_DEP_3)
	v_add_co_u32 v33, vcc_lo, s2, v33
	v_add_co_ci_u32_e32 v34, vcc_lo, s3, v34, vcc_lo
	s_waitcnt vmcnt(0)
	v_mul_f64 v[23:24], v[35:36], v[23:24]
	s_delay_alu instid0(VALU_DEP_1) | instskip(SKIP_4) | instid1(VALU_DEP_2)
	v_mul_f64 v[23:24], v[7:8], v[23:24]
	global_store_b64 v[31:32], v[23:24], off
	global_load_b64 v[23:24], v[33:34], off
	v_lshlrev_b64 v[31:32], 3, v[1:2]
	v_add_nc_u32_e32 v1, s4, v1
	v_add_co_u32 v31, vcc_lo, s2, v31
	s_delay_alu instid0(VALU_DEP_3) | instskip(SKIP_2) | instid1(VALU_DEP_1)
	v_add_co_ci_u32_e32 v32, vcc_lo, s3, v32, vcc_lo
	s_waitcnt vmcnt(0)
	v_mul_f64 v[23:24], v[35:36], v[23:24]
	v_mul_f64 v[23:24], v[9:10], v[23:24]
	global_store_b64 v[33:34], v[23:24], off
	global_load_b64 v[23:24], v[31:32], off
	v_lshlrev_b64 v[33:34], 3, v[1:2]
	v_add_nc_u32_e32 v1, s4, v1
	s_delay_alu instid0(VALU_DEP_2) | instskip(NEXT) | instid1(VALU_DEP_3)
	v_add_co_u32 v33, vcc_lo, s2, v33
	v_add_co_ci_u32_e32 v34, vcc_lo, s3, v34, vcc_lo
	s_waitcnt vmcnt(0)
	v_mul_f64 v[23:24], v[35:36], v[23:24]
	s_delay_alu instid0(VALU_DEP_1) | instskip(SKIP_4) | instid1(VALU_DEP_1)
	v_mul_f64 v[23:24], v[3:4], v[23:24]
	global_store_b64 v[31:32], v[23:24], off
	global_load_b64 v[23:24], v[33:34], off
	v_lshlrev_b64 v[31:32], 3, v[1:2]
	v_add_nc_u32_e32 v1, s4, v1
	v_mad_u64_u32 v[39:40], null, 0xffffffbb, s4, v[1:2]
	s_delay_alu instid0(VALU_DEP_3) | instskip(NEXT) | instid1(VALU_DEP_4)
	v_add_co_u32 v37, vcc_lo, s2, v31
	v_add_co_ci_u32_e32 v38, vcc_lo, s3, v32, vcc_lo
	v_mov_b32_e32 v40, v2
	v_lshlrev_b64 v[0:1], 3, v[1:2]
	s_waitcnt vmcnt(0)
	v_mul_f64 v[23:24], v[35:36], v[23:24]
	s_delay_alu instid0(VALU_DEP_1)
	v_mul_f64 v[23:24], v[11:12], v[23:24]
	global_store_b64 v[33:34], v[23:24], off
	global_load_b64 v[23:24], v[37:38], off
	s_waitcnt vmcnt(0)
	v_mul_f64 v[33:34], v[35:36], v[23:24]
	v_lshlrev_b64 v[23:24], 3, v[39:40]
	s_delay_alu instid0(VALU_DEP_1) | instskip(NEXT) | instid1(VALU_DEP_2)
	v_add_co_u32 v23, vcc_lo, s0, v23
	v_add_co_ci_u32_e32 v24, vcc_lo, s1, v24, vcc_lo
	v_add_co_u32 v31, vcc_lo, s2, v0
	v_add_co_ci_u32_e32 v32, vcc_lo, s3, v1, vcc_lo
	global_load_b64 v[23:24], v[23:24], off
	v_add_co_u32 v29, vcc_lo, s0, v29
	v_add_co_ci_u32_e32 v30, vcc_lo, s1, v30, vcc_lo
	global_store_b64 v[37:38], v[33:34], off
	global_load_b64 v[33:34], v[31:32], off
	v_mad_u64_u32 v[37:38], null, 0x46, s4, v[39:40]
	s_delay_alu instid0(VALU_DEP_1) | instskip(NEXT) | instid1(VALU_DEP_1)
	v_dual_mov_b32 v38, v2 :: v_dual_add_nc_u32 v1, s4, v37
	v_lshlrev_b64 v[37:38], 3, v[37:38]
	s_delay_alu instid0(VALU_DEP_2) | instskip(SKIP_1) | instid1(VALU_DEP_1)
	v_lshlrev_b64 v[39:40], 3, v[1:2]
	v_add_nc_u32_e32 v1, s4, v1
	v_lshlrev_b64 v[41:42], 3, v[1:2]
	v_add_nc_u32_e32 v1, s4, v1
	s_delay_alu instid0(VALU_DEP_1) | instskip(SKIP_1) | instid1(VALU_DEP_1)
	v_lshlrev_b64 v[43:44], 3, v[1:2]
	v_add_nc_u32_e32 v1, s4, v1
	v_lshlrev_b64 v[45:46], 3, v[1:2]
	v_add_nc_u32_e32 v1, s4, v1
	s_delay_alu instid0(VALU_DEP_1) | instskip(SKIP_1) | instid1(VALU_DEP_1)
	;; [unrolled: 5-line block ×10, first 2 shown]
	v_lshlrev_b64 v[79:80], 3, v[1:2]
	v_add_nc_u32_e32 v1, s4, v1
	v_lshlrev_b64 v[81:82], 3, v[1:2]
	v_add_nc_u32_e32 v1, s4, v1
	s_delay_alu instid0(VALU_DEP_1) | instskip(SKIP_2) | instid1(VALU_DEP_2)
	v_mad_u64_u32 v[83:84], null, 0xffffffa4, s4, v[1:2]
	v_mov_b32_e32 v84, v2
	v_lshlrev_b64 v[0:1], 3, v[1:2]
	v_lshlrev_b64 v[84:85], 3, v[83:84]
	s_delay_alu instid0(VALU_DEP_1) | instskip(NEXT) | instid1(VALU_DEP_2)
	v_add_co_u32 v84, vcc_lo, s0, v84
	v_add_co_ci_u32_e32 v85, vcc_lo, s1, v85, vcc_lo
	v_add_co_u32 v27, vcc_lo, s0, v27
	v_add_co_ci_u32_e32 v28, vcc_lo, s1, v28, vcc_lo
	;; [unrolled: 2-line block ×3, first 2 shown]
	s_clause 0x2
	global_load_b64 v[29:30], v[29:30], off
	global_load_b64 v[84:85], v[84:85], off
	;; [unrolled: 1-line block ×3, first 2 shown]
	s_waitcnt vmcnt(3)
	v_mul_f64 v[33:34], v[33:34], v[23:24]
	s_delay_alu instid0(VALU_DEP_1)
	v_mul_f64 v[33:34], v[5:6], v[33:34]
	global_store_b64 v[31:32], v[33:34], off
	global_load_b64 v[31:32], v[37:38], off
	v_add_co_u32 v33, vcc_lo, s2, v39
	v_add_co_ci_u32_e32 v34, vcc_lo, s3, v40, vcc_lo
	s_waitcnt vmcnt(0)
	v_mul_f64 v[31:32], v[23:24], v[31:32]
	s_delay_alu instid0(VALU_DEP_1)
	v_mul_f64 v[31:32], v[7:8], v[31:32]
	global_store_b64 v[37:38], v[31:32], off
	global_load_b64 v[31:32], v[33:34], off
	v_add_co_u32 v37, vcc_lo, s2, v41
	v_add_co_ci_u32_e32 v38, vcc_lo, s3, v42, vcc_lo
	;; [unrolled: 8-line block ×9, first 2 shown]
	s_waitcnt vmcnt(0)
	v_mul_f64 v[31:32], v[23:24], v[31:32]
	global_store_b64 v[37:38], v[31:32], off
	global_load_b64 v[31:32], v[33:34], off
	v_add_co_u32 v37, vcc_lo, s2, v57
	v_add_co_ci_u32_e32 v38, vcc_lo, s3, v58, vcc_lo
	s_waitcnt vmcnt(0)
	v_mul_f64 v[31:32], v[23:24], v[31:32]
	global_store_b64 v[33:34], v[31:32], off
	global_load_b64 v[31:32], v[37:38], off
	v_add_co_u32 v33, vcc_lo, s2, v59
	v_add_co_ci_u32_e32 v34, vcc_lo, s3, v60, vcc_lo
	s_waitcnt vmcnt(0)
	v_mul_f64 v[31:32], v[23:24], v[31:32]
	global_store_b64 v[37:38], v[31:32], off
	global_load_b64 v[31:32], v[33:34], off
	s_waitcnt vmcnt(0)
	v_mul_f64 v[31:32], v[23:24], v[31:32]
	s_delay_alu instid0(VALU_DEP_1)
	v_mul_f64 v[31:32], v[35:36], v[31:32]
	v_add_co_u32 v35, vcc_lo, s2, v61
	v_add_co_ci_u32_e32 v36, vcc_lo, s3, v62, vcc_lo
	global_store_b64 v[33:34], v[31:32], off
	global_load_b64 v[31:32], v[35:36], off
	v_add_co_u32 v33, vcc_lo, s2, v63
	v_add_co_ci_u32_e32 v34, vcc_lo, s3, v64, vcc_lo
	s_waitcnt vmcnt(0)
	v_mul_f64 v[31:32], v[23:24], v[31:32]
	global_store_b64 v[35:36], v[31:32], off
	global_load_b64 v[31:32], v[33:34], off
	v_add_co_u32 v35, vcc_lo, s2, v65
	v_add_co_ci_u32_e32 v36, vcc_lo, s3, v66, vcc_lo
	s_waitcnt vmcnt(0)
	v_mul_f64 v[31:32], v[23:24], v[31:32]
	;; [unrolled: 6-line block ×3, first 2 shown]
	s_delay_alu instid0(VALU_DEP_1)
	v_mul_f64 v[31:32], v[23:24], v[31:32]
	global_store_b64 v[35:36], v[31:32], off
	global_load_b64 v[31:32], v[33:34], off
	v_add_co_u32 v35, vcc_lo, s2, v69
	v_add_co_ci_u32_e32 v36, vcc_lo, s3, v70, vcc_lo
	s_waitcnt vmcnt(0)
	v_mul_f64 v[31:32], v[23:24], v[31:32]
	s_delay_alu instid0(VALU_DEP_1)
	v_mul_f64 v[31:32], v[23:24], v[31:32]
	global_store_b64 v[33:34], v[31:32], off
	global_load_b64 v[31:32], v[35:36], off
	v_add_co_u32 v33, vcc_lo, s2, v71
	v_add_co_ci_u32_e32 v34, vcc_lo, s3, v72, vcc_lo
	s_waitcnt vmcnt(0)
	v_mul_f64 v[31:32], v[23:24], v[31:32]
	;; [unrolled: 8-line block ×3, first 2 shown]
	global_store_b64 v[33:34], v[31:32], off
	global_load_b64 v[31:32], v[35:36], off
	v_add_co_u32 v33, vcc_lo, s2, v75
	v_add_co_ci_u32_e32 v34, vcc_lo, s3, v76, vcc_lo
	s_waitcnt vmcnt(0)
	v_mul_f64 v[31:32], v[5:6], v[31:32]
	global_store_b64 v[35:36], v[31:32], off
	global_load_b64 v[31:32], v[33:34], off
	v_add_co_u32 v35, vcc_lo, s2, v77
	v_add_co_ci_u32_e32 v36, vcc_lo, s3, v78, vcc_lo
	s_waitcnt vmcnt(0)
	v_mul_f64 v[31:32], v[5:6], v[31:32]
	global_store_b64 v[33:34], v[31:32], off
	global_load_b64 v[31:32], v[35:36], off
	v_add_co_u32 v33, vcc_lo, s2, v79
	v_add_co_ci_u32_e32 v34, vcc_lo, s3, v80, vcc_lo
	s_waitcnt vmcnt(0)
	v_mul_f64 v[31:32], v[7:8], v[31:32]
	global_store_b64 v[35:36], v[31:32], off
	global_load_b64 v[31:32], v[33:34], off
	v_add_co_u32 v35, vcc_lo, s2, v81
	v_add_co_ci_u32_e32 v36, vcc_lo, s3, v82, vcc_lo
	v_add_co_u32 v0, vcc_lo, s2, v0
	v_add_co_ci_u32_e32 v1, vcc_lo, s3, v1, vcc_lo
	s_waitcnt vmcnt(0)
	v_mul_f64 v[31:32], v[9:10], v[31:32]
	global_store_b64 v[33:34], v[31:32], off
	global_load_b64 v[31:32], v[35:36], off
	v_mad_u64_u32 v[33:34], null, 0x5d, s4, v[83:84]
	v_mov_b32_e32 v34, v2
	s_waitcnt vmcnt(0)
	v_mul_f64 v[31:32], v[3:4], v[31:32]
	global_store_b64 v[35:36], v[31:32], off
	global_load_b64 v[31:32], v[0:1], off
	v_lshlrev_b64 v[34:35], 3, v[33:34]
	s_delay_alu instid0(VALU_DEP_1) | instskip(NEXT) | instid1(VALU_DEP_2)
	v_add_co_u32 v34, vcc_lo, s2, v34
	v_add_co_ci_u32_e32 v35, vcc_lo, s3, v35, vcc_lo
	s_waitcnt vmcnt(0)
	v_mul_f64 v[31:32], v[31:32], v[84:85]
	s_delay_alu instid0(VALU_DEP_1) | instskip(SKIP_4) | instid1(VALU_DEP_1)
	v_mul_f64 v[31:32], v[5:6], v[31:32]
	global_store_b64 v[0:1], v[31:32], off
	global_load_b64 v[0:1], v[34:35], off
	s_waitcnt vmcnt(0)
	v_mul_f64 v[0:1], v[84:85], v[0:1]
	v_mul_f64 v[31:32], v[7:8], v[0:1]
	v_add_nc_u32_e32 v1, s4, v33
	s_delay_alu instid0(VALU_DEP_1) | instskip(SKIP_1) | instid1(VALU_DEP_2)
	v_lshlrev_b64 v[36:37], 3, v[1:2]
	v_add_nc_u32_e32 v1, s4, v1
	v_add_co_u32 v36, vcc_lo, s2, v36
	s_delay_alu instid0(VALU_DEP_3) | instskip(SKIP_4) | instid1(VALU_DEP_2)
	v_add_co_ci_u32_e32 v37, vcc_lo, s3, v37, vcc_lo
	global_store_b64 v[34:35], v[31:32], off
	global_load_b64 v[31:32], v[36:37], off
	v_lshlrev_b64 v[33:34], 3, v[1:2]
	v_add_nc_u32_e32 v1, s4, v1
	v_add_co_u32 v33, vcc_lo, s2, v33
	s_delay_alu instid0(VALU_DEP_3) | instskip(SKIP_2) | instid1(VALU_DEP_1)
	v_add_co_ci_u32_e32 v34, vcc_lo, s3, v34, vcc_lo
	s_waitcnt vmcnt(0)
	v_mul_f64 v[31:32], v[84:85], v[31:32]
	v_mul_f64 v[31:32], v[9:10], v[31:32]
	global_store_b64 v[36:37], v[31:32], off
	global_load_b64 v[31:32], v[33:34], off
	v_lshlrev_b64 v[35:36], 3, v[1:2]
	v_add_nc_u32_e32 v1, s4, v1
	s_delay_alu instid0(VALU_DEP_2) | instskip(NEXT) | instid1(VALU_DEP_3)
	v_add_co_u32 v35, vcc_lo, s2, v35
	v_add_co_ci_u32_e32 v36, vcc_lo, s3, v36, vcc_lo
	s_waitcnt vmcnt(0)
	v_mul_f64 v[31:32], v[84:85], v[31:32]
	global_store_b64 v[33:34], v[31:32], off
	global_load_b64 v[31:32], v[35:36], off
	v_lshlrev_b64 v[33:34], 3, v[1:2]
	v_add_nc_u32_e32 v1, s4, v1
	s_delay_alu instid0(VALU_DEP_2) | instskip(NEXT) | instid1(VALU_DEP_3)
	v_add_co_u32 v33, vcc_lo, s2, v33
	v_add_co_ci_u32_e32 v34, vcc_lo, s3, v34, vcc_lo
	s_waitcnt vmcnt(0)
	;; [unrolled: 9-line block ×4, first 2 shown]
	v_mul_f64 v[31:32], v[29:30], v[31:32]
	s_delay_alu instid0(VALU_DEP_1) | instskip(SKIP_4) | instid1(VALU_DEP_2)
	v_mul_f64 v[31:32], v[5:6], v[31:32]
	global_store_b64 v[35:36], v[31:32], off
	global_load_b64 v[31:32], v[33:34], off
	v_lshlrev_b64 v[35:36], 3, v[1:2]
	v_add_nc_u32_e32 v1, s4, v1
	v_add_co_u32 v35, vcc_lo, s2, v35
	s_delay_alu instid0(VALU_DEP_3) | instskip(SKIP_2) | instid1(VALU_DEP_1)
	v_add_co_ci_u32_e32 v36, vcc_lo, s3, v36, vcc_lo
	s_waitcnt vmcnt(0)
	v_mul_f64 v[31:32], v[29:30], v[31:32]
	v_mul_f64 v[31:32], v[7:8], v[31:32]
	global_store_b64 v[33:34], v[31:32], off
	global_load_b64 v[31:32], v[35:36], off
	v_lshlrev_b64 v[33:34], 3, v[1:2]
	v_add_nc_u32_e32 v1, s4, v1
	s_delay_alu instid0(VALU_DEP_2) | instskip(NEXT) | instid1(VALU_DEP_3)
	v_add_co_u32 v33, vcc_lo, s2, v33
	v_add_co_ci_u32_e32 v34, vcc_lo, s3, v34, vcc_lo
	s_waitcnt vmcnt(0)
	v_mul_f64 v[31:32], v[29:30], v[31:32]
	s_delay_alu instid0(VALU_DEP_1) | instskip(SKIP_4) | instid1(VALU_DEP_2)
	v_mul_f64 v[31:32], v[3:4], v[31:32]
	global_store_b64 v[35:36], v[31:32], off
	global_load_b64 v[31:32], v[33:34], off
	v_lshlrev_b64 v[35:36], 3, v[1:2]
	v_add_nc_u32_e32 v1, s4, v1
	v_add_co_u32 v35, vcc_lo, s2, v35
	s_delay_alu instid0(VALU_DEP_3)
	v_add_co_ci_u32_e32 v36, vcc_lo, s3, v36, vcc_lo
	s_waitcnt vmcnt(0)
	v_mul_f64 v[31:32], v[29:30], v[31:32]
	global_store_b64 v[33:34], v[31:32], off
	global_load_b64 v[31:32], v[35:36], off
	v_lshlrev_b64 v[33:34], 3, v[1:2]
	v_add_nc_u32_e32 v1, s4, v1
	s_delay_alu instid0(VALU_DEP_2) | instskip(NEXT) | instid1(VALU_DEP_3)
	v_add_co_u32 v33, vcc_lo, s2, v33
	v_add_co_ci_u32_e32 v34, vcc_lo, s3, v34, vcc_lo
	s_waitcnt vmcnt(0)
	v_mul_f64 v[31:32], v[29:30], v[31:32]
	global_store_b64 v[35:36], v[31:32], off
	global_load_b64 v[31:32], v[33:34], off
	s_waitcnt vmcnt(0)
	v_mul_f64 v[31:32], v[29:30], v[31:32]
	s_delay_alu instid0(VALU_DEP_1) | instskip(SKIP_2) | instid1(VALU_DEP_2)
	v_mul_f64 v[29:30], v[29:30], v[31:32]
	v_lshlrev_b64 v[31:32], 3, v[1:2]
	v_add_nc_u32_e32 v1, s5, v1
	v_add_co_u32 v31, vcc_lo, s2, v31
	s_delay_alu instid0(VALU_DEP_3) | instskip(SKIP_4) | instid1(VALU_DEP_2)
	v_add_co_ci_u32_e32 v32, vcc_lo, s3, v32, vcc_lo
	global_store_b64 v[33:34], v[29:30], off
	global_load_b64 v[29:30], v[31:32], off
	v_lshlrev_b64 v[33:34], 3, v[1:2]
	v_add_nc_u32_e32 v1, s4, v1
	v_add_co_u32 v33, vcc_lo, s2, v33
	s_delay_alu instid0(VALU_DEP_3)
	v_add_co_ci_u32_e32 v34, vcc_lo, s3, v34, vcc_lo
	s_waitcnt vmcnt(0)
	v_mul_f64 v[29:30], v[29:30], v[27:28]
	global_store_b64 v[31:32], v[29:30], off
	global_load_b64 v[29:30], v[33:34], off
	v_lshlrev_b64 v[31:32], 3, v[1:2]
	v_add_nc_u32_e32 v1, s4, v1
	s_delay_alu instid0(VALU_DEP_2) | instskip(NEXT) | instid1(VALU_DEP_3)
	v_add_co_u32 v31, vcc_lo, s2, v31
	v_add_co_ci_u32_e32 v32, vcc_lo, s3, v32, vcc_lo
	s_waitcnt vmcnt(0)
	v_mul_f64 v[29:30], v[27:28], v[29:30]
	s_delay_alu instid0(VALU_DEP_1) | instskip(SKIP_4) | instid1(VALU_DEP_2)
	v_mul_f64 v[29:30], v[7:8], v[29:30]
	global_store_b64 v[33:34], v[29:30], off
	global_load_b64 v[29:30], v[31:32], off
	v_lshlrev_b64 v[33:34], 3, v[1:2]
	v_add_nc_u32_e32 v1, s4, v1
	v_add_co_u32 v33, vcc_lo, s2, v33
	s_delay_alu instid0(VALU_DEP_3) | instskip(SKIP_2) | instid1(VALU_DEP_1)
	v_add_co_ci_u32_e32 v34, vcc_lo, s3, v34, vcc_lo
	s_waitcnt vmcnt(0)
	v_mul_f64 v[29:30], v[27:28], v[29:30]
	v_mul_f64 v[29:30], v[7:8], v[29:30]
	global_store_b64 v[31:32], v[29:30], off
	global_load_b64 v[29:30], v[33:34], off
	v_lshlrev_b64 v[31:32], 3, v[1:2]
	v_add_nc_u32_e32 v1, s4, v1
	s_delay_alu instid0(VALU_DEP_2) | instskip(NEXT) | instid1(VALU_DEP_3)
	v_add_co_u32 v31, vcc_lo, s2, v31
	v_add_co_ci_u32_e32 v32, vcc_lo, s3, v32, vcc_lo
	s_waitcnt vmcnt(0)
	v_mul_f64 v[29:30], v[27:28], v[29:30]
	s_delay_alu instid0(VALU_DEP_1) | instskip(SKIP_4) | instid1(VALU_DEP_2)
	v_mul_f64 v[29:30], v[9:10], v[29:30]
	global_store_b64 v[33:34], v[29:30], off
	global_load_b64 v[29:30], v[31:32], off
	v_lshlrev_b64 v[33:34], 3, v[1:2]
	v_add_nc_u32_e32 v1, s5, v1
	v_add_co_u32 v33, vcc_lo, s2, v33
	s_delay_alu instid0(VALU_DEP_3) | instskip(SKIP_2) | instid1(VALU_DEP_1)
	v_add_co_ci_u32_e32 v34, vcc_lo, s3, v34, vcc_lo
	s_waitcnt vmcnt(0)
	v_mul_f64 v[29:30], v[27:28], v[29:30]
	v_mul_f64 v[29:30], v[9:10], v[29:30]
	global_store_b64 v[31:32], v[29:30], off
	global_load_b64 v[29:30], v[33:34], off
	s_waitcnt vmcnt(0)
	v_mul_f64 v[27:28], v[27:28], v[29:30]
	v_lshlrev_b64 v[29:30], 3, v[1:2]
	v_add_nc_u32_e32 v1, s4, v1
	s_delay_alu instid0(VALU_DEP_1) | instskip(NEXT) | instid1(VALU_DEP_3)
	v_lshlrev_b64 v[31:32], 3, v[1:2]
	v_add_co_u32 v29, vcc_lo, s2, v29
	s_delay_alu instid0(VALU_DEP_4) | instskip(SKIP_1) | instid1(VALU_DEP_4)
	v_add_co_ci_u32_e32 v30, vcc_lo, s3, v30, vcc_lo
	v_add_nc_u32_e32 v1, s4, v1
	v_add_co_u32 v31, vcc_lo, s2, v31
	v_add_co_ci_u32_e32 v32, vcc_lo, s3, v32, vcc_lo
	global_store_b64 v[33:34], v[27:28], off
	global_load_b64 v[27:28], v[29:30], off
	s_waitcnt vmcnt(0)
	v_mul_f64 v[27:28], v[5:6], v[27:28]
	global_store_b64 v[29:30], v[27:28], off
	global_load_b64 v[27:28], v[31:32], off
	v_lshlrev_b64 v[29:30], 3, v[1:2]
	v_add_nc_u32_e32 v1, s4, v1
	s_delay_alu instid0(VALU_DEP_2) | instskip(NEXT) | instid1(VALU_DEP_3)
	v_add_co_u32 v29, vcc_lo, s2, v29
	v_add_co_ci_u32_e32 v30, vcc_lo, s3, v30, vcc_lo
	s_waitcnt vmcnt(0)
	v_mul_f64 v[27:28], v[7:8], v[27:28]
	global_store_b64 v[31:32], v[27:28], off
	global_load_b64 v[27:28], v[29:30], off
	v_lshlrev_b64 v[31:32], 3, v[1:2]
	v_add_nc_u32_e32 v1, s4, v1
	s_delay_alu instid0(VALU_DEP_2) | instskip(NEXT) | instid1(VALU_DEP_3)
	v_add_co_u32 v31, vcc_lo, s2, v31
	v_add_co_ci_u32_e32 v32, vcc_lo, s3, v32, vcc_lo
	v_add_co_u32 v25, vcc_lo, s0, v25
	v_add_co_ci_u32_e32 v26, vcc_lo, s1, v26, vcc_lo
	global_load_b64 v[25:26], v[25:26], off
	s_waitcnt vmcnt(1)
	v_mul_f64 v[27:28], v[9:10], v[27:28]
	global_store_b64 v[29:30], v[27:28], off
	global_load_b64 v[27:28], v[31:32], off
	s_waitcnt vmcnt(0)
	v_mul_f64 v[29:30], v[3:4], v[27:28]
	v_lshlrev_b64 v[27:28], 3, v[1:2]
	v_add_nc_u32_e32 v1, s4, v1
	s_delay_alu instid0(VALU_DEP_2) | instskip(NEXT) | instid1(VALU_DEP_3)
	v_add_co_u32 v27, vcc_lo, s2, v27
	v_add_co_ci_u32_e32 v28, vcc_lo, s3, v28, vcc_lo
	v_add_co_u32 v21, vcc_lo, s0, v21
	v_add_co_ci_u32_e32 v22, vcc_lo, s1, v22, vcc_lo
	;; [unrolled: 2-line block ×4, first 2 shown]
	global_store_b64 v[31:32], v[29:30], off
	global_load_b64 v[29:30], v[27:28], off
	v_lshlrev_b64 v[31:32], 3, v[1:2]
	s_clause 0x2
	global_load_b64 v[21:22], v[21:22], off
	global_load_b64 v[17:18], v[17:18], off
	;; [unrolled: 1-line block ×3, first 2 shown]
	v_add_nc_u32_e32 v1, s4, v1
	v_add_co_u32 v31, vcc_lo, s2, v31
	v_add_co_ci_u32_e32 v32, vcc_lo, s3, v32, vcc_lo
	s_waitcnt vmcnt(3)
	v_mul_f64 v[29:30], v[29:30], v[25:26]
	s_delay_alu instid0(VALU_DEP_1) | instskip(SKIP_4) | instid1(VALU_DEP_2)
	v_mul_f64 v[29:30], v[5:6], v[29:30]
	global_store_b64 v[27:28], v[29:30], off
	global_load_b64 v[27:28], v[31:32], off
	v_lshlrev_b64 v[29:30], 3, v[1:2]
	v_add_nc_u32_e32 v1, s4, v1
	v_add_co_u32 v29, vcc_lo, s2, v29
	s_delay_alu instid0(VALU_DEP_3) | instskip(SKIP_2) | instid1(VALU_DEP_1)
	v_add_co_ci_u32_e32 v30, vcc_lo, s3, v30, vcc_lo
	s_waitcnt vmcnt(0)
	v_mul_f64 v[27:28], v[25:26], v[27:28]
	v_mul_f64 v[27:28], v[5:6], v[27:28]
	global_store_b64 v[31:32], v[27:28], off
	global_load_b64 v[27:28], v[29:30], off
	v_lshlrev_b64 v[31:32], 3, v[1:2]
	v_add_nc_u32_e32 v1, s4, v1
	s_delay_alu instid0(VALU_DEP_2) | instskip(NEXT) | instid1(VALU_DEP_3)
	v_add_co_u32 v31, vcc_lo, s2, v31
	v_add_co_ci_u32_e32 v32, vcc_lo, s3, v32, vcc_lo
	s_waitcnt vmcnt(0)
	v_mul_f64 v[27:28], v[25:26], v[27:28]
	s_delay_alu instid0(VALU_DEP_1) | instskip(SKIP_4) | instid1(VALU_DEP_2)
	v_mul_f64 v[27:28], v[5:6], v[27:28]
	global_store_b64 v[29:30], v[27:28], off
	global_load_b64 v[27:28], v[31:32], off
	v_lshlrev_b64 v[29:30], 3, v[1:2]
	v_add_nc_u32_e32 v1, s4, v1
	v_add_co_u32 v29, vcc_lo, s2, v29
	s_delay_alu instid0(VALU_DEP_3) | instskip(SKIP_2) | instid1(VALU_DEP_1)
	v_add_co_ci_u32_e32 v30, vcc_lo, s3, v30, vcc_lo
	s_waitcnt vmcnt(0)
	v_mul_f64 v[27:28], v[25:26], v[27:28]
	v_mul_f64 v[27:28], v[7:8], v[27:28]
	global_store_b64 v[31:32], v[27:28], off
	global_load_b64 v[27:28], v[29:30], off
	v_lshlrev_b64 v[31:32], 3, v[1:2]
	v_add_nc_u32_e32 v1, s4, v1
	s_delay_alu instid0(VALU_DEP_2) | instskip(NEXT) | instid1(VALU_DEP_3)
	v_add_co_u32 v31, vcc_lo, s2, v31
	v_add_co_ci_u32_e32 v32, vcc_lo, s3, v32, vcc_lo
	s_waitcnt vmcnt(0)
	v_mul_f64 v[27:28], v[25:26], v[27:28]
	s_delay_alu instid0(VALU_DEP_1)
	v_mul_f64 v[27:28], v[7:8], v[27:28]
	global_store_b64 v[29:30], v[27:28], off
	global_load_b64 v[27:28], v[31:32], off
	s_waitcnt vmcnt(0)
	v_mul_f64 v[25:26], v[25:26], v[27:28]
	v_lshlrev_b64 v[27:28], 3, v[1:2]
	v_add_nc_u32_e32 v1, s4, v1
	s_delay_alu instid0(VALU_DEP_1) | instskip(NEXT) | instid1(VALU_DEP_3)
	v_lshlrev_b64 v[29:30], 3, v[1:2]
	v_add_co_u32 v27, vcc_lo, s2, v27
	s_delay_alu instid0(VALU_DEP_4) | instskip(SKIP_1) | instid1(VALU_DEP_4)
	v_add_co_ci_u32_e32 v28, vcc_lo, s3, v28, vcc_lo
	v_add_nc_u32_e32 v1, s4, v1
	v_add_co_u32 v29, vcc_lo, s2, v29
	v_add_co_ci_u32_e32 v30, vcc_lo, s3, v30, vcc_lo
	v_mul_f64 v[25:26], v[9:10], v[25:26]
	global_store_b64 v[31:32], v[25:26], off
	global_load_b64 v[25:26], v[27:28], off
	s_waitcnt vmcnt(0)
	v_mul_f64 v[25:26], v[5:6], v[25:26]
	global_store_b64 v[27:28], v[25:26], off
	global_load_b64 v[25:26], v[29:30], off
	v_lshlrev_b64 v[27:28], 3, v[1:2]
	v_add_nc_u32_e32 v1, s4, v1
	s_delay_alu instid0(VALU_DEP_2) | instskip(NEXT) | instid1(VALU_DEP_3)
	v_add_co_u32 v27, vcc_lo, s2, v27
	v_add_co_ci_u32_e32 v28, vcc_lo, s3, v28, vcc_lo
	s_waitcnt vmcnt(0)
	v_mul_f64 v[25:26], v[5:6], v[25:26]
	global_store_b64 v[29:30], v[25:26], off
	global_load_b64 v[25:26], v[27:28], off
	v_lshlrev_b64 v[29:30], 3, v[1:2]
	v_add_nc_u32_e32 v1, s4, v1
	s_delay_alu instid0(VALU_DEP_2) | instskip(NEXT) | instid1(VALU_DEP_3)
	v_add_co_u32 v29, vcc_lo, s2, v29
	v_add_co_ci_u32_e32 v30, vcc_lo, s3, v30, vcc_lo
	;; [unrolled: 9-line block ×22, first 2 shown]
	s_waitcnt vmcnt(0)
	v_mul_f64 v[25:26], v[21:22], v[25:26]
	s_delay_alu instid0(VALU_DEP_1) | instskip(SKIP_4) | instid1(VALU_DEP_2)
	v_mul_f64 v[25:26], v[5:6], v[25:26]
	global_store_b64 v[27:28], v[25:26], off
	global_load_b64 v[25:26], v[29:30], off
	v_lshlrev_b64 v[27:28], 3, v[1:2]
	v_add_nc_u32_e32 v1, s4, v1
	v_add_co_u32 v27, vcc_lo, s2, v27
	s_delay_alu instid0(VALU_DEP_3) | instskip(SKIP_2) | instid1(VALU_DEP_1)
	v_add_co_ci_u32_e32 v28, vcc_lo, s3, v28, vcc_lo
	s_waitcnt vmcnt(0)
	v_mul_f64 v[25:26], v[21:22], v[25:26]
	v_mul_f64 v[25:26], v[5:6], v[25:26]
	global_store_b64 v[29:30], v[25:26], off
	global_load_b64 v[25:26], v[27:28], off
	v_lshlrev_b64 v[29:30], 3, v[1:2]
	v_add_nc_u32_e32 v1, s4, v1
	s_delay_alu instid0(VALU_DEP_2) | instskip(NEXT) | instid1(VALU_DEP_3)
	v_add_co_u32 v29, vcc_lo, s2, v29
	v_add_co_ci_u32_e32 v30, vcc_lo, s3, v30, vcc_lo
	s_waitcnt vmcnt(0)
	v_mul_f64 v[25:26], v[21:22], v[25:26]
	s_delay_alu instid0(VALU_DEP_1) | instskip(SKIP_4) | instid1(VALU_DEP_2)
	v_mul_f64 v[25:26], v[7:8], v[25:26]
	global_store_b64 v[27:28], v[25:26], off
	global_load_b64 v[25:26], v[29:30], off
	v_lshlrev_b64 v[27:28], 3, v[1:2]
	v_add_nc_u32_e32 v1, s4, v1
	v_add_co_u32 v27, vcc_lo, s2, v27
	s_delay_alu instid0(VALU_DEP_3) | instskip(SKIP_2) | instid1(VALU_DEP_1)
	v_add_co_ci_u32_e32 v28, vcc_lo, s3, v28, vcc_lo
	s_waitcnt vmcnt(0)
	v_mul_f64 v[25:26], v[21:22], v[25:26]
	v_mul_f64 v[25:26], v[7:8], v[25:26]
	global_store_b64 v[29:30], v[25:26], off
	global_load_b64 v[25:26], v[27:28], off
	v_lshlrev_b64 v[29:30], 3, v[1:2]
	v_add_nc_u32_e32 v1, s4, v1
	s_delay_alu instid0(VALU_DEP_2) | instskip(NEXT) | instid1(VALU_DEP_3)
	v_add_co_u32 v29, vcc_lo, s2, v29
	v_add_co_ci_u32_e32 v30, vcc_lo, s3, v30, vcc_lo
	;; [unrolled: 21-line block ×4, first 2 shown]
	s_waitcnt vmcnt(0)
	v_mul_f64 v[25:26], v[21:22], v[25:26]
	global_store_b64 v[27:28], v[25:26], off
	global_load_b64 v[25:26], v[29:30], off
	v_lshlrev_b64 v[27:28], 3, v[1:2]
	v_add_nc_u32_e32 v1, s4, v1
	s_delay_alu instid0(VALU_DEP_2) | instskip(NEXT) | instid1(VALU_DEP_3)
	v_add_co_u32 v27, vcc_lo, s2, v27
	v_add_co_ci_u32_e32 v28, vcc_lo, s3, v28, vcc_lo
	s_waitcnt vmcnt(0)
	v_mul_f64 v[25:26], v[21:22], v[25:26]
	global_store_b64 v[29:30], v[25:26], off
	global_load_b64 v[25:26], v[27:28], off
	v_lshlrev_b64 v[29:30], 3, v[1:2]
	v_add_nc_u32_e32 v1, s4, v1
	s_delay_alu instid0(VALU_DEP_2) | instskip(NEXT) | instid1(VALU_DEP_3)
	v_add_co_u32 v29, vcc_lo, s2, v29
	v_add_co_ci_u32_e32 v30, vcc_lo, s3, v30, vcc_lo
	;; [unrolled: 9-line block ×4, first 2 shown]
	s_waitcnt vmcnt(0)
	v_mul_f64 v[25:26], v[21:22], v[25:26]
	s_delay_alu instid0(VALU_DEP_1)
	v_mul_f64 v[25:26], v[23:24], v[25:26]
	global_store_b64 v[27:28], v[25:26], off
	global_load_b64 v[25:26], v[29:30], off
	s_waitcnt vmcnt(0)
	v_mul_f64 v[21:22], v[21:22], v[25:26]
	v_lshlrev_b64 v[25:26], 3, v[1:2]
	v_add_nc_u32_e32 v1, s4, v1
	s_delay_alu instid0(VALU_DEP_1) | instskip(NEXT) | instid1(VALU_DEP_3)
	v_lshlrev_b64 v[27:28], 3, v[1:2]
	v_add_co_u32 v25, vcc_lo, s2, v25
	s_delay_alu instid0(VALU_DEP_4) | instskip(SKIP_1) | instid1(VALU_DEP_4)
	v_add_co_ci_u32_e32 v26, vcc_lo, s3, v26, vcc_lo
	v_add_nc_u32_e32 v1, s4, v1
	v_add_co_u32 v27, vcc_lo, s2, v27
	v_add_co_ci_u32_e32 v28, vcc_lo, s3, v28, vcc_lo
	v_mul_f64 v[21:22], v[23:24], v[21:22]
	global_store_b64 v[29:30], v[21:22], off
	global_load_b64 v[21:22], v[25:26], off
	s_waitcnt vmcnt(0)
	v_mul_f64 v[21:22], v[5:6], v[21:22]
	global_store_b64 v[25:26], v[21:22], off
	global_load_b64 v[21:22], v[27:28], off
	v_lshlrev_b64 v[25:26], 3, v[1:2]
	v_add_nc_u32_e32 v1, s4, v1
	s_delay_alu instid0(VALU_DEP_2) | instskip(NEXT) | instid1(VALU_DEP_3)
	v_add_co_u32 v25, vcc_lo, s2, v25
	v_add_co_ci_u32_e32 v26, vcc_lo, s3, v26, vcc_lo
	s_waitcnt vmcnt(0)
	v_mul_f64 v[21:22], v[5:6], v[21:22]
	global_store_b64 v[27:28], v[21:22], off
	global_load_b64 v[21:22], v[25:26], off
	v_lshlrev_b64 v[27:28], 3, v[1:2]
	v_add_nc_u32_e32 v1, s4, v1
	s_delay_alu instid0(VALU_DEP_2) | instskip(NEXT) | instid1(VALU_DEP_3)
	v_add_co_u32 v27, vcc_lo, s2, v27
	v_add_co_ci_u32_e32 v28, vcc_lo, s3, v28, vcc_lo
	;; [unrolled: 9-line block ×7, first 2 shown]
	s_waitcnt vmcnt(0)
	v_mul_f64 v[21:22], v[11:12], v[21:22]
	global_store_b64 v[27:28], v[21:22], off
	global_load_b64 v[21:22], v[25:26], off
	s_waitcnt vmcnt(0)
	v_mul_f64 v[19:20], v[19:20], v[21:22]
	v_lshlrev_b64 v[21:22], 3, v[1:2]
	v_add_nc_u32_e32 v1, s4, v1
	s_delay_alu instid0(VALU_DEP_2) | instskip(NEXT) | instid1(VALU_DEP_3)
	v_add_co_u32 v21, vcc_lo, s2, v21
	v_add_co_ci_u32_e32 v22, vcc_lo, s3, v22, vcc_lo
	global_store_b64 v[25:26], v[19:20], off
	global_load_b64 v[19:20], v[21:22], off
	v_lshlrev_b64 v[25:26], 3, v[1:2]
	v_add_nc_u32_e32 v1, s4, v1
	s_delay_alu instid0(VALU_DEP_2) | instskip(NEXT) | instid1(VALU_DEP_3)
	v_add_co_u32 v25, vcc_lo, s2, v25
	v_add_co_ci_u32_e32 v26, vcc_lo, s3, v26, vcc_lo
	s_waitcnt vmcnt(0)
	v_mul_f64 v[19:20], v[19:20], v[17:18]
	s_delay_alu instid0(VALU_DEP_1) | instskip(SKIP_4) | instid1(VALU_DEP_2)
	v_mul_f64 v[19:20], v[5:6], v[19:20]
	global_store_b64 v[21:22], v[19:20], off
	global_load_b64 v[19:20], v[25:26], off
	v_lshlrev_b64 v[21:22], 3, v[1:2]
	v_add_nc_u32_e32 v1, s4, v1
	v_add_co_u32 v21, vcc_lo, s2, v21
	s_delay_alu instid0(VALU_DEP_3) | instskip(SKIP_2) | instid1(VALU_DEP_1)
	v_add_co_ci_u32_e32 v22, vcc_lo, s3, v22, vcc_lo
	s_waitcnt vmcnt(0)
	v_mul_f64 v[19:20], v[17:18], v[19:20]
	v_mul_f64 v[19:20], v[7:8], v[19:20]
	global_store_b64 v[25:26], v[19:20], off
	global_load_b64 v[19:20], v[21:22], off
	v_lshlrev_b64 v[25:26], 3, v[1:2]
	v_add_nc_u32_e32 v1, s4, v1
	s_delay_alu instid0(VALU_DEP_2) | instskip(NEXT) | instid1(VALU_DEP_3)
	v_add_co_u32 v25, vcc_lo, s2, v25
	v_add_co_ci_u32_e32 v26, vcc_lo, s3, v26, vcc_lo
	s_waitcnt vmcnt(0)
	v_mul_f64 v[19:20], v[17:18], v[19:20]
	s_delay_alu instid0(VALU_DEP_1) | instskip(SKIP_4) | instid1(VALU_DEP_2)
	v_mul_f64 v[19:20], v[9:10], v[19:20]
	global_store_b64 v[21:22], v[19:20], off
	global_load_b64 v[19:20], v[25:26], off
	v_lshlrev_b64 v[21:22], 3, v[1:2]
	v_add_nc_u32_e32 v1, s4, v1
	v_add_co_u32 v21, vcc_lo, s2, v21
	s_delay_alu instid0(VALU_DEP_3)
	v_add_co_ci_u32_e32 v22, vcc_lo, s3, v22, vcc_lo
	s_waitcnt vmcnt(0)
	v_mul_f64 v[19:20], v[17:18], v[19:20]
	global_store_b64 v[25:26], v[19:20], off
	global_load_b64 v[19:20], v[21:22], off
	s_waitcnt vmcnt(0)
	v_mul_f64 v[17:18], v[17:18], v[19:20]
	v_lshlrev_b64 v[19:20], 3, v[1:2]
	v_add_nc_u32_e32 v1, s4, v1
	s_delay_alu instid0(VALU_DEP_2) | instskip(NEXT) | instid1(VALU_DEP_3)
	v_add_co_u32 v19, vcc_lo, s2, v19
	v_add_co_ci_u32_e32 v20, vcc_lo, s3, v20, vcc_lo
	v_mul_f64 v[17:18], v[23:24], v[17:18]
	global_store_b64 v[21:22], v[17:18], off
	global_load_b64 v[17:18], v[19:20], off
	v_lshlrev_b64 v[21:22], 3, v[1:2]
	v_add_nc_u32_e32 v1, s4, v1
	s_delay_alu instid0(VALU_DEP_2) | instskip(NEXT) | instid1(VALU_DEP_3)
	v_add_co_u32 v21, vcc_lo, s2, v21
	v_add_co_ci_u32_e32 v22, vcc_lo, s3, v22, vcc_lo
	s_waitcnt vmcnt(0)
	v_mul_f64 v[17:18], v[17:18], v[15:16]
	s_delay_alu instid0(VALU_DEP_1) | instskip(SKIP_4) | instid1(VALU_DEP_2)
	v_mul_f64 v[17:18], v[5:6], v[17:18]
	global_store_b64 v[19:20], v[17:18], off
	global_load_b64 v[17:18], v[21:22], off
	v_lshlrev_b64 v[19:20], 3, v[1:2]
	v_add_nc_u32_e32 v1, s4, v1
	v_add_co_u32 v19, vcc_lo, s2, v19
	s_delay_alu instid0(VALU_DEP_3) | instskip(SKIP_2) | instid1(VALU_DEP_1)
	v_add_co_ci_u32_e32 v20, vcc_lo, s3, v20, vcc_lo
	s_waitcnt vmcnt(0)
	v_mul_f64 v[17:18], v[15:16], v[17:18]
	v_mul_f64 v[17:18], v[5:6], v[17:18]
	global_store_b64 v[21:22], v[17:18], off
	global_load_b64 v[17:18], v[19:20], off
	v_lshlrev_b64 v[21:22], 3, v[1:2]
	v_add_nc_u32_e32 v1, s4, v1
	s_delay_alu instid0(VALU_DEP_2) | instskip(NEXT) | instid1(VALU_DEP_3)
	v_add_co_u32 v21, vcc_lo, s2, v21
	v_add_co_ci_u32_e32 v22, vcc_lo, s3, v22, vcc_lo
	s_waitcnt vmcnt(0)
	v_mul_f64 v[17:18], v[15:16], v[17:18]
	s_delay_alu instid0(VALU_DEP_1) | instskip(SKIP_4) | instid1(VALU_DEP_2)
	v_mul_f64 v[17:18], v[11:12], v[17:18]
	global_store_b64 v[19:20], v[17:18], off
	global_load_b64 v[17:18], v[21:22], off
	v_lshlrev_b64 v[19:20], 3, v[1:2]
	v_add_nc_u32_e32 v1, s4, v1
	v_add_co_u32 v19, vcc_lo, s2, v19
	s_delay_alu instid0(VALU_DEP_3) | instskip(SKIP_2) | instid1(VALU_DEP_1)
	v_add_co_ci_u32_e32 v20, vcc_lo, s3, v20, vcc_lo
	s_waitcnt vmcnt(0)
	v_mul_f64 v[17:18], v[15:16], v[17:18]
	v_mul_f64 v[17:18], v[11:12], v[17:18]
	global_store_b64 v[21:22], v[17:18], off
	global_load_b64 v[17:18], v[19:20], off
	s_waitcnt vmcnt(0)
	v_mul_f64 v[15:16], v[15:16], v[17:18]
	v_lshlrev_b64 v[17:18], 3, v[1:2]
	v_add_nc_u32_e32 v1, s4, v1
	s_delay_alu instid0(VALU_DEP_2) | instskip(NEXT) | instid1(VALU_DEP_3)
	v_add_co_u32 v17, vcc_lo, s2, v17
	v_add_co_ci_u32_e32 v18, vcc_lo, s3, v18, vcc_lo
	v_add_co_u32 v13, vcc_lo, s0, v13
	v_add_co_ci_u32_e32 v14, vcc_lo, s1, v14, vcc_lo
	global_store_b64 v[19:20], v[15:16], off
	global_load_b64 v[15:16], v[17:18], off
	global_load_b64 v[13:14], v[13:14], off
	v_lshlrev_b64 v[19:20], 3, v[1:2]
	v_add_nc_u32_e32 v1, s4, v1
	s_delay_alu instid0(VALU_DEP_2) | instskip(NEXT) | instid1(VALU_DEP_3)
	v_add_co_u32 v19, vcc_lo, s2, v19
	v_add_co_ci_u32_e32 v20, vcc_lo, s3, v20, vcc_lo
	s_waitcnt vmcnt(0)
	v_mul_f64 v[15:16], v[15:16], v[13:14]
	s_delay_alu instid0(VALU_DEP_1) | instskip(SKIP_4) | instid1(VALU_DEP_2)
	v_mul_f64 v[15:16], v[5:6], v[15:16]
	global_store_b64 v[17:18], v[15:16], off
	global_load_b64 v[15:16], v[19:20], off
	v_lshlrev_b64 v[17:18], 3, v[1:2]
	v_add_nc_u32_e32 v1, s4, v1
	v_add_co_u32 v17, vcc_lo, s2, v17
	s_delay_alu instid0(VALU_DEP_3) | instskip(SKIP_2) | instid1(VALU_DEP_1)
	v_add_co_ci_u32_e32 v18, vcc_lo, s3, v18, vcc_lo
	s_waitcnt vmcnt(0)
	v_mul_f64 v[15:16], v[13:14], v[15:16]
	v_mul_f64 v[15:16], v[5:6], v[15:16]
	global_store_b64 v[19:20], v[15:16], off
	global_load_b64 v[15:16], v[17:18], off
	v_lshlrev_b64 v[19:20], 3, v[1:2]
	v_add_nc_u32_e32 v1, s4, v1
	s_delay_alu instid0(VALU_DEP_2) | instskip(NEXT) | instid1(VALU_DEP_3)
	v_add_co_u32 v19, vcc_lo, s2, v19
	v_add_co_ci_u32_e32 v20, vcc_lo, s3, v20, vcc_lo
	s_waitcnt vmcnt(0)
	v_mul_f64 v[15:16], v[13:14], v[15:16]
	s_delay_alu instid0(VALU_DEP_1) | instskip(SKIP_4) | instid1(VALU_DEP_2)
	v_mul_f64 v[15:16], v[5:6], v[15:16]
	global_store_b64 v[17:18], v[15:16], off
	global_load_b64 v[15:16], v[19:20], off
	v_lshlrev_b64 v[17:18], 3, v[1:2]
	v_add_nc_u32_e32 v1, s4, v1
	v_add_co_u32 v17, vcc_lo, s2, v17
	s_delay_alu instid0(VALU_DEP_3) | instskip(SKIP_2) | instid1(VALU_DEP_1)
	v_add_co_ci_u32_e32 v18, vcc_lo, s3, v18, vcc_lo
	s_waitcnt vmcnt(0)
	v_mul_f64 v[15:16], v[13:14], v[15:16]
	v_mul_f64 v[15:16], v[7:8], v[15:16]
	global_store_b64 v[19:20], v[15:16], off
	;; [unrolled: 21-line block ×4, first 2 shown]
	global_load_b64 v[15:16], v[17:18], off
	s_waitcnt vmcnt(0)
	v_mul_f64 v[13:14], v[13:14], v[15:16]
	v_lshlrev_b64 v[15:16], 3, v[1:2]
	v_add_nc_u32_e32 v1, s4, v1
	s_delay_alu instid0(VALU_DEP_2) | instskip(NEXT) | instid1(VALU_DEP_3)
	v_add_co_u32 v15, vcc_lo, s2, v15
	v_add_co_ci_u32_e32 v16, vcc_lo, s3, v16, vcc_lo
	v_mul_f64 v[13:14], v[23:24], v[13:14]
	global_store_b64 v[17:18], v[13:14], off
	global_load_b64 v[13:14], v[15:16], off
	v_lshlrev_b64 v[17:18], 3, v[1:2]
	v_add_nc_u32_e32 v1, s4, v1
	s_delay_alu instid0(VALU_DEP_2) | instskip(NEXT) | instid1(VALU_DEP_3)
	v_add_co_u32 v17, vcc_lo, s2, v17
	v_add_co_ci_u32_e32 v18, vcc_lo, s3, v18, vcc_lo
	s_waitcnt vmcnt(0)
	v_mul_f64 v[13:14], v[5:6], v[13:14]
	global_store_b64 v[15:16], v[13:14], off
	global_load_b64 v[13:14], v[17:18], off
	s_waitcnt vmcnt(0)
	v_mul_f64 v[5:6], v[5:6], v[13:14]
	v_lshlrev_b64 v[13:14], 3, v[1:2]
	v_add_nc_u32_e32 v1, s4, v1
	s_delay_alu instid0(VALU_DEP_2) | instskip(NEXT) | instid1(VALU_DEP_3)
	v_add_co_u32 v13, vcc_lo, s2, v13
	v_add_co_ci_u32_e32 v14, vcc_lo, s3, v14, vcc_lo
	global_store_b64 v[17:18], v[5:6], off
	global_load_b64 v[5:6], v[13:14], off
	s_waitcnt vmcnt(0)
	v_mul_f64 v[5:6], v[7:8], v[5:6]
	v_lshlrev_b64 v[7:8], 3, v[1:2]
	v_add_nc_u32_e32 v1, s4, v1
	s_delay_alu instid0(VALU_DEP_2) | instskip(NEXT) | instid1(VALU_DEP_3)
	v_add_co_u32 v7, vcc_lo, s2, v7
	v_add_co_ci_u32_e32 v8, vcc_lo, s3, v8, vcc_lo
	;; [unrolled: 9-line block ×3, first 2 shown]
	global_store_b64 v[7:8], v[5:6], off
	global_load_b64 v[5:6], v[9:10], off
	s_waitcnt vmcnt(0)
	v_mul_f64 v[3:4], v[3:4], v[5:6]
	v_lshlrev_b64 v[5:6], 3, v[1:2]
	v_add_nc_u32_e32 v1, s4, v1
	s_delay_alu instid0(VALU_DEP_1) | instskip(NEXT) | instid1(VALU_DEP_3)
	v_lshlrev_b64 v[0:1], 3, v[1:2]
	v_add_co_u32 v5, vcc_lo, s2, v5
	s_delay_alu instid0(VALU_DEP_4) | instskip(NEXT) | instid1(VALU_DEP_3)
	v_add_co_ci_u32_e32 v6, vcc_lo, s3, v6, vcc_lo
	v_add_co_u32 v0, vcc_lo, s2, v0
	s_delay_alu instid0(VALU_DEP_4)
	v_add_co_ci_u32_e32 v1, vcc_lo, s3, v1, vcc_lo
	global_store_b64 v[9:10], v[3:4], off
	global_load_b64 v[3:4], v[5:6], off
	s_waitcnt vmcnt(0)
	v_mul_f64 v[3:4], v[11:12], v[3:4]
	global_store_b64 v[5:6], v[3:4], off
	global_load_b64 v[2:3], v[0:1], off
	s_waitcnt vmcnt(0)
	v_mul_f64 v[2:3], v[23:24], v[2:3]
	global_store_b64 v[0:1], v[2:3], off
	s_nop 0
	s_sendmsg sendmsg(MSG_DEALLOC_VGPRS)
	s_endpgm
	.section	.rodata,"a",@progbits
	.p2align	6, 0x0
	.amdhsa_kernel _Z12ratx2_kernelIdEvPKT_PS0_S3_
		.amdhsa_group_segment_fixed_size 0
		.amdhsa_private_segment_fixed_size 0
		.amdhsa_kernarg_size 280
		.amdhsa_user_sgpr_count 15
		.amdhsa_user_sgpr_dispatch_ptr 0
		.amdhsa_user_sgpr_queue_ptr 0
		.amdhsa_user_sgpr_kernarg_segment_ptr 1
		.amdhsa_user_sgpr_dispatch_id 0
		.amdhsa_user_sgpr_private_segment_size 0
		.amdhsa_wavefront_size32 1
		.amdhsa_uses_dynamic_stack 0
		.amdhsa_enable_private_segment 0
		.amdhsa_system_sgpr_workgroup_id_x 1
		.amdhsa_system_sgpr_workgroup_id_y 0
		.amdhsa_system_sgpr_workgroup_id_z 0
		.amdhsa_system_sgpr_workgroup_info 0
		.amdhsa_system_vgpr_workitem_id 0
		.amdhsa_next_free_vgpr 86
		.amdhsa_next_free_sgpr 16
		.amdhsa_reserve_vcc 1
		.amdhsa_float_round_mode_32 0
		.amdhsa_float_round_mode_16_64 0
		.amdhsa_float_denorm_mode_32 3
		.amdhsa_float_denorm_mode_16_64 3
		.amdhsa_dx10_clamp 1
		.amdhsa_ieee_mode 1
		.amdhsa_fp16_overflow 0
		.amdhsa_workgroup_processor_mode 1
		.amdhsa_memory_ordered 1
		.amdhsa_forward_progress 0
		.amdhsa_shared_vgpr_count 0
		.amdhsa_exception_fp_ieee_invalid_op 0
		.amdhsa_exception_fp_denorm_src 0
		.amdhsa_exception_fp_ieee_div_zero 0
		.amdhsa_exception_fp_ieee_overflow 0
		.amdhsa_exception_fp_ieee_underflow 0
		.amdhsa_exception_fp_ieee_inexact 0
		.amdhsa_exception_int_div_zero 0
	.end_amdhsa_kernel
	.section	.text._Z12ratx2_kernelIdEvPKT_PS0_S3_,"axG",@progbits,_Z12ratx2_kernelIdEvPKT_PS0_S3_,comdat
.Lfunc_end41:
	.size	_Z12ratx2_kernelIdEvPKT_PS0_S3_, .Lfunc_end41-_Z12ratx2_kernelIdEvPKT_PS0_S3_
                                        ; -- End function
	.section	.AMDGPU.csdata,"",@progbits
; Kernel info:
; codeLenInByte = 12344
; NumSgprs: 18
; NumVgprs: 86
; ScratchSize: 0
; MemoryBound: 1
; FloatMode: 240
; IeeeMode: 1
; LDSByteSize: 0 bytes/workgroup (compile time only)
; SGPRBlocks: 2
; VGPRBlocks: 10
; NumSGPRsForWavesPerEU: 18
; NumVGPRsForWavesPerEU: 86
; Occupancy: 16
; WaveLimiterHint : 1
; COMPUTE_PGM_RSRC2:SCRATCH_EN: 0
; COMPUTE_PGM_RSRC2:USER_SGPR: 15
; COMPUTE_PGM_RSRC2:TRAP_HANDLER: 0
; COMPUTE_PGM_RSRC2:TGID_X_EN: 1
; COMPUTE_PGM_RSRC2:TGID_Y_EN: 0
; COMPUTE_PGM_RSRC2:TGID_Z_EN: 0
; COMPUTE_PGM_RSRC2:TIDIG_COMP_CNT: 0
	.section	.text._Z12ratx4_kernelIdEvPKT_PS0_S3_,"axG",@progbits,_Z12ratx4_kernelIdEvPKT_PS0_S3_,comdat
	.protected	_Z12ratx4_kernelIdEvPKT_PS0_S3_ ; -- Begin function _Z12ratx4_kernelIdEvPKT_PS0_S3_
	.globl	_Z12ratx4_kernelIdEvPKT_PS0_S3_
	.p2align	8
	.type	_Z12ratx4_kernelIdEvPKT_PS0_S3_,@function
_Z12ratx4_kernelIdEvPKT_PS0_S3_:        ; @_Z12ratx4_kernelIdEvPKT_PS0_S3_
; %bb.0:
	s_clause 0x3
	s_load_b32 s4, s[0:1], 0x24
	s_load_b32 s5, s[0:1], 0x18
	s_load_b64 s[2:3], s[0:1], 0x10
	s_load_b64 s[0:1], s[0:1], 0x0
	s_waitcnt lgkmcnt(0)
	s_and_b32 s4, s4, 0xffff
	s_delay_alu instid0(SALU_CYCLE_1) | instskip(SKIP_1) | instid1(SALU_CYCLE_1)
	v_mad_u64_u32 v[1:2], null, s15, s4, v[0:1]
	s_mul_i32 s4, s5, s4
	s_lshl_b32 s5, s4, 1
	v_mov_b32_e32 v2, 0
	s_lshl_b32 s6, s4, 2
	s_delay_alu instid0(VALU_DEP_1) | instskip(SKIP_2) | instid1(VALU_DEP_3)
	v_dual_mov_b32 v4, v2 :: v_dual_add_nc_u32 v3, s5, v1
	v_lshlrev_b64 v[7:8], 3, v[1:2]
	v_add_nc_u32_e32 v1, s4, v1
	v_lshlrev_b64 v[9:10], 3, v[3:4]
	v_add_nc_u32_e32 v3, s5, v3
	s_delay_alu instid0(VALU_DEP_4) | instskip(SKIP_1) | instid1(VALU_DEP_4)
	v_add_co_u32 v13, vcc_lo, s2, v7
	v_add_co_ci_u32_e32 v14, vcc_lo, s3, v8, vcc_lo
	v_add_co_u32 v4, vcc_lo, s0, v9
	v_add_co_ci_u32_e32 v5, vcc_lo, s1, v10, vcc_lo
	global_load_b64 v[15:16], v[13:14], off
	global_load_b64 v[21:22], v[4:5], off
	v_mov_b32_e32 v4, v2
	v_lshlrev_b64 v[17:18], 3, v[1:2]
	v_add_nc_u32_e32 v1, s6, v1
	s_delay_alu instid0(VALU_DEP_3) | instskip(NEXT) | instid1(VALU_DEP_2)
	v_lshlrev_b64 v[3:4], 3, v[3:4]
	v_lshlrev_b64 v[19:20], 3, v[1:2]
	v_subrev_nc_u32_e32 v1, s5, v1
	s_delay_alu instid0(VALU_DEP_3) | instskip(NEXT) | instid1(VALU_DEP_4)
	v_add_co_u32 v3, vcc_lo, s0, v3
	v_add_co_ci_u32_e32 v4, vcc_lo, s1, v4, vcc_lo
	v_add_co_u32 v5, vcc_lo, s0, v17
	v_add_co_ci_u32_e32 v6, vcc_lo, s1, v18, vcc_lo
	global_load_b64 v[3:4], v[3:4], off
	v_add_co_u32 v23, vcc_lo, s0, v19
	v_add_co_ci_u32_e32 v24, vcc_lo, s1, v20, vcc_lo
	v_add_co_u32 v17, vcc_lo, s2, v17
	v_add_co_ci_u32_e32 v18, vcc_lo, s3, v18, vcc_lo
	s_clause 0x1
	global_load_b64 v[11:12], v[5:6], off
	global_load_b64 v[5:6], v[23:24], off
	v_add_co_u32 v9, vcc_lo, s2, v9
	v_add_co_ci_u32_e32 v10, vcc_lo, s3, v10, vcc_lo
	s_waitcnt vmcnt(3)
	v_mul_f64 v[15:16], v[15:16], v[21:22]
	s_waitcnt vmcnt(2)
	s_delay_alu instid0(VALU_DEP_1)
	v_mul_f64 v[15:16], v[15:16], v[3:4]
	global_store_b64 v[13:14], v[15:16], off
	global_load_b64 v[13:14], v[17:18], off
	v_lshlrev_b64 v[15:16], 3, v[1:2]
	s_waitcnt vmcnt(0)
	v_mul_f64 v[13:14], v[13:14], v[11:12]
	s_delay_alu instid0(VALU_DEP_1)
	v_mul_f64 v[13:14], v[3:4], v[13:14]
	global_store_b64 v[17:18], v[13:14], off
	global_load_b64 v[13:14], v[9:10], off
	v_add_co_u32 v17, vcc_lo, s2, v15
	v_add_co_ci_u32_e32 v18, vcc_lo, s3, v16, vcc_lo
	v_add_co_u32 v7, vcc_lo, s0, v7
	v_add_co_ci_u32_e32 v8, vcc_lo, s1, v8, vcc_lo
	;; [unrolled: 2-line block ×3, first 2 shown]
	global_load_b64 v[7:8], v[7:8], off
	s_waitcnt vmcnt(1)
	v_mul_f64 v[13:14], v[11:12], v[13:14]
	s_delay_alu instid0(VALU_DEP_1) | instskip(SKIP_4) | instid1(VALU_DEP_1)
	v_mul_f64 v[13:14], v[13:14], v[5:6]
	global_store_b64 v[9:10], v[13:14], off
	global_load_b64 v[9:10], v[17:18], off
	s_waitcnt vmcnt(0)
	v_mul_f64 v[9:10], v[21:22], v[9:10]
	v_mul_f64 v[9:10], v[5:6], v[9:10]
	global_store_b64 v[17:18], v[9:10], off
	global_load_b64 v[17:18], v[19:20], off
	v_mad_u64_u32 v[9:10], null, s4, 3, v[1:2]
	s_delay_alu instid0(VALU_DEP_1) | instskip(NEXT) | instid1(VALU_DEP_1)
	v_dual_mov_b32 v10, v2 :: v_dual_add_nc_u32 v1, s4, v9
	v_lshlrev_b64 v[23:24], 3, v[9:10]
	s_delay_alu instid0(VALU_DEP_2) | instskip(SKIP_1) | instid1(VALU_DEP_3)
	v_lshlrev_b64 v[39:40], 3, v[1:2]
	v_add_nc_u32_e32 v1, s6, v1
	v_add_co_u32 v13, vcc_lo, s0, v23
	s_delay_alu instid0(VALU_DEP_4) | instskip(NEXT) | instid1(VALU_DEP_3)
	v_add_co_ci_u32_e32 v14, vcc_lo, s1, v24, vcc_lo
	v_lshlrev_b64 v[9:10], 3, v[1:2]
	v_add_nc_u32_e32 v1, s4, v1
	s_delay_alu instid0(VALU_DEP_2) | instskip(NEXT) | instid1(VALU_DEP_3)
	v_add_co_u32 v9, vcc_lo, s0, v9
	v_add_co_ci_u32_e32 v10, vcc_lo, s1, v10, vcc_lo
	v_add_co_u32 v15, vcc_lo, s0, v15
	v_add_co_ci_u32_e32 v16, vcc_lo, s1, v16, vcc_lo
	s_clause 0x2
	global_load_b64 v[31:32], v[9:10], off
	global_load_b64 v[9:10], v[13:14], off
	;; [unrolled: 1-line block ×3, first 2 shown]
	s_waitcnt vmcnt(3)
	v_mul_f64 v[15:16], v[17:18], v[7:8]
	v_add_co_u32 v17, vcc_lo, s2, v23
	v_add_co_ci_u32_e32 v18, vcc_lo, s3, v24, vcc_lo
	s_delay_alu instid0(VALU_DEP_3)
	v_mul_f64 v[15:16], v[7:8], v[15:16]
	global_store_b64 v[19:20], v[15:16], off
	global_load_b64 v[15:16], v[17:18], off
	v_add_co_u32 v19, vcc_lo, s2, v39
	v_add_co_ci_u32_e32 v20, vcc_lo, s3, v40, vcc_lo
	s_waitcnt vmcnt(0)
	v_mul_f64 v[15:16], v[7:8], v[15:16]
	s_delay_alu instid0(VALU_DEP_1) | instskip(SKIP_4) | instid1(VALU_DEP_2)
	v_mul_f64 v[15:16], v[5:6], v[15:16]
	global_store_b64 v[17:18], v[15:16], off
	global_load_b64 v[15:16], v[19:20], off
	v_lshlrev_b64 v[17:18], 3, v[1:2]
	v_add_nc_u32_e32 v1, s4, v1
	v_add_co_u32 v25, vcc_lo, s2, v17
	s_delay_alu instid0(VALU_DEP_3) | instskip(NEXT) | instid1(VALU_DEP_3)
	v_add_co_ci_u32_e32 v26, vcc_lo, s3, v18, vcc_lo
	v_lshlrev_b64 v[23:24], 3, v[1:2]
	v_add_nc_u32_e32 v1, s4, v1
	s_delay_alu instid0(VALU_DEP_1) | instskip(SKIP_2) | instid1(VALU_DEP_1)
	v_lshlrev_b64 v[37:38], 3, v[1:2]
	s_waitcnt vmcnt(0)
	v_mul_f64 v[15:16], v[7:8], v[15:16]
	v_mul_f64 v[15:16], v[15:16], v[31:32]
	global_store_b64 v[19:20], v[15:16], off
	global_load_b64 v[15:16], v[25:26], off
	v_add_co_u32 v19, vcc_lo, s2, v23
	v_add_co_ci_u32_e32 v20, vcc_lo, s3, v24, vcc_lo
	v_add_co_u32 v45, vcc_lo, s2, v37
	v_add_co_ci_u32_e32 v46, vcc_lo, s3, v38, vcc_lo
	s_waitcnt vmcnt(0)
	v_mul_f64 v[15:16], v[15:16], v[9:10]
	s_delay_alu instid0(VALU_DEP_1) | instskip(SKIP_4) | instid1(VALU_DEP_1)
	v_mul_f64 v[15:16], v[15:16], v[13:14]
	global_store_b64 v[25:26], v[15:16], off
	global_load_b64 v[15:16], v[19:20], off
	s_waitcnt vmcnt(0)
	v_mul_f64 v[15:16], v[9:10], v[15:16]
	v_mul_f64 v[15:16], v[5:6], v[15:16]
	global_store_b64 v[19:20], v[15:16], off
	global_load_b64 v[15:16], v[45:46], off
	v_mad_u64_u32 v[19:20], null, s4, 7, v[1:2]
	v_mov_b32_e32 v20, v2
	s_delay_alu instid0(VALU_DEP_1) | instskip(SKIP_2) | instid1(VALU_DEP_3)
	v_lshlrev_b64 v[47:48], 3, v[19:20]
	v_mad_u64_u32 v[43:44], null, s4, -6, v[19:20]
	v_mov_b32_e32 v44, v2
	v_add_co_u32 v0, vcc_lo, s0, v47
	s_delay_alu instid0(VALU_DEP_4) | instskip(SKIP_3) | instid1(VALU_DEP_2)
	v_add_co_ci_u32_e32 v1, vcc_lo, s1, v48, vcc_lo
	global_load_b64 v[33:34], v[0:1], off
	v_add_nc_u32_e32 v1, s4, v43
	v_lshlrev_b64 v[43:44], 3, v[43:44]
	v_lshlrev_b64 v[35:36], 3, v[1:2]
	v_add_nc_u32_e32 v1, s4, v1
	s_delay_alu instid0(VALU_DEP_1) | instskip(SKIP_1) | instid1(VALU_DEP_1)
	v_lshlrev_b64 v[27:28], 3, v[1:2]
	v_add_nc_u32_e32 v1, s4, v1
	v_lshlrev_b64 v[41:42], 3, v[1:2]
	v_add_nc_u32_e32 v1, s4, v1
	s_delay_alu instid0(VALU_DEP_1) | instskip(SKIP_1) | instid1(VALU_DEP_1)
	v_lshlrev_b64 v[25:26], 3, v[1:2]
	v_add_nc_u32_e32 v1, s4, v1
	;; [unrolled: 5-line block ×7, first 2 shown]
	v_lshlrev_b64 v[69:70], 3, v[1:2]
	v_add_nc_u32_e32 v1, s4, v1
	s_delay_alu instid0(VALU_DEP_1) | instskip(SKIP_2) | instid1(VALU_DEP_2)
	v_mad_u64_u32 v[71:72], null, 0xffffffe9, s4, v[1:2]
	v_mov_b32_e32 v72, v2
	v_lshlrev_b64 v[0:1], 3, v[1:2]
	v_lshlrev_b64 v[19:20], 3, v[71:72]
	s_waitcnt vmcnt(1)
	v_mul_f64 v[65:66], v[9:10], v[15:16]
	v_add_co_u32 v15, vcc_lo, s0, v39
	v_add_co_ci_u32_e32 v16, vcc_lo, s1, v40, vcc_lo
	v_add_co_u32 v39, vcc_lo, s0, v17
	v_add_co_ci_u32_e32 v40, vcc_lo, s1, v18, vcc_lo
	;; [unrolled: 2-line block ×3, first 2 shown]
	s_clause 0x2
	global_load_b64 v[17:18], v[15:16], off
	global_load_b64 v[15:16], v[39:40], off
	;; [unrolled: 1-line block ×3, first 2 shown]
	s_waitcnt vmcnt(3)
	v_mul_f64 v[39:40], v[65:66], v[33:34]
	v_add_co_u32 v65, vcc_lo, s2, v43
	v_add_co_ci_u32_e32 v66, vcc_lo, s3, v44, vcc_lo
	global_store_b64 v[45:46], v[39:40], off
	global_load_b64 v[39:40], v[65:66], off
	v_add_co_u32 v45, vcc_lo, s2, v35
	v_add_co_ci_u32_e32 v46, vcc_lo, s3, v36, vcc_lo
	s_waitcnt vmcnt(0)
	v_mul_f64 v[39:40], v[39:40], v[17:18]
	global_store_b64 v[65:66], v[39:40], off
	global_load_b64 v[39:40], v[45:46], off
	v_add_co_u32 v65, vcc_lo, s2, v27
	v_add_co_ci_u32_e32 v66, vcc_lo, s3, v28, vcc_lo
	s_waitcnt vmcnt(0)
	v_mul_f64 v[39:40], v[21:22], v[39:40]
	s_delay_alu instid0(VALU_DEP_1)
	v_mul_f64 v[39:40], v[5:6], v[39:40]
	global_store_b64 v[45:46], v[39:40], off
	global_load_b64 v[39:40], v[65:66], off
	v_add_co_u32 v45, vcc_lo, s2, v41
	v_add_co_ci_u32_e32 v46, vcc_lo, s3, v42, vcc_lo
	s_waitcnt vmcnt(0)
	v_mul_f64 v[39:40], v[13:14], v[39:40]
	s_delay_alu instid0(VALU_DEP_1)
	;; [unrolled: 8-line block ×3, first 2 shown]
	v_mul_f64 v[39:40], v[3:4], v[39:40]
	global_store_b64 v[45:46], v[39:40], off
	global_load_b64 v[39:40], v[65:66], off
	v_add_co_u32 v45, vcc_lo, s2, v29
	v_add_co_ci_u32_e32 v46, vcc_lo, s3, v30, vcc_lo
	v_add_co_u32 v47, vcc_lo, s2, v47
	v_add_co_ci_u32_e32 v48, vcc_lo, s3, v48, vcc_lo
	s_waitcnt vmcnt(0)
	v_mul_f64 v[39:40], v[3:4], v[39:40]
	s_delay_alu instid0(VALU_DEP_1) | instskip(SKIP_4) | instid1(VALU_DEP_1)
	v_mul_f64 v[39:40], v[13:14], v[39:40]
	global_store_b64 v[65:66], v[39:40], off
	global_load_b64 v[39:40], v[45:46], off
	s_waitcnt vmcnt(0)
	v_mul_f64 v[39:40], v[13:14], v[39:40]
	v_mul_f64 v[39:40], v[5:6], v[39:40]
	global_store_b64 v[45:46], v[39:40], off
	global_load_b64 v[39:40], v[47:48], off
	v_add_co_u32 v45, vcc_lo, s2, v49
	v_add_co_ci_u32_e32 v46, vcc_lo, s3, v50, vcc_lo
	s_waitcnt vmcnt(0)
	v_mul_f64 v[39:40], v[13:14], v[39:40]
	s_delay_alu instid0(VALU_DEP_1)
	v_mul_f64 v[39:40], v[17:18], v[39:40]
	global_store_b64 v[47:48], v[39:40], off
	global_load_b64 v[39:40], v[45:46], off
	v_add_co_u32 v47, vcc_lo, s2, v51
	v_add_co_ci_u32_e32 v48, vcc_lo, s3, v52, vcc_lo
	s_waitcnt vmcnt(0)
	v_mul_f64 v[39:40], v[13:14], v[39:40]
	s_delay_alu instid0(VALU_DEP_1)
	;; [unrolled: 8-line block ×8, first 2 shown]
	v_mul_f64 v[39:40], v[11:12], v[39:40]
	global_store_b64 v[45:46], v[39:40], off
	global_load_b64 v[39:40], v[47:48], off
	v_add_co_u32 v45, vcc_lo, s2, v67
	v_add_co_ci_u32_e32 v46, vcc_lo, s3, v68, vcc_lo
	s_waitcnt vmcnt(0)
	v_mul_f64 v[39:40], v[39:40], v[15:16]
	global_store_b64 v[47:48], v[39:40], off
	global_load_b64 v[39:40], v[45:46], off
	v_add_co_u32 v47, vcc_lo, s2, v69
	v_add_co_ci_u32_e32 v48, vcc_lo, s3, v70, vcc_lo
	v_add_co_u32 v0, vcc_lo, s2, v0
	v_add_co_ci_u32_e32 v1, vcc_lo, s3, v1, vcc_lo
	s_waitcnt vmcnt(0)
	v_mul_f64 v[39:40], v[31:32], v[39:40]
	s_delay_alu instid0(VALU_DEP_1)
	v_mul_f64 v[39:40], v[21:22], v[39:40]
	global_store_b64 v[45:46], v[39:40], off
	global_load_b64 v[39:40], v[47:48], off
	v_mad_u64_u32 v[45:46], null, s4, 24, v[71:72]
	v_mov_b32_e32 v46, v2
	s_waitcnt vmcnt(0)
	v_mul_f64 v[39:40], v[31:32], v[39:40]
	s_delay_alu instid0(VALU_DEP_1) | instskip(SKIP_3) | instid1(VALU_DEP_1)
	v_mul_f64 v[39:40], v[3:4], v[39:40]
	global_store_b64 v[47:48], v[39:40], off
	global_load_b64 v[39:40], v[0:1], off
	v_lshlrev_b64 v[46:47], 3, v[45:46]
	v_add_co_u32 v46, vcc_lo, s2, v46
	s_delay_alu instid0(VALU_DEP_2) | instskip(SKIP_2) | instid1(VALU_DEP_1)
	v_add_co_ci_u32_e32 v47, vcc_lo, s3, v47, vcc_lo
	s_waitcnt vmcnt(0)
	v_mul_f64 v[39:40], v[39:40], v[19:20]
	v_mul_f64 v[39:40], v[11:12], v[39:40]
	global_store_b64 v[0:1], v[39:40], off
	global_load_b64 v[0:1], v[46:47], off
	s_waitcnt vmcnt(0)
	v_mul_f64 v[39:40], v[11:12], v[0:1]
	v_add_nc_u32_e32 v1, s4, v45
	s_delay_alu instid0(VALU_DEP_1) | instskip(SKIP_1) | instid1(VALU_DEP_2)
	v_lshlrev_b64 v[48:49], 3, v[1:2]
	v_add_nc_u32_e32 v1, s4, v1
	v_add_co_u32 v48, vcc_lo, s2, v48
	s_delay_alu instid0(VALU_DEP_3) | instskip(SKIP_4) | instid1(VALU_DEP_2)
	v_add_co_ci_u32_e32 v49, vcc_lo, s3, v49, vcc_lo
	global_store_b64 v[46:47], v[39:40], off
	global_load_b64 v[39:40], v[48:49], off
	v_lshlrev_b64 v[45:46], 3, v[1:2]
	v_add_nc_u32_e32 v1, s4, v1
	v_add_co_u32 v45, vcc_lo, s2, v45
	s_delay_alu instid0(VALU_DEP_3)
	v_add_co_ci_u32_e32 v46, vcc_lo, s3, v46, vcc_lo
	s_waitcnt vmcnt(0)
	v_mul_f64 v[39:40], v[11:12], v[39:40]
	global_store_b64 v[48:49], v[39:40], off
	global_load_b64 v[39:40], v[45:46], off
	v_lshlrev_b64 v[47:48], 3, v[1:2]
	v_add_nc_u32_e32 v1, s4, v1
	s_delay_alu instid0(VALU_DEP_2) | instskip(NEXT) | instid1(VALU_DEP_3)
	v_add_co_u32 v47, vcc_lo, s2, v47
	v_add_co_ci_u32_e32 v48, vcc_lo, s3, v48, vcc_lo
	v_add_co_u32 v35, vcc_lo, s0, v35
	v_add_co_ci_u32_e32 v36, vcc_lo, s1, v36, vcc_lo
	global_load_b64 v[35:36], v[35:36], off
	s_waitcnt vmcnt(1)
	v_mul_f64 v[39:40], v[15:16], v[39:40]
	s_delay_alu instid0(VALU_DEP_1) | instskip(SKIP_4) | instid1(VALU_DEP_2)
	v_mul_f64 v[39:40], v[11:12], v[39:40]
	global_store_b64 v[45:46], v[39:40], off
	global_load_b64 v[39:40], v[47:48], off
	v_lshlrev_b64 v[45:46], 3, v[1:2]
	v_add_nc_u32_e32 v1, s4, v1
	v_add_co_u32 v45, vcc_lo, s2, v45
	s_delay_alu instid0(VALU_DEP_3) | instskip(NEXT) | instid1(VALU_DEP_3)
	v_add_co_ci_u32_e32 v46, vcc_lo, s3, v46, vcc_lo
	v_lshlrev_b64 v[49:50], 3, v[1:2]
	v_add_nc_u32_e32 v1, s4, v1
	v_add_co_u32 v27, vcc_lo, s0, v27
	v_add_co_ci_u32_e32 v28, vcc_lo, s1, v28, vcc_lo
	s_delay_alu instid0(VALU_DEP_3) | instskip(SKIP_1) | instid1(VALU_DEP_1)
	v_lshlrev_b64 v[51:52], 3, v[1:2]
	v_add_nc_u32_e32 v1, s4, v1
	v_lshlrev_b64 v[53:54], 3, v[1:2]
	v_add_nc_u32_e32 v1, s4, v1
	s_delay_alu instid0(VALU_DEP_1) | instskip(SKIP_1) | instid1(VALU_DEP_1)
	v_lshlrev_b64 v[55:56], 3, v[1:2]
	v_add_nc_u32_e32 v1, s4, v1
	v_lshlrev_b64 v[57:58], 3, v[1:2]
	v_add_nc_u32_e32 v1, s4, v1
	s_delay_alu instid0(VALU_DEP_1) | instskip(SKIP_1) | instid1(VALU_DEP_1)
	v_lshlrev_b64 v[59:60], 3, v[1:2]
	v_add_nc_u32_e32 v1, s5, v1
	v_lshlrev_b64 v[61:62], 3, v[1:2]
	v_add_nc_u32_e32 v1, s4, v1
	s_delay_alu instid0(VALU_DEP_1)
	v_mad_u64_u32 v[63:64], null, 0xffffffd9, s4, v[1:2]
	v_mov_b32_e32 v64, v2
	v_lshlrev_b64 v[0:1], 3, v[1:2]
	s_waitcnt vmcnt(0)
	v_mul_f64 v[39:40], v[21:22], v[39:40]
	global_store_b64 v[47:48], v[39:40], off
	global_load_b64 v[47:48], v[45:46], off
	v_lshlrev_b64 v[39:40], 3, v[63:64]
	s_delay_alu instid0(VALU_DEP_1) | instskip(NEXT) | instid1(VALU_DEP_2)
	v_add_co_u32 v39, vcc_lo, s0, v39
	v_add_co_ci_u32_e32 v40, vcc_lo, s1, v40, vcc_lo
	v_add_co_u32 v64, vcc_lo, s0, v23
	v_add_co_ci_u32_e32 v65, vcc_lo, s1, v24, vcc_lo
	;; [unrolled: 2-line block ×3, first 2 shown]
	s_clause 0x2
	global_load_b64 v[23:24], v[39:40], off
	global_load_b64 v[27:28], v[27:28], off
	;; [unrolled: 1-line block ×3, first 2 shown]
	s_waitcnt vmcnt(3)
	v_mul_f64 v[47:48], v[47:48], v[35:36]
	global_store_b64 v[45:46], v[47:48], off
	global_load_b64 v[45:46], v[49:50], off
	v_add_co_u32 v47, vcc_lo, s2, v51
	v_add_co_ci_u32_e32 v48, vcc_lo, s3, v52, vcc_lo
	s_waitcnt vmcnt(0)
	v_mul_f64 v[45:46], v[19:20], v[45:46]
	global_store_b64 v[49:50], v[45:46], off
	global_load_b64 v[45:46], v[47:48], off
	v_add_co_u32 v49, vcc_lo, s2, v53
	v_add_co_ci_u32_e32 v50, vcc_lo, s3, v54, vcc_lo
	;; [unrolled: 6-line block ×3, first 2 shown]
	s_waitcnt vmcnt(0)
	v_mul_f64 v[45:46], v[19:20], v[45:46]
	s_delay_alu instid0(VALU_DEP_1)
	v_mul_f64 v[45:46], v[7:8], v[45:46]
	global_store_b64 v[49:50], v[45:46], off
	global_load_b64 v[45:46], v[47:48], off
	v_add_co_u32 v49, vcc_lo, s2, v57
	v_add_co_ci_u32_e32 v50, vcc_lo, s3, v58, vcc_lo
	s_waitcnt vmcnt(0)
	v_mul_f64 v[45:46], v[19:20], v[45:46]
	s_delay_alu instid0(VALU_DEP_1)
	v_mul_f64 v[45:46], v[3:4], v[45:46]
	global_store_b64 v[47:48], v[45:46], off
	global_load_b64 v[45:46], v[49:50], off
	v_add_co_u32 v47, vcc_lo, s2, v59
	v_add_co_ci_u32_e32 v48, vcc_lo, s3, v60, vcc_lo
	;; [unrolled: 8-line block ×3, first 2 shown]
	v_add_co_u32 v0, vcc_lo, s2, v0
	v_add_co_ci_u32_e32 v1, vcc_lo, s3, v1, vcc_lo
	s_waitcnt vmcnt(0)
	v_mul_f64 v[45:46], v[19:20], v[45:46]
	s_delay_alu instid0(VALU_DEP_1)
	v_mul_f64 v[45:46], v[5:6], v[45:46]
	global_store_b64 v[47:48], v[45:46], off
	global_load_b64 v[45:46], v[49:50], off
	v_mad_u64_u32 v[47:48], null, s4, 40, v[63:64]
	v_mov_b32_e32 v48, v2
	s_waitcnt vmcnt(0)
	v_mul_f64 v[45:46], v[19:20], v[45:46]
	s_delay_alu instid0(VALU_DEP_1) | instskip(SKIP_3) | instid1(VALU_DEP_1)
	v_mul_f64 v[45:46], v[9:10], v[45:46]
	global_store_b64 v[49:50], v[45:46], off
	global_load_b64 v[45:46], v[0:1], off
	v_lshlrev_b64 v[48:49], 3, v[47:48]
	v_add_co_u32 v48, vcc_lo, s2, v48
	s_delay_alu instid0(VALU_DEP_2)
	v_add_co_ci_u32_e32 v49, vcc_lo, s3, v49, vcc_lo
	s_waitcnt vmcnt(0)
	v_mul_f64 v[45:46], v[45:46], v[23:24]
	global_store_b64 v[0:1], v[45:46], off
	global_load_b64 v[0:1], v[48:49], off
	s_waitcnt vmcnt(0)
	v_mul_f64 v[0:1], v[11:12], v[0:1]
	s_delay_alu instid0(VALU_DEP_1) | instskip(SKIP_1) | instid1(VALU_DEP_1)
	v_mul_f64 v[45:46], v[23:24], v[0:1]
	v_add_nc_u32_e32 v1, s4, v47
	v_lshlrev_b64 v[50:51], 3, v[1:2]
	v_add_nc_u32_e32 v1, s4, v1
	s_delay_alu instid0(VALU_DEP_2) | instskip(NEXT) | instid1(VALU_DEP_3)
	v_add_co_u32 v50, vcc_lo, s2, v50
	v_add_co_ci_u32_e32 v51, vcc_lo, s3, v51, vcc_lo
	global_store_b64 v[48:49], v[45:46], off
	global_load_b64 v[45:46], v[50:51], off
	v_lshlrev_b64 v[47:48], 3, v[1:2]
	v_add_nc_u32_e32 v1, s4, v1
	s_delay_alu instid0(VALU_DEP_2) | instskip(NEXT) | instid1(VALU_DEP_3)
	v_add_co_u32 v47, vcc_lo, s2, v47
	v_add_co_ci_u32_e32 v48, vcc_lo, s3, v48, vcc_lo
	s_waitcnt vmcnt(0)
	v_mul_f64 v[45:46], v[11:12], v[45:46]
	global_store_b64 v[50:51], v[45:46], off
	global_load_b64 v[45:46], v[47:48], off
	v_lshlrev_b64 v[49:50], 3, v[1:2]
	v_add_nc_u32_e32 v1, s4, v1
	s_delay_alu instid0(VALU_DEP_2) | instskip(NEXT) | instid1(VALU_DEP_3)
	v_add_co_u32 v49, vcc_lo, s2, v49
	v_add_co_ci_u32_e32 v50, vcc_lo, s3, v50, vcc_lo
	s_waitcnt vmcnt(0)
	v_mul_f64 v[45:46], v[3:4], v[45:46]
	;; [unrolled: 9-line block ×3, first 2 shown]
	s_delay_alu instid0(VALU_DEP_1) | instskip(NEXT) | instid1(VALU_DEP_1)
	v_mul_f64 v[45:46], v[11:12], v[45:46]
	v_mul_f64 v[45:46], v[11:12], v[45:46]
	global_store_b64 v[49:50], v[45:46], off
	global_load_b64 v[45:46], v[47:48], off
	v_lshlrev_b64 v[49:50], 3, v[1:2]
	v_add_nc_u32_e32 v1, s4, v1
	s_delay_alu instid0(VALU_DEP_2) | instskip(NEXT) | instid1(VALU_DEP_3)
	v_add_co_u32 v49, vcc_lo, s2, v49
	v_add_co_ci_u32_e32 v50, vcc_lo, s3, v50, vcc_lo
	s_waitcnt vmcnt(0)
	v_mul_f64 v[45:46], v[15:16], v[45:46]
	s_delay_alu instid0(VALU_DEP_1) | instskip(SKIP_4) | instid1(VALU_DEP_2)
	v_mul_f64 v[45:46], v[11:12], v[45:46]
	global_store_b64 v[47:48], v[45:46], off
	global_load_b64 v[45:46], v[49:50], off
	v_lshlrev_b64 v[47:48], 3, v[1:2]
	v_add_nc_u32_e32 v1, s4, v1
	v_add_co_u32 v47, vcc_lo, s2, v47
	s_delay_alu instid0(VALU_DEP_3)
	v_add_co_ci_u32_e32 v48, vcc_lo, s3, v48, vcc_lo
	s_waitcnt vmcnt(0)
	v_mul_f64 v[45:46], v[5:6], v[45:46]
	global_store_b64 v[49:50], v[45:46], off
	global_load_b64 v[45:46], v[47:48], off
	v_lshlrev_b64 v[49:50], 3, v[1:2]
	v_add_nc_u32_e32 v1, s4, v1
	s_delay_alu instid0(VALU_DEP_2) | instskip(NEXT) | instid1(VALU_DEP_3)
	v_add_co_u32 v49, vcc_lo, s2, v49
	v_add_co_ci_u32_e32 v50, vcc_lo, s3, v50, vcc_lo
	s_waitcnt vmcnt(0)
	v_mul_f64 v[45:46], v[15:16], v[45:46]
	s_delay_alu instid0(VALU_DEP_1) | instskip(SKIP_4) | instid1(VALU_DEP_2)
	v_mul_f64 v[45:46], v[3:4], v[45:46]
	global_store_b64 v[47:48], v[45:46], off
	global_load_b64 v[45:46], v[49:50], off
	v_lshlrev_b64 v[47:48], 3, v[1:2]
	v_add_nc_u32_e32 v1, s4, v1
	v_add_co_u32 v47, vcc_lo, s2, v47
	s_delay_alu instid0(VALU_DEP_3)
	v_add_co_ci_u32_e32 v48, vcc_lo, s3, v48, vcc_lo
	s_waitcnt vmcnt(0)
	v_mul_f64 v[45:46], v[45:46], v[27:28]
	global_store_b64 v[49:50], v[45:46], off
	global_load_b64 v[45:46], v[47:48], off
	v_lshlrev_b64 v[49:50], 3, v[1:2]
	v_add_nc_u32_e32 v1, s4, v1
	s_delay_alu instid0(VALU_DEP_2) | instskip(NEXT) | instid1(VALU_DEP_3)
	v_add_co_u32 v49, vcc_lo, s2, v49
	v_add_co_ci_u32_e32 v50, vcc_lo, s3, v50, vcc_lo
	s_waitcnt vmcnt(0)
	v_mul_f64 v[45:46], v[45:46], v[39:40]
	s_delay_alu instid0(VALU_DEP_1) | instskip(SKIP_4) | instid1(VALU_DEP_2)
	v_mul_f64 v[45:46], v[11:12], v[45:46]
	global_store_b64 v[47:48], v[45:46], off
	global_load_b64 v[45:46], v[49:50], off
	v_lshlrev_b64 v[47:48], 3, v[1:2]
	v_add_nc_u32_e32 v1, s4, v1
	v_add_co_u32 v47, vcc_lo, s2, v47
	s_delay_alu instid0(VALU_DEP_3) | instskip(SKIP_2) | instid1(VALU_DEP_1)
	v_add_co_ci_u32_e32 v48, vcc_lo, s3, v48, vcc_lo
	s_waitcnt vmcnt(0)
	v_mul_f64 v[45:46], v[39:40], v[45:46]
	v_mul_f64 v[45:46], v[7:8], v[45:46]
	global_store_b64 v[49:50], v[45:46], off
	global_load_b64 v[45:46], v[47:48], off
	s_waitcnt vmcnt(0)
	v_mul_f64 v[33:34], v[33:34], v[45:46]
	v_lshlrev_b64 v[45:46], 3, v[1:2]
	v_add_nc_u32_e32 v1, s4, v1
	s_delay_alu instid0(VALU_DEP_2) | instskip(NEXT) | instid1(VALU_DEP_3)
	v_add_co_u32 v45, vcc_lo, s2, v45
	v_add_co_ci_u32_e32 v46, vcc_lo, s3, v46, vcc_lo
	global_store_b64 v[47:48], v[33:34], off
	global_load_b64 v[33:34], v[45:46], off
	v_lshlrev_b64 v[47:48], 3, v[1:2]
	v_add_nc_u32_e32 v1, s4, v1
	s_delay_alu instid0(VALU_DEP_2) | instskip(NEXT) | instid1(VALU_DEP_3)
	v_add_co_u32 v47, vcc_lo, s2, v47
	v_add_co_ci_u32_e32 v48, vcc_lo, s3, v48, vcc_lo
	s_waitcnt vmcnt(0)
	v_mul_f64 v[33:34], v[7:8], v[33:34]
	global_store_b64 v[45:46], v[33:34], off
	global_load_b64 v[33:34], v[47:48], off
	v_lshlrev_b64 v[45:46], 3, v[1:2]
	v_add_nc_u32_e32 v1, s4, v1
	s_delay_alu instid0(VALU_DEP_2) | instskip(NEXT) | instid1(VALU_DEP_3)
	v_add_co_u32 v45, vcc_lo, s2, v45
	v_add_co_ci_u32_e32 v46, vcc_lo, s3, v46, vcc_lo
	s_waitcnt vmcnt(0)
	v_mul_f64 v[33:34], v[19:20], v[33:34]
	s_delay_alu instid0(VALU_DEP_1) | instskip(SKIP_4) | instid1(VALU_DEP_2)
	v_mul_f64 v[33:34], v[7:8], v[33:34]
	global_store_b64 v[47:48], v[33:34], off
	global_load_b64 v[33:34], v[45:46], off
	v_lshlrev_b64 v[47:48], 3, v[1:2]
	v_add_nc_u32_e32 v1, s4, v1
	v_add_co_u32 v47, vcc_lo, s2, v47
	s_delay_alu instid0(VALU_DEP_3)
	v_add_co_ci_u32_e32 v48, vcc_lo, s3, v48, vcc_lo
	s_waitcnt vmcnt(0)
	v_mul_f64 v[33:34], v[11:12], v[33:34]
	global_store_b64 v[45:46], v[33:34], off
	global_load_b64 v[33:34], v[47:48], off
	v_lshlrev_b64 v[45:46], 3, v[1:2]
	v_add_nc_u32_e32 v1, s4, v1
	s_delay_alu instid0(VALU_DEP_2) | instskip(NEXT) | instid1(VALU_DEP_3)
	v_add_co_u32 v45, vcc_lo, s2, v45
	v_add_co_ci_u32_e32 v46, vcc_lo, s3, v46, vcc_lo
	s_waitcnt vmcnt(0)
	v_mul_f64 v[33:34], v[15:16], v[33:34]
	s_delay_alu instid0(VALU_DEP_1) | instskip(SKIP_4) | instid1(VALU_DEP_2)
	v_mul_f64 v[33:34], v[11:12], v[33:34]
	global_store_b64 v[47:48], v[33:34], off
	global_load_b64 v[33:34], v[45:46], off
	v_lshlrev_b64 v[47:48], 3, v[1:2]
	v_add_nc_u32_e32 v1, s4, v1
	v_add_co_u32 v47, vcc_lo, s2, v47
	s_delay_alu instid0(VALU_DEP_3) | instskip(SKIP_2) | instid1(VALU_DEP_1)
	v_add_co_ci_u32_e32 v48, vcc_lo, s3, v48, vcc_lo
	s_waitcnt vmcnt(0)
	v_mul_f64 v[33:34], v[23:24], v[33:34]
	v_mul_f64 v[33:34], v[11:12], v[33:34]
	global_store_b64 v[45:46], v[33:34], off
	global_load_b64 v[33:34], v[47:48], off
	v_lshlrev_b64 v[45:46], 3, v[1:2]
	v_add_nc_u32_e32 v1, s4, v1
	s_delay_alu instid0(VALU_DEP_2) | instskip(NEXT) | instid1(VALU_DEP_3)
	v_add_co_u32 v45, vcc_lo, s2, v45
	v_add_co_ci_u32_e32 v46, vcc_lo, s3, v46, vcc_lo
	s_waitcnt vmcnt(0)
	v_mul_f64 v[33:34], v[11:12], v[33:34]
	s_delay_alu instid0(VALU_DEP_1) | instskip(NEXT) | instid1(VALU_DEP_1)
	v_mul_f64 v[33:34], v[3:4], v[33:34]
	v_mul_f64 v[33:34], v[19:20], v[33:34]
	global_store_b64 v[47:48], v[33:34], off
	global_load_b64 v[33:34], v[45:46], off
	v_lshlrev_b64 v[47:48], 3, v[1:2]
	v_add_nc_u32_e32 v1, s4, v1
	s_delay_alu instid0(VALU_DEP_2) | instskip(NEXT) | instid1(VALU_DEP_3)
	v_add_co_u32 v47, vcc_lo, s2, v47
	v_add_co_ci_u32_e32 v48, vcc_lo, s3, v48, vcc_lo
	s_waitcnt vmcnt(0)
	v_mul_f64 v[33:34], v[19:20], v[33:34]
	s_delay_alu instid0(VALU_DEP_1) | instskip(SKIP_4) | instid1(VALU_DEP_2)
	v_mul_f64 v[33:34], v[5:6], v[33:34]
	global_store_b64 v[45:46], v[33:34], off
	global_load_b64 v[33:34], v[47:48], off
	v_lshlrev_b64 v[45:46], 3, v[1:2]
	v_add_nc_u32_e32 v1, s4, v1
	v_add_co_u32 v45, vcc_lo, s2, v45
	s_delay_alu instid0(VALU_DEP_3)
	v_add_co_ci_u32_e32 v46, vcc_lo, s3, v46, vcc_lo
	s_waitcnt vmcnt(0)
	v_mul_f64 v[33:34], v[5:6], v[33:34]
	global_store_b64 v[47:48], v[33:34], off
	global_load_b64 v[33:34], v[45:46], off
	v_lshlrev_b64 v[47:48], 3, v[1:2]
	v_add_nc_u32_e32 v1, s4, v1
	s_delay_alu instid0(VALU_DEP_2) | instskip(NEXT) | instid1(VALU_DEP_3)
	v_add_co_u32 v47, vcc_lo, s2, v47
	v_add_co_ci_u32_e32 v48, vcc_lo, s3, v48, vcc_lo
	s_waitcnt vmcnt(0)
	v_mul_f64 v[33:34], v[19:20], v[33:34]
	global_store_b64 v[45:46], v[33:34], off
	global_load_b64 v[33:34], v[47:48], off
	v_lshlrev_b64 v[45:46], 3, v[1:2]
	v_add_nc_u32_e32 v1, s5, v1
	s_delay_alu instid0(VALU_DEP_2) | instskip(NEXT) | instid1(VALU_DEP_3)
	v_add_co_u32 v45, vcc_lo, s2, v45
	;; [unrolled: 9-line block ×3, first 2 shown]
	v_add_co_ci_u32_e32 v48, vcc_lo, s3, v48, vcc_lo
	s_waitcnt vmcnt(0)
	v_mul_f64 v[33:34], v[15:16], v[33:34]
	s_delay_alu instid0(VALU_DEP_1) | instskip(SKIP_4) | instid1(VALU_DEP_2)
	v_mul_f64 v[33:34], v[19:20], v[33:34]
	global_store_b64 v[45:46], v[33:34], off
	global_load_b64 v[33:34], v[47:48], off
	v_lshlrev_b64 v[45:46], 3, v[1:2]
	v_add_nc_u32_e32 v1, s4, v1
	v_add_co_u32 v45, vcc_lo, s2, v45
	s_delay_alu instid0(VALU_DEP_3)
	v_add_co_ci_u32_e32 v46, vcc_lo, s3, v46, vcc_lo
	s_waitcnt vmcnt(0)
	v_mul_f64 v[33:34], v[7:8], v[33:34]
	global_store_b64 v[47:48], v[33:34], off
	global_load_b64 v[33:34], v[45:46], off
	v_lshlrev_b64 v[47:48], 3, v[1:2]
	v_add_nc_u32_e32 v1, s4, v1
	s_delay_alu instid0(VALU_DEP_2) | instskip(NEXT) | instid1(VALU_DEP_3)
	v_add_co_u32 v47, vcc_lo, s2, v47
	v_add_co_ci_u32_e32 v48, vcc_lo, s3, v48, vcc_lo
	s_waitcnt vmcnt(0)
	v_mul_f64 v[33:34], v[3:4], v[33:34]
	global_store_b64 v[45:46], v[33:34], off
	global_load_b64 v[33:34], v[47:48], off
	v_lshlrev_b64 v[45:46], 3, v[1:2]
	v_add_nc_u32_e32 v1, s4, v1
	s_delay_alu instid0(VALU_DEP_2) | instskip(NEXT) | instid1(VALU_DEP_3)
	v_add_co_u32 v45, vcc_lo, s2, v45
	;; [unrolled: 9-line block ×4, first 2 shown]
	v_add_co_ci_u32_e32 v46, vcc_lo, s3, v46, vcc_lo
	s_delay_alu instid0(VALU_DEP_3)
	v_mad_u64_u32 v[49:50], null, 0xffffffbc, s4, v[1:2]
	v_mov_b32_e32 v50, v2
	v_lshlrev_b64 v[0:1], 3, v[1:2]
	s_waitcnt vmcnt(0)
	v_mul_f64 v[33:34], v[17:18], v[33:34]
	global_store_b64 v[47:48], v[33:34], off
	global_load_b64 v[33:34], v[45:46], off
	s_waitcnt vmcnt(0)
	v_mul_f64 v[33:34], v[27:28], v[33:34]
	s_delay_alu instid0(VALU_DEP_1) | instskip(SKIP_1) | instid1(VALU_DEP_1)
	v_mul_f64 v[47:48], v[11:12], v[33:34]
	v_lshlrev_b64 v[33:34], 3, v[49:50]
	v_add_co_u32 v33, vcc_lo, s0, v33
	s_delay_alu instid0(VALU_DEP_2)
	v_add_co_ci_u32_e32 v34, vcc_lo, s1, v34, vcc_lo
	v_add_co_u32 v0, vcc_lo, s2, v0
	v_add_co_ci_u32_e32 v1, vcc_lo, s3, v1, vcc_lo
	global_load_b64 v[33:34], v[33:34], off
	v_add_co_u32 v37, vcc_lo, s0, v37
	v_add_co_ci_u32_e32 v38, vcc_lo, s1, v38, vcc_lo
	v_add_co_u32 v41, vcc_lo, s0, v41
	v_add_co_ci_u32_e32 v42, vcc_lo, s1, v42, vcc_lo
	global_store_b64 v[45:46], v[47:48], off
	global_load_b64 v[45:46], v[0:1], off
	v_add_co_u32 v47, vcc_lo, s0, v43
	v_add_co_ci_u32_e32 v48, vcc_lo, s1, v44, vcc_lo
	s_clause 0x2
	global_load_b64 v[43:44], v[41:42], off
	global_load_b64 v[37:38], v[37:38], off
	;; [unrolled: 1-line block ×3, first 2 shown]
	v_mad_u64_u32 v[47:48], null, 0x45, s4, v[49:50]
	v_mov_b32_e32 v48, v2
	s_delay_alu instid0(VALU_DEP_1) | instskip(NEXT) | instid1(VALU_DEP_1)
	v_lshlrev_b64 v[48:49], 3, v[47:48]
	v_add_co_u32 v48, vcc_lo, s2, v48
	s_delay_alu instid0(VALU_DEP_2)
	v_add_co_ci_u32_e32 v49, vcc_lo, s3, v49, vcc_lo
	s_waitcnt vmcnt(3)
	v_mul_f64 v[45:46], v[45:46], v[33:34]
	global_store_b64 v[0:1], v[45:46], off
	global_load_b64 v[0:1], v[48:49], off
	s_waitcnt vmcnt(0)
	v_mul_f64 v[0:1], v[15:16], v[0:1]
	s_delay_alu instid0(VALU_DEP_1) | instskip(SKIP_1) | instid1(VALU_DEP_1)
	v_mul_f64 v[45:46], v[11:12], v[0:1]
	v_add_nc_u32_e32 v1, s4, v47
	v_lshlrev_b64 v[50:51], 3, v[1:2]
	v_add_nc_u32_e32 v1, s4, v1
	s_delay_alu instid0(VALU_DEP_2) | instskip(NEXT) | instid1(VALU_DEP_3)
	v_add_co_u32 v50, vcc_lo, s2, v50
	v_add_co_ci_u32_e32 v51, vcc_lo, s3, v51, vcc_lo
	global_store_b64 v[48:49], v[45:46], off
	global_load_b64 v[45:46], v[50:51], off
	v_lshlrev_b64 v[47:48], 3, v[1:2]
	v_add_nc_u32_e32 v1, s4, v1
	s_delay_alu instid0(VALU_DEP_2) | instskip(NEXT) | instid1(VALU_DEP_3)
	v_add_co_u32 v47, vcc_lo, s2, v47
	v_add_co_ci_u32_e32 v48, vcc_lo, s3, v48, vcc_lo
	s_waitcnt vmcnt(0)
	v_mul_f64 v[45:46], v[5:6], v[45:46]
	global_store_b64 v[50:51], v[45:46], off
	global_load_b64 v[45:46], v[47:48], off
	v_lshlrev_b64 v[49:50], 3, v[1:2]
	v_add_nc_u32_e32 v1, s4, v1
	s_delay_alu instid0(VALU_DEP_2) | instskip(NEXT) | instid1(VALU_DEP_3)
	v_add_co_u32 v49, vcc_lo, s2, v49
	v_add_co_ci_u32_e32 v50, vcc_lo, s3, v50, vcc_lo
	s_waitcnt vmcnt(0)
	v_mul_f64 v[45:46], v[5:6], v[45:46]
	;; [unrolled: 9-line block ×4, first 2 shown]
	s_delay_alu instid0(VALU_DEP_1) | instskip(SKIP_4) | instid1(VALU_DEP_2)
	v_mul_f64 v[45:46], v[15:16], v[45:46]
	global_store_b64 v[47:48], v[45:46], off
	global_load_b64 v[45:46], v[49:50], off
	v_lshlrev_b64 v[47:48], 3, v[1:2]
	v_add_nc_u32_e32 v1, s4, v1
	v_add_co_u32 v47, vcc_lo, s2, v47
	s_delay_alu instid0(VALU_DEP_3) | instskip(SKIP_2) | instid1(VALU_DEP_1)
	v_add_co_ci_u32_e32 v48, vcc_lo, s3, v48, vcc_lo
	s_waitcnt vmcnt(0)
	v_mul_f64 v[45:46], v[33:34], v[45:46]
	v_mul_f64 v[45:46], v[13:14], v[45:46]
	global_store_b64 v[49:50], v[45:46], off
	global_load_b64 v[45:46], v[47:48], off
	v_lshlrev_b64 v[49:50], 3, v[1:2]
	v_add_nc_u32_e32 v1, s4, v1
	s_delay_alu instid0(VALU_DEP_2) | instskip(NEXT) | instid1(VALU_DEP_3)
	v_add_co_u32 v49, vcc_lo, s2, v49
	v_add_co_ci_u32_e32 v50, vcc_lo, s3, v50, vcc_lo
	s_waitcnt vmcnt(0)
	v_mul_f64 v[45:46], v[3:4], v[45:46]
	global_store_b64 v[47:48], v[45:46], off
	global_load_b64 v[45:46], v[49:50], off
	v_lshlrev_b64 v[47:48], 3, v[1:2]
	v_add_nc_u32_e32 v1, s4, v1
	s_delay_alu instid0(VALU_DEP_2) | instskip(NEXT) | instid1(VALU_DEP_3)
	v_add_co_u32 v47, vcc_lo, s2, v47
	v_add_co_ci_u32_e32 v48, vcc_lo, s3, v48, vcc_lo
	s_waitcnt vmcnt(0)
	v_mul_f64 v[45:46], v[33:34], v[45:46]
	s_delay_alu instid0(VALU_DEP_1) | instskip(SKIP_4) | instid1(VALU_DEP_2)
	v_mul_f64 v[45:46], v[9:10], v[45:46]
	global_store_b64 v[49:50], v[45:46], off
	global_load_b64 v[45:46], v[47:48], off
	v_lshlrev_b64 v[49:50], 3, v[1:2]
	v_add_nc_u32_e32 v1, s4, v1
	v_add_co_u32 v49, vcc_lo, s2, v49
	s_delay_alu instid0(VALU_DEP_3)
	v_add_co_ci_u32_e32 v50, vcc_lo, s3, v50, vcc_lo
	s_waitcnt vmcnt(0)
	v_mul_f64 v[45:46], v[11:12], v[45:46]
	global_store_b64 v[47:48], v[45:46], off
	global_load_b64 v[45:46], v[49:50], off
	v_lshlrev_b64 v[47:48], 3, v[1:2]
	v_add_nc_u32_e32 v1, s4, v1
	s_delay_alu instid0(VALU_DEP_2) | instskip(NEXT) | instid1(VALU_DEP_3)
	v_add_co_u32 v47, vcc_lo, s2, v47
	v_add_co_ci_u32_e32 v48, vcc_lo, s3, v48, vcc_lo
	s_waitcnt vmcnt(0)
	v_mul_f64 v[45:46], v[33:34], v[45:46]
	s_delay_alu instid0(VALU_DEP_1) | instskip(SKIP_4) | instid1(VALU_DEP_2)
	v_mul_f64 v[45:46], v[19:20], v[45:46]
	global_store_b64 v[49:50], v[45:46], off
	global_load_b64 v[45:46], v[47:48], off
	v_lshlrev_b64 v[49:50], 3, v[1:2]
	v_add_nc_u32_e32 v1, s4, v1
	v_add_co_u32 v49, vcc_lo, s2, v49
	s_delay_alu instid0(VALU_DEP_3)
	v_add_co_ci_u32_e32 v50, vcc_lo, s3, v50, vcc_lo
	s_waitcnt vmcnt(0)
	v_mul_f64 v[45:46], v[45:46], v[43:44]
	global_store_b64 v[47:48], v[45:46], off
	global_load_b64 v[45:46], v[49:50], off
	v_lshlrev_b64 v[47:48], 3, v[1:2]
	v_add_nc_u32_e32 v1, s4, v1
	s_delay_alu instid0(VALU_DEP_2) | instskip(NEXT) | instid1(VALU_DEP_3)
	v_add_co_u32 v47, vcc_lo, s2, v47
	v_add_co_ci_u32_e32 v48, vcc_lo, s3, v48, vcc_lo
	s_waitcnt vmcnt(0)
	v_mul_f64 v[45:46], v[33:34], v[45:46]
	global_store_b64 v[49:50], v[45:46], off
	global_load_b64 v[45:46], v[47:48], off
	v_lshlrev_b64 v[49:50], 3, v[1:2]
	v_add_nc_u32_e32 v1, s4, v1
	s_delay_alu instid0(VALU_DEP_2) | instskip(NEXT) | instid1(VALU_DEP_3)
	v_add_co_u32 v49, vcc_lo, s2, v49
	v_add_co_ci_u32_e32 v50, vcc_lo, s3, v50, vcc_lo
	s_waitcnt vmcnt(0)
	v_mul_f64 v[45:46], v[45:46], v[37:38]
	s_delay_alu instid0(VALU_DEP_1) | instskip(SKIP_4) | instid1(VALU_DEP_2)
	v_mul_f64 v[45:46], v[11:12], v[45:46]
	global_store_b64 v[47:48], v[45:46], off
	global_load_b64 v[45:46], v[49:50], off
	v_lshlrev_b64 v[47:48], 3, v[1:2]
	v_add_nc_u32_e32 v1, s4, v1
	v_add_co_u32 v47, vcc_lo, s2, v47
	s_delay_alu instid0(VALU_DEP_3) | instskip(SKIP_2) | instid1(VALU_DEP_1)
	v_add_co_ci_u32_e32 v48, vcc_lo, s3, v48, vcc_lo
	s_waitcnt vmcnt(0)
	v_mul_f64 v[45:46], v[37:38], v[45:46]
	v_mul_f64 v[45:46], v[11:12], v[45:46]
	global_store_b64 v[49:50], v[45:46], off
	global_load_b64 v[45:46], v[47:48], off
	v_lshlrev_b64 v[49:50], 3, v[1:2]
	v_add_nc_u32_e32 v1, s4, v1
	s_delay_alu instid0(VALU_DEP_2) | instskip(NEXT) | instid1(VALU_DEP_3)
	v_add_co_u32 v49, vcc_lo, s2, v49
	v_add_co_ci_u32_e32 v50, vcc_lo, s3, v50, vcc_lo
	s_waitcnt vmcnt(0)
	v_mul_f64 v[45:46], v[45:46], v[41:42]
	global_store_b64 v[47:48], v[45:46], off
	global_load_b64 v[45:46], v[49:50], off
	v_lshlrev_b64 v[47:48], 3, v[1:2]
	v_add_nc_u32_e32 v1, s4, v1
	s_delay_alu instid0(VALU_DEP_2) | instskip(NEXT) | instid1(VALU_DEP_3)
	v_add_co_u32 v47, vcc_lo, s2, v47
	v_add_co_ci_u32_e32 v48, vcc_lo, s3, v48, vcc_lo
	s_waitcnt vmcnt(0)
	v_mul_f64 v[45:46], v[11:12], v[45:46]
	global_store_b64 v[49:50], v[45:46], off
	global_load_b64 v[45:46], v[47:48], off
	v_lshlrev_b64 v[49:50], 3, v[1:2]
	v_add_nc_u32_e32 v1, s4, v1
	s_delay_alu instid0(VALU_DEP_2) | instskip(NEXT) | instid1(VALU_DEP_3)
	v_add_co_u32 v49, vcc_lo, s2, v49
	v_add_co_ci_u32_e32 v50, vcc_lo, s3, v50, vcc_lo
	s_waitcnt vmcnt(0)
	v_mul_f64 v[45:46], v[37:38], v[45:46]
	s_delay_alu instid0(VALU_DEP_1) | instskip(SKIP_4) | instid1(VALU_DEP_2)
	v_mul_f64 v[45:46], v[19:20], v[45:46]
	global_store_b64 v[47:48], v[45:46], off
	global_load_b64 v[45:46], v[49:50], off
	v_lshlrev_b64 v[47:48], 3, v[1:2]
	v_add_nc_u32_e32 v1, s4, v1
	v_add_co_u32 v47, vcc_lo, s2, v47
	s_delay_alu instid0(VALU_DEP_3) | instskip(SKIP_2) | instid1(VALU_DEP_1)
	v_add_co_ci_u32_e32 v48, vcc_lo, s3, v48, vcc_lo
	s_waitcnt vmcnt(0)
	v_mul_f64 v[45:46], v[15:16], v[45:46]
	v_mul_f64 v[45:46], v[7:8], v[45:46]
	global_store_b64 v[49:50], v[45:46], off
	global_load_b64 v[45:46], v[47:48], off
	v_lshlrev_b64 v[49:50], 3, v[1:2]
	v_add_nc_u32_e32 v1, s4, v1
	s_delay_alu instid0(VALU_DEP_2) | instskip(NEXT) | instid1(VALU_DEP_3)
	v_add_co_u32 v49, vcc_lo, s2, v49
	v_add_co_ci_u32_e32 v50, vcc_lo, s3, v50, vcc_lo
	s_waitcnt vmcnt(0)
	v_mul_f64 v[45:46], v[23:24], v[45:46]
	s_delay_alu instid0(VALU_DEP_1) | instskip(SKIP_4) | instid1(VALU_DEP_2)
	v_mul_f64 v[45:46], v[3:4], v[45:46]
	global_store_b64 v[47:48], v[45:46], off
	global_load_b64 v[45:46], v[49:50], off
	v_lshlrev_b64 v[47:48], 3, v[1:2]
	v_add_nc_u32_e32 v1, s4, v1
	v_add_co_u32 v47, vcc_lo, s2, v47
	s_delay_alu instid0(VALU_DEP_3)
	v_add_co_ci_u32_e32 v48, vcc_lo, s3, v48, vcc_lo
	s_waitcnt vmcnt(0)
	v_mul_f64 v[45:46], v[5:6], v[45:46]
	global_store_b64 v[49:50], v[45:46], off
	global_load_b64 v[45:46], v[47:48], off
	v_lshlrev_b64 v[49:50], 3, v[1:2]
	v_add_nc_u32_e32 v1, s4, v1
	s_delay_alu instid0(VALU_DEP_2) | instskip(NEXT) | instid1(VALU_DEP_3)
	v_add_co_u32 v49, vcc_lo, s2, v49
	v_add_co_ci_u32_e32 v50, vcc_lo, s3, v50, vcc_lo
	s_waitcnt vmcnt(0)
	v_mul_f64 v[45:46], v[15:16], v[45:46]
	s_delay_alu instid0(VALU_DEP_1) | instskip(SKIP_4) | instid1(VALU_DEP_2)
	v_mul_f64 v[45:46], v[3:4], v[45:46]
	global_store_b64 v[47:48], v[45:46], off
	global_load_b64 v[45:46], v[49:50], off
	v_lshlrev_b64 v[47:48], 3, v[1:2]
	v_add_nc_u32_e32 v1, s4, v1
	v_add_co_u32 v47, vcc_lo, s2, v47
	s_delay_alu instid0(VALU_DEP_3) | instskip(SKIP_2) | instid1(VALU_DEP_1)
	v_add_co_ci_u32_e32 v48, vcc_lo, s3, v48, vcc_lo
	s_waitcnt vmcnt(0)
	v_mul_f64 v[45:46], v[15:16], v[45:46]
	v_mul_f64 v[45:46], v[5:6], v[45:46]
	global_store_b64 v[49:50], v[45:46], off
	global_load_b64 v[45:46], v[47:48], off
	v_lshlrev_b64 v[49:50], 3, v[1:2]
	v_add_nc_u32_e32 v1, s4, v1
	s_delay_alu instid0(VALU_DEP_2) | instskip(NEXT) | instid1(VALU_DEP_3)
	v_add_co_u32 v49, vcc_lo, s2, v49
	v_add_co_ci_u32_e32 v50, vcc_lo, s3, v50, vcc_lo
	s_waitcnt vmcnt(0)
	v_mul_f64 v[45:46], v[15:16], v[45:46]
	s_delay_alu instid0(VALU_DEP_1) | instskip(SKIP_4) | instid1(VALU_DEP_2)
	v_mul_f64 v[45:46], v[9:10], v[45:46]
	global_store_b64 v[47:48], v[45:46], off
	global_load_b64 v[45:46], v[49:50], off
	v_lshlrev_b64 v[47:48], 3, v[1:2]
	v_add_nc_u32_e32 v1, s4, v1
	v_add_co_u32 v47, vcc_lo, s2, v47
	s_delay_alu instid0(VALU_DEP_3) | instskip(SKIP_2) | instid1(VALU_DEP_1)
	v_add_co_ci_u32_e32 v48, vcc_lo, s3, v48, vcc_lo
	s_waitcnt vmcnt(0)
	v_mul_f64 v[45:46], v[23:24], v[45:46]
	;; [unrolled: 21-line block ×4, first 2 shown]
	v_mul_f64 v[45:46], v[23:24], v[45:46]
	global_store_b64 v[49:50], v[45:46], off
	global_load_b64 v[45:46], v[47:48], off
	v_lshlrev_b64 v[49:50], 3, v[1:2]
	v_add_nc_u32_e32 v1, s4, v1
	s_delay_alu instid0(VALU_DEP_2) | instskip(NEXT) | instid1(VALU_DEP_3)
	v_add_co_u32 v49, vcc_lo, s2, v49
	v_add_co_ci_u32_e32 v50, vcc_lo, s3, v50, vcc_lo
	s_waitcnt vmcnt(0)
	v_mul_f64 v[45:46], v[23:24], v[45:46]
	s_delay_alu instid0(VALU_DEP_1) | instskip(SKIP_4) | instid1(VALU_DEP_2)
	v_mul_f64 v[45:46], v[23:24], v[45:46]
	global_store_b64 v[47:48], v[45:46], off
	global_load_b64 v[45:46], v[49:50], off
	v_lshlrev_b64 v[47:48], 3, v[1:2]
	v_add_nc_u32_e32 v1, s4, v1
	v_add_co_u32 v47, vcc_lo, s2, v47
	s_delay_alu instid0(VALU_DEP_3)
	v_add_co_ci_u32_e32 v48, vcc_lo, s3, v48, vcc_lo
	s_waitcnt vmcnt(0)
	v_mul_f64 v[45:46], v[19:20], v[45:46]
	global_store_b64 v[49:50], v[45:46], off
	global_load_b64 v[45:46], v[47:48], off
	v_lshlrev_b64 v[49:50], 3, v[1:2]
	v_add_nc_u32_e32 v1, s4, v1
	s_delay_alu instid0(VALU_DEP_2) | instskip(NEXT) | instid1(VALU_DEP_3)
	v_add_co_u32 v49, vcc_lo, s2, v49
	v_add_co_ci_u32_e32 v50, vcc_lo, s3, v50, vcc_lo
	s_waitcnt vmcnt(0)
	v_mul_f64 v[45:46], v[11:12], v[45:46]
	s_delay_alu instid0(VALU_DEP_1) | instskip(NEXT) | instid1(VALU_DEP_1)
	v_mul_f64 v[45:46], v[19:20], v[45:46]
	v_mul_f64 v[45:46], v[19:20], v[45:46]
	global_store_b64 v[47:48], v[45:46], off
	global_load_b64 v[45:46], v[49:50], off
	v_lshlrev_b64 v[47:48], 3, v[1:2]
	v_add_nc_u32_e32 v1, s4, v1
	s_delay_alu instid0(VALU_DEP_2) | instskip(NEXT) | instid1(VALU_DEP_3)
	v_add_co_u32 v47, vcc_lo, s2, v47
	v_add_co_ci_u32_e32 v48, vcc_lo, s3, v48, vcc_lo
	s_waitcnt vmcnt(0)
	v_mul_f64 v[45:46], v[3:4], v[45:46]
	s_delay_alu instid0(VALU_DEP_1) | instskip(NEXT) | instid1(VALU_DEP_1)
	v_mul_f64 v[45:46], v[19:20], v[45:46]
	v_mul_f64 v[45:46], v[19:20], v[45:46]
	global_store_b64 v[49:50], v[45:46], off
	global_load_b64 v[45:46], v[47:48], off
	v_lshlrev_b64 v[49:50], 3, v[1:2]
	v_add_nc_u32_e32 v1, s4, v1
	s_delay_alu instid0(VALU_DEP_2) | instskip(NEXT) | instid1(VALU_DEP_3)
	v_add_co_u32 v49, vcc_lo, s2, v49
	v_add_co_ci_u32_e32 v50, vcc_lo, s3, v50, vcc_lo
	s_waitcnt vmcnt(0)
	v_mul_f64 v[45:46], v[39:40], v[45:46]
	s_delay_alu instid0(VALU_DEP_1) | instskip(SKIP_4) | instid1(VALU_DEP_2)
	v_mul_f64 v[45:46], v[19:20], v[45:46]
	global_store_b64 v[47:48], v[45:46], off
	global_load_b64 v[45:46], v[49:50], off
	v_lshlrev_b64 v[47:48], 3, v[1:2]
	v_add_nc_u32_e32 v1, s5, v1
	v_add_co_u32 v47, vcc_lo, s2, v47
	s_delay_alu instid0(VALU_DEP_3)
	v_add_co_ci_u32_e32 v48, vcc_lo, s3, v48, vcc_lo
	s_waitcnt vmcnt(0)
	v_mul_f64 v[45:46], v[19:20], v[45:46]
	global_store_b64 v[49:50], v[45:46], off
	global_load_b64 v[45:46], v[47:48], off
	v_lshlrev_b64 v[49:50], 3, v[1:2]
	v_add_nc_u32_e32 v1, s4, v1
	s_delay_alu instid0(VALU_DEP_2) | instskip(NEXT) | instid1(VALU_DEP_3)
	v_add_co_u32 v49, vcc_lo, s2, v49
	v_add_co_ci_u32_e32 v50, vcc_lo, s3, v50, vcc_lo
	s_waitcnt vmcnt(0)
	v_mul_f64 v[45:46], v[39:40], v[45:46]
	s_delay_alu instid0(VALU_DEP_1) | instskip(NEXT) | instid1(VALU_DEP_1)
	v_mul_f64 v[45:46], v[19:20], v[45:46]
	v_mul_f64 v[45:46], v[19:20], v[45:46]
	global_store_b64 v[47:48], v[45:46], off
	global_load_b64 v[45:46], v[49:50], off
	v_lshlrev_b64 v[47:48], 3, v[1:2]
	v_add_nc_u32_e32 v1, s4, v1
	s_delay_alu instid0(VALU_DEP_2) | instskip(NEXT) | instid1(VALU_DEP_3)
	v_add_co_u32 v47, vcc_lo, s2, v47
	v_add_co_ci_u32_e32 v48, vcc_lo, s3, v48, vcc_lo
	s_waitcnt vmcnt(0)
	v_mul_f64 v[45:46], v[39:40], v[45:46]
	s_delay_alu instid0(VALU_DEP_1) | instskip(SKIP_4) | instid1(VALU_DEP_2)
	v_mul_f64 v[45:46], v[11:12], v[45:46]
	global_store_b64 v[49:50], v[45:46], off
	global_load_b64 v[45:46], v[47:48], off
	v_lshlrev_b64 v[49:50], 3, v[1:2]
	v_add_nc_u32_e32 v1, s4, v1
	v_add_co_u32 v49, vcc_lo, s2, v49
	s_delay_alu instid0(VALU_DEP_3) | instskip(SKIP_2) | instid1(VALU_DEP_1)
	v_add_co_ci_u32_e32 v50, vcc_lo, s3, v50, vcc_lo
	s_waitcnt vmcnt(0)
	v_mul_f64 v[45:46], v[35:36], v[45:46]
	v_mul_f64 v[45:46], v[11:12], v[45:46]
	global_store_b64 v[47:48], v[45:46], off
	global_load_b64 v[45:46], v[49:50], off
	v_lshlrev_b64 v[47:48], 3, v[1:2]
	v_add_nc_u32_e32 v1, s4, v1
	s_delay_alu instid0(VALU_DEP_2) | instskip(NEXT) | instid1(VALU_DEP_3)
	v_add_co_u32 v47, vcc_lo, s2, v47
	v_add_co_ci_u32_e32 v48, vcc_lo, s3, v48, vcc_lo
	s_waitcnt vmcnt(0)
	v_mul_f64 v[45:46], v[19:20], v[45:46]
	global_store_b64 v[49:50], v[45:46], off
	global_load_b64 v[45:46], v[47:48], off
	v_lshlrev_b64 v[49:50], 3, v[1:2]
	v_add_nc_u32_e32 v1, s4, v1
	s_delay_alu instid0(VALU_DEP_2) | instskip(NEXT) | instid1(VALU_DEP_3)
	v_add_co_u32 v49, vcc_lo, s2, v49
	v_add_co_ci_u32_e32 v50, vcc_lo, s3, v50, vcc_lo
	s_waitcnt vmcnt(0)
	v_mul_f64 v[45:46], v[27:28], v[45:46]
	s_delay_alu instid0(VALU_DEP_1) | instskip(SKIP_4) | instid1(VALU_DEP_2)
	v_mul_f64 v[45:46], v[11:12], v[45:46]
	global_store_b64 v[47:48], v[45:46], off
	global_load_b64 v[45:46], v[49:50], off
	v_lshlrev_b64 v[47:48], 3, v[1:2]
	v_add_nc_u32_e32 v1, s5, v1
	v_add_co_u32 v47, vcc_lo, s2, v47
	s_delay_alu instid0(VALU_DEP_3) | instskip(SKIP_2) | instid1(VALU_DEP_1)
	v_add_co_ci_u32_e32 v48, vcc_lo, s3, v48, vcc_lo
	s_waitcnt vmcnt(0)
	v_mul_f64 v[45:46], v[23:24], v[45:46]
	v_mul_f64 v[45:46], v[19:20], v[45:46]
	global_store_b64 v[49:50], v[45:46], off
	global_load_b64 v[45:46], v[47:48], off
	v_lshlrev_b64 v[49:50], 3, v[1:2]
	v_add_nc_u32_e32 v1, s4, v1
	s_delay_alu instid0(VALU_DEP_2) | instskip(NEXT) | instid1(VALU_DEP_3)
	v_add_co_u32 v49, vcc_lo, s2, v49
	v_add_co_ci_u32_e32 v50, vcc_lo, s3, v50, vcc_lo
	s_waitcnt vmcnt(0)
	v_mul_f64 v[45:46], v[19:20], v[45:46]
	global_store_b64 v[47:48], v[45:46], off
	global_load_b64 v[45:46], v[49:50], off
	v_lshlrev_b64 v[47:48], 3, v[1:2]
	v_add_nc_u32_e32 v1, s4, v1
	s_delay_alu instid0(VALU_DEP_2) | instskip(NEXT) | instid1(VALU_DEP_3)
	v_add_co_u32 v47, vcc_lo, s2, v47
	v_add_co_ci_u32_e32 v48, vcc_lo, s3, v48, vcc_lo
	s_waitcnt vmcnt(0)
	v_mul_f64 v[45:46], v[39:40], v[45:46]
	s_delay_alu instid0(VALU_DEP_1) | instskip(SKIP_4) | instid1(VALU_DEP_2)
	v_mul_f64 v[45:46], v[11:12], v[45:46]
	global_store_b64 v[49:50], v[45:46], off
	global_load_b64 v[45:46], v[47:48], off
	v_lshlrev_b64 v[49:50], 3, v[1:2]
	v_add_nc_u32_e32 v1, s4, v1
	v_add_co_u32 v49, vcc_lo, s2, v49
	s_delay_alu instid0(VALU_DEP_3)
	v_add_co_ci_u32_e32 v50, vcc_lo, s3, v50, vcc_lo
	s_waitcnt vmcnt(0)
	v_mul_f64 v[45:46], v[19:20], v[45:46]
	global_store_b64 v[47:48], v[45:46], off
	global_load_b64 v[45:46], v[49:50], off
	v_lshlrev_b64 v[47:48], 3, v[1:2]
	v_add_nc_u32_e32 v1, s5, v1
	s_delay_alu instid0(VALU_DEP_2) | instskip(NEXT) | instid1(VALU_DEP_3)
	v_add_co_u32 v47, vcc_lo, s2, v47
	v_add_co_ci_u32_e32 v48, vcc_lo, s3, v48, vcc_lo
	s_waitcnt vmcnt(0)
	v_mul_f64 v[45:46], v[27:28], v[45:46]
	s_delay_alu instid0(VALU_DEP_1) | instskip(SKIP_4) | instid1(VALU_DEP_2)
	v_mul_f64 v[45:46], v[11:12], v[45:46]
	global_store_b64 v[49:50], v[45:46], off
	global_load_b64 v[45:46], v[47:48], off
	v_lshlrev_b64 v[49:50], 3, v[1:2]
	v_add_nc_u32_e32 v1, s4, v1
	v_add_co_u32 v49, vcc_lo, s2, v49
	s_delay_alu instid0(VALU_DEP_3)
	v_add_co_ci_u32_e32 v50, vcc_lo, s3, v50, vcc_lo
	s_waitcnt vmcnt(0)
	v_mul_f64 v[45:46], v[31:32], v[45:46]
	global_store_b64 v[47:48], v[45:46], off
	global_load_b64 v[45:46], v[49:50], off
	v_lshlrev_b64 v[47:48], 3, v[1:2]
	v_add_nc_u32_e32 v1, s4, v1
	s_delay_alu instid0(VALU_DEP_2) | instskip(NEXT) | instid1(VALU_DEP_3)
	v_add_co_u32 v47, vcc_lo, s2, v47
	v_add_co_ci_u32_e32 v48, vcc_lo, s3, v48, vcc_lo
	s_waitcnt vmcnt(0)
	v_mul_f64 v[45:46], v[35:36], v[45:46]
	s_delay_alu instid0(VALU_DEP_1) | instskip(SKIP_4) | instid1(VALU_DEP_2)
	v_mul_f64 v[45:46], v[7:8], v[45:46]
	global_store_b64 v[49:50], v[45:46], off
	global_load_b64 v[45:46], v[47:48], off
	v_lshlrev_b64 v[49:50], 3, v[1:2]
	v_add_nc_u32_e32 v1, s4, v1
	v_add_co_u32 v49, vcc_lo, s2, v49
	s_delay_alu instid0(VALU_DEP_3) | instskip(SKIP_2) | instid1(VALU_DEP_1)
	v_add_co_ci_u32_e32 v50, vcc_lo, s3, v50, vcc_lo
	s_waitcnt vmcnt(0)
	v_mul_f64 v[45:46], v[23:24], v[45:46]
	v_mul_f64 v[45:46], v[19:20], v[45:46]
	global_store_b64 v[47:48], v[45:46], off
	global_load_b64 v[45:46], v[49:50], off
	v_lshlrev_b64 v[47:48], 3, v[1:2]
	v_add_nc_u32_e32 v1, s4, v1
	s_delay_alu instid0(VALU_DEP_2) | instskip(NEXT) | instid1(VALU_DEP_3)
	v_add_co_u32 v47, vcc_lo, s2, v47
	v_add_co_ci_u32_e32 v48, vcc_lo, s3, v48, vcc_lo
	s_waitcnt vmcnt(0)
	v_mul_f64 v[45:46], v[35:36], v[45:46]
	s_delay_alu instid0(VALU_DEP_1)
	v_mul_f64 v[45:46], v[3:4], v[45:46]
	global_store_b64 v[49:50], v[45:46], off
	global_load_b64 v[45:46], v[47:48], off
	s_waitcnt vmcnt(0)
	v_mul_f64 v[31:32], v[31:32], v[45:46]
	v_lshlrev_b64 v[45:46], 3, v[1:2]
	v_add_nc_u32_e32 v1, s4, v1
	s_delay_alu instid0(VALU_DEP_2) | instskip(NEXT) | instid1(VALU_DEP_3)
	v_add_co_u32 v45, vcc_lo, s2, v45
	v_add_co_ci_u32_e32 v46, vcc_lo, s3, v46, vcc_lo
	global_store_b64 v[47:48], v[31:32], off
	global_load_b64 v[31:32], v[45:46], off
	s_waitcnt vmcnt(0)
	v_mul_f64 v[31:32], v[35:36], v[31:32]
	v_lshlrev_b64 v[35:36], 3, v[1:2]
	v_add_nc_u32_e32 v1, s4, v1
	s_delay_alu instid0(VALU_DEP_2) | instskip(NEXT) | instid1(VALU_DEP_3)
	v_add_co_u32 v35, vcc_lo, s2, v35
	v_add_co_ci_u32_e32 v36, vcc_lo, s3, v36, vcc_lo
	v_mul_f64 v[31:32], v[5:6], v[31:32]
	global_store_b64 v[45:46], v[31:32], off
	global_load_b64 v[31:32], v[35:36], off
	v_lshlrev_b64 v[45:46], 3, v[1:2]
	v_add_nc_u32_e32 v1, s4, v1
	s_delay_alu instid0(VALU_DEP_2) | instskip(NEXT) | instid1(VALU_DEP_3)
	v_add_co_u32 v45, vcc_lo, s2, v45
	v_add_co_ci_u32_e32 v46, vcc_lo, s3, v46, vcc_lo
	s_waitcnt vmcnt(0)
	v_mul_f64 v[31:32], v[37:38], v[31:32]
	global_store_b64 v[35:36], v[31:32], off
	global_load_b64 v[31:32], v[45:46], off
	v_lshlrev_b64 v[35:36], 3, v[1:2]
	v_add_nc_u32_e32 v1, s4, v1
	s_delay_alu instid0(VALU_DEP_2) | instskip(NEXT) | instid1(VALU_DEP_3)
	v_add_co_u32 v35, vcc_lo, s2, v35
	v_add_co_ci_u32_e32 v36, vcc_lo, s3, v36, vcc_lo
	s_waitcnt vmcnt(0)
	v_mul_f64 v[31:32], v[39:40], v[31:32]
	s_delay_alu instid0(VALU_DEP_1) | instskip(SKIP_4) | instid1(VALU_DEP_2)
	v_mul_f64 v[31:32], v[7:8], v[31:32]
	global_store_b64 v[45:46], v[31:32], off
	global_load_b64 v[31:32], v[35:36], off
	v_lshlrev_b64 v[45:46], 3, v[1:2]
	v_add_nc_u32_e32 v1, s4, v1
	v_add_co_u32 v45, vcc_lo, s2, v45
	s_delay_alu instid0(VALU_DEP_3)
	v_add_co_ci_u32_e32 v46, vcc_lo, s3, v46, vcc_lo
	s_waitcnt vmcnt(0)
	v_mul_f64 v[31:32], v[7:8], v[31:32]
	global_store_b64 v[35:36], v[31:32], off
	global_load_b64 v[31:32], v[45:46], off
	v_lshlrev_b64 v[35:36], 3, v[1:2]
	v_add_nc_u32_e32 v1, s4, v1
	s_delay_alu instid0(VALU_DEP_2) | instskip(NEXT) | instid1(VALU_DEP_3)
	v_add_co_u32 v35, vcc_lo, s2, v35
	v_add_co_ci_u32_e32 v36, vcc_lo, s3, v36, vcc_lo
	s_waitcnt vmcnt(0)
	v_mul_f64 v[31:32], v[27:28], v[31:32]
	s_delay_alu instid0(VALU_DEP_1) | instskip(SKIP_4) | instid1(VALU_DEP_2)
	v_mul_f64 v[31:32], v[11:12], v[31:32]
	global_store_b64 v[45:46], v[31:32], off
	global_load_b64 v[31:32], v[35:36], off
	v_lshlrev_b64 v[45:46], 3, v[1:2]
	v_add_nc_u32_e32 v1, s4, v1
	v_add_co_u32 v45, vcc_lo, s2, v45
	s_delay_alu instid0(VALU_DEP_3) | instskip(SKIP_2) | instid1(VALU_DEP_1)
	v_add_co_ci_u32_e32 v46, vcc_lo, s3, v46, vcc_lo
	s_waitcnt vmcnt(0)
	v_mul_f64 v[31:32], v[23:24], v[31:32]
	v_mul_f64 v[31:32], v[19:20], v[31:32]
	global_store_b64 v[35:36], v[31:32], off
	global_load_b64 v[31:32], v[45:46], off
	v_lshlrev_b64 v[35:36], 3, v[1:2]
	v_add_nc_u32_e32 v1, s4, v1
	s_delay_alu instid0(VALU_DEP_2) | instskip(NEXT) | instid1(VALU_DEP_3)
	v_add_co_u32 v35, vcc_lo, s2, v35
	v_add_co_ci_u32_e32 v36, vcc_lo, s3, v36, vcc_lo
	s_waitcnt vmcnt(0)
	v_mul_f64 v[31:32], v[39:40], v[31:32]
	s_delay_alu instid0(VALU_DEP_1) | instskip(SKIP_4) | instid1(VALU_DEP_2)
	v_mul_f64 v[31:32], v[5:6], v[31:32]
	global_store_b64 v[45:46], v[31:32], off
	global_load_b64 v[31:32], v[35:36], off
	v_lshlrev_b64 v[45:46], 3, v[1:2]
	v_add_nc_u32_e32 v1, s4, v1
	v_add_co_u32 v45, vcc_lo, s2, v45
	s_delay_alu instid0(VALU_DEP_3) | instskip(SKIP_2) | instid1(VALU_DEP_1)
	v_add_co_ci_u32_e32 v46, vcc_lo, s3, v46, vcc_lo
	s_waitcnt vmcnt(0)
	v_mul_f64 v[31:32], v[39:40], v[31:32]
	v_mul_f64 v[31:32], v[9:10], v[31:32]
	global_store_b64 v[35:36], v[31:32], off
	global_load_b64 v[31:32], v[45:46], off
	s_waitcnt vmcnt(0)
	v_mul_f64 v[21:22], v[21:22], v[31:32]
	v_lshlrev_b64 v[31:32], 3, v[1:2]
	v_add_nc_u32_e32 v1, s4, v1
	s_delay_alu instid0(VALU_DEP_1) | instskip(NEXT) | instid1(VALU_DEP_3)
	v_lshlrev_b64 v[35:36], 3, v[1:2]
	v_add_co_u32 v31, vcc_lo, s2, v31
	s_delay_alu instid0(VALU_DEP_4) | instskip(SKIP_1) | instid1(VALU_DEP_4)
	v_add_co_ci_u32_e32 v32, vcc_lo, s3, v32, vcc_lo
	v_add_nc_u32_e32 v1, s4, v1
	v_add_co_u32 v35, vcc_lo, s2, v35
	v_add_co_ci_u32_e32 v36, vcc_lo, s3, v36, vcc_lo
	global_store_b64 v[45:46], v[21:22], off
	global_load_b64 v[21:22], v[31:32], off
	s_waitcnt vmcnt(0)
	v_mul_f64 v[21:22], v[15:16], v[21:22]
	global_store_b64 v[31:32], v[21:22], off
	global_load_b64 v[21:22], v[35:36], off
	v_lshlrev_b64 v[31:32], 3, v[1:2]
	v_add_nc_u32_e32 v1, s4, v1
	s_delay_alu instid0(VALU_DEP_2) | instskip(NEXT) | instid1(VALU_DEP_3)
	v_add_co_u32 v31, vcc_lo, s2, v31
	v_add_co_ci_u32_e32 v32, vcc_lo, s3, v32, vcc_lo
	s_waitcnt vmcnt(0)
	v_mul_f64 v[21:22], v[3:4], v[21:22]
	global_store_b64 v[35:36], v[21:22], off
	global_load_b64 v[21:22], v[31:32], off
	v_lshlrev_b64 v[35:36], 3, v[1:2]
	v_add_nc_u32_e32 v1, s4, v1
	s_delay_alu instid0(VALU_DEP_2) | instskip(NEXT) | instid1(VALU_DEP_3)
	v_add_co_u32 v35, vcc_lo, s2, v35
	v_add_co_ci_u32_e32 v36, vcc_lo, s3, v36, vcc_lo
	s_waitcnt vmcnt(0)
	v_mul_f64 v[21:22], v[37:38], v[21:22]
	s_delay_alu instid0(VALU_DEP_1) | instskip(SKIP_4) | instid1(VALU_DEP_2)
	v_mul_f64 v[21:22], v[9:10], v[21:22]
	global_store_b64 v[31:32], v[21:22], off
	global_load_b64 v[21:22], v[35:36], off
	v_lshlrev_b64 v[31:32], 3, v[1:2]
	v_add_nc_u32_e32 v1, s4, v1
	v_add_co_u32 v31, vcc_lo, s2, v31
	s_delay_alu instid0(VALU_DEP_3) | instskip(SKIP_2) | instid1(VALU_DEP_1)
	v_add_co_ci_u32_e32 v32, vcc_lo, s3, v32, vcc_lo
	s_waitcnt vmcnt(0)
	v_mul_f64 v[21:22], v[37:38], v[21:22]
	v_mul_f64 v[21:22], v[19:20], v[21:22]
	global_store_b64 v[35:36], v[21:22], off
	global_load_b64 v[21:22], v[31:32], off
	v_lshlrev_b64 v[35:36], 3, v[1:2]
	v_add_nc_u32_e32 v1, s4, v1
	s_delay_alu instid0(VALU_DEP_2) | instskip(NEXT) | instid1(VALU_DEP_3)
	v_add_co_u32 v35, vcc_lo, s2, v35
	v_add_co_ci_u32_e32 v36, vcc_lo, s3, v36, vcc_lo
	v_add_co_u32 v29, vcc_lo, s0, v29
	v_add_co_ci_u32_e32 v30, vcc_lo, s1, v30, vcc_lo
	;; [unrolled: 2-line block ×3, first 2 shown]
	s_waitcnt vmcnt(0)
	v_mul_f64 v[21:22], v[39:40], v[21:22]
	s_delay_alu instid0(VALU_DEP_1)
	v_mul_f64 v[21:22], v[33:34], v[21:22]
	global_store_b64 v[31:32], v[21:22], off
	global_load_b64 v[31:32], v[35:36], off
	s_clause 0x1
	global_load_b64 v[21:22], v[29:30], off
	global_load_b64 v[25:26], v[25:26], off
	s_waitcnt vmcnt(1)
	v_mul_f64 v[29:30], v[31:32], v[21:22]
	v_lshlrev_b64 v[31:32], 3, v[1:2]
	v_add_nc_u32_e32 v1, s4, v1
	s_delay_alu instid0(VALU_DEP_2) | instskip(NEXT) | instid1(VALU_DEP_3)
	v_add_co_u32 v31, vcc_lo, s2, v31
	v_add_co_ci_u32_e32 v32, vcc_lo, s3, v32, vcc_lo
	global_store_b64 v[35:36], v[29:30], off
	global_load_b64 v[29:30], v[31:32], off
	v_lshlrev_b64 v[35:36], 3, v[1:2]
	v_add_nc_u32_e32 v1, s4, v1
	s_delay_alu instid0(VALU_DEP_2) | instskip(NEXT) | instid1(VALU_DEP_3)
	v_add_co_u32 v35, vcc_lo, s2, v35
	v_add_co_ci_u32_e32 v36, vcc_lo, s3, v36, vcc_lo
	s_waitcnt vmcnt(0)
	v_mul_f64 v[29:30], v[29:30], v[25:26]
	s_delay_alu instid0(VALU_DEP_1) | instskip(SKIP_4) | instid1(VALU_DEP_2)
	v_mul_f64 v[29:30], v[11:12], v[29:30]
	global_store_b64 v[31:32], v[29:30], off
	global_load_b64 v[29:30], v[35:36], off
	v_lshlrev_b64 v[31:32], 3, v[1:2]
	v_add_nc_u32_e32 v1, s4, v1
	v_add_co_u32 v31, vcc_lo, s2, v31
	s_delay_alu instid0(VALU_DEP_3) | instskip(SKIP_2) | instid1(VALU_DEP_1)
	v_add_co_ci_u32_e32 v32, vcc_lo, s3, v32, vcc_lo
	s_waitcnt vmcnt(0)
	v_mul_f64 v[29:30], v[23:24], v[29:30]
	v_mul_f64 v[29:30], v[19:20], v[29:30]
	global_store_b64 v[35:36], v[29:30], off
	global_load_b64 v[29:30], v[31:32], off
	v_lshlrev_b64 v[35:36], 3, v[1:2]
	v_add_nc_u32_e32 v1, s4, v1
	s_delay_alu instid0(VALU_DEP_2) | instskip(NEXT) | instid1(VALU_DEP_3)
	v_add_co_u32 v35, vcc_lo, s2, v35
	v_add_co_ci_u32_e32 v36, vcc_lo, s3, v36, vcc_lo
	s_waitcnt vmcnt(0)
	v_mul_f64 v[29:30], v[43:44], v[29:30]
	global_store_b64 v[31:32], v[29:30], off
	global_load_b64 v[29:30], v[35:36], off
	v_lshlrev_b64 v[31:32], 3, v[1:2]
	v_add_nc_u32_e32 v1, s4, v1
	s_delay_alu instid0(VALU_DEP_2) | instskip(NEXT) | instid1(VALU_DEP_3)
	v_add_co_u32 v31, vcc_lo, s2, v31
	v_add_co_ci_u32_e32 v32, vcc_lo, s3, v32, vcc_lo
	s_waitcnt vmcnt(0)
	;; [unrolled: 9-line block ×3, first 2 shown]
	v_mul_f64 v[29:30], v[27:28], v[29:30]
	s_delay_alu instid0(VALU_DEP_1) | instskip(SKIP_4) | instid1(VALU_DEP_2)
	v_mul_f64 v[29:30], v[7:8], v[29:30]
	global_store_b64 v[31:32], v[29:30], off
	global_load_b64 v[29:30], v[35:36], off
	v_lshlrev_b64 v[31:32], 3, v[1:2]
	v_add_nc_u32_e32 v1, s4, v1
	v_add_co_u32 v31, vcc_lo, s2, v31
	s_delay_alu instid0(VALU_DEP_3) | instskip(SKIP_2) | instid1(VALU_DEP_1)
	v_add_co_ci_u32_e32 v32, vcc_lo, s3, v32, vcc_lo
	s_waitcnt vmcnt(0)
	v_mul_f64 v[29:30], v[27:28], v[29:30]
	v_mul_f64 v[29:30], v[3:4], v[29:30]
	global_store_b64 v[35:36], v[29:30], off
	global_load_b64 v[29:30], v[31:32], off
	v_lshlrev_b64 v[35:36], 3, v[1:2]
	v_add_nc_u32_e32 v1, s4, v1
	s_delay_alu instid0(VALU_DEP_2) | instskip(NEXT) | instid1(VALU_DEP_3)
	v_add_co_u32 v35, vcc_lo, s2, v35
	v_add_co_ci_u32_e32 v36, vcc_lo, s3, v36, vcc_lo
	s_waitcnt vmcnt(0)
	v_mul_f64 v[29:30], v[27:28], v[29:30]
	s_delay_alu instid0(VALU_DEP_1) | instskip(SKIP_4) | instid1(VALU_DEP_2)
	v_mul_f64 v[29:30], v[5:6], v[29:30]
	global_store_b64 v[31:32], v[29:30], off
	global_load_b64 v[29:30], v[35:36], off
	v_lshlrev_b64 v[31:32], 3, v[1:2]
	v_add_nc_u32_e32 v1, s4, v1
	v_add_co_u32 v31, vcc_lo, s2, v31
	s_delay_alu instid0(VALU_DEP_3) | instskip(SKIP_2) | instid1(VALU_DEP_1)
	v_add_co_ci_u32_e32 v32, vcc_lo, s3, v32, vcc_lo
	s_waitcnt vmcnt(0)
	v_mul_f64 v[29:30], v[27:28], v[29:30]
	v_mul_f64 v[29:30], v[9:10], v[29:30]
	global_store_b64 v[35:36], v[29:30], off
	global_load_b64 v[29:30], v[31:32], off
	v_lshlrev_b64 v[35:36], 3, v[1:2]
	v_add_nc_u32_e32 v1, s5, v1
	s_delay_alu instid0(VALU_DEP_2) | instskip(NEXT) | instid1(VALU_DEP_3)
	v_add_co_u32 v35, vcc_lo, s2, v35
	v_add_co_ci_u32_e32 v36, vcc_lo, s3, v36, vcc_lo
	s_waitcnt vmcnt(0)
	v_mul_f64 v[29:30], v[15:16], v[29:30]
	s_delay_alu instid0(VALU_DEP_1) | instskip(NEXT) | instid1(VALU_DEP_1)
	v_mul_f64 v[29:30], v[19:20], v[29:30]
	v_mul_f64 v[29:30], v[3:4], v[29:30]
	global_store_b64 v[31:32], v[29:30], off
	global_load_b64 v[29:30], v[35:36], off
	v_lshlrev_b64 v[31:32], 3, v[1:2]
	v_add_nc_u32_e32 v1, s4, v1
	s_delay_alu instid0(VALU_DEP_2) | instskip(NEXT) | instid1(VALU_DEP_3)
	v_add_co_u32 v31, vcc_lo, s2, v31
	v_add_co_ci_u32_e32 v32, vcc_lo, s3, v32, vcc_lo
	s_waitcnt vmcnt(0)
	v_mul_f64 v[29:30], v[7:8], v[29:30]
	global_store_b64 v[35:36], v[29:30], off
	global_load_b64 v[29:30], v[31:32], off
	v_lshlrev_b64 v[35:36], 3, v[1:2]
	v_add_nc_u32_e32 v1, s4, v1
	s_delay_alu instid0(VALU_DEP_2) | instskip(NEXT) | instid1(VALU_DEP_3)
	v_add_co_u32 v35, vcc_lo, s2, v35
	v_add_co_ci_u32_e32 v36, vcc_lo, s3, v36, vcc_lo
	s_waitcnt vmcnt(0)
	;; [unrolled: 9-line block ×8, first 2 shown]
	v_mul_f64 v[29:30], v[43:44], v[29:30]
	s_delay_alu instid0(VALU_DEP_1) | instskip(SKIP_4) | instid1(VALU_DEP_2)
	v_mul_f64 v[29:30], v[3:4], v[29:30]
	global_store_b64 v[31:32], v[29:30], off
	global_load_b64 v[29:30], v[35:36], off
	v_lshlrev_b64 v[31:32], 3, v[1:2]
	v_add_nc_u32_e32 v1, s4, v1
	v_add_co_u32 v31, vcc_lo, s2, v31
	s_delay_alu instid0(VALU_DEP_3)
	v_add_co_ci_u32_e32 v32, vcc_lo, s3, v32, vcc_lo
	s_waitcnt vmcnt(0)
	v_mul_f64 v[29:30], v[19:20], v[29:30]
	global_store_b64 v[35:36], v[29:30], off
	global_load_b64 v[29:30], v[31:32], off
	v_lshlrev_b64 v[35:36], 3, v[1:2]
	v_add_nc_u32_e32 v1, s4, v1
	s_delay_alu instid0(VALU_DEP_2) | instskip(NEXT) | instid1(VALU_DEP_3)
	v_add_co_u32 v35, vcc_lo, s2, v35
	v_add_co_ci_u32_e32 v36, vcc_lo, s3, v36, vcc_lo
	s_waitcnt vmcnt(0)
	v_mul_f64 v[29:30], v[25:26], v[29:30]
	s_delay_alu instid0(VALU_DEP_1) | instskip(SKIP_4) | instid1(VALU_DEP_2)
	v_mul_f64 v[29:30], v[11:12], v[29:30]
	global_store_b64 v[31:32], v[29:30], off
	global_load_b64 v[29:30], v[35:36], off
	v_lshlrev_b64 v[31:32], 3, v[1:2]
	v_add_nc_u32_e32 v1, s4, v1
	v_add_co_u32 v31, vcc_lo, s2, v31
	s_delay_alu instid0(VALU_DEP_3)
	v_add_co_ci_u32_e32 v32, vcc_lo, s3, v32, vcc_lo
	s_waitcnt vmcnt(0)
	v_mul_f64 v[29:30], v[33:34], v[29:30]
	global_store_b64 v[35:36], v[29:30], off
	global_load_b64 v[29:30], v[31:32], off
	v_lshlrev_b64 v[35:36], 3, v[1:2]
	v_add_nc_u32_e32 v1, s5, v1
	s_delay_alu instid0(VALU_DEP_2) | instskip(NEXT) | instid1(VALU_DEP_3)
	v_add_co_u32 v35, vcc_lo, s2, v35
	v_add_co_ci_u32_e32 v36, vcc_lo, s3, v36, vcc_lo
	s_waitcnt vmcnt(0)
	;; [unrolled: 20-line block ×3, first 2 shown]
	v_mul_f64 v[29:30], v[41:42], v[29:30]
	global_store_b64 v[31:32], v[29:30], off
	global_load_b64 v[29:30], v[35:36], off
	v_lshlrev_b64 v[31:32], 3, v[1:2]
	v_add_nc_u32_e32 v1, s4, v1
	s_delay_alu instid0(VALU_DEP_2) | instskip(NEXT) | instid1(VALU_DEP_3)
	v_add_co_u32 v31, vcc_lo, s2, v31
	v_add_co_ci_u32_e32 v32, vcc_lo, s3, v32, vcc_lo
	s_waitcnt vmcnt(0)
	v_mul_f64 v[29:30], v[37:38], v[29:30]
	s_delay_alu instid0(VALU_DEP_1) | instskip(SKIP_4) | instid1(VALU_DEP_2)
	v_mul_f64 v[29:30], v[7:8], v[29:30]
	global_store_b64 v[35:36], v[29:30], off
	global_load_b64 v[29:30], v[31:32], off
	v_lshlrev_b64 v[35:36], 3, v[1:2]
	v_add_nc_u32_e32 v1, s4, v1
	v_add_co_u32 v35, vcc_lo, s2, v35
	s_delay_alu instid0(VALU_DEP_3) | instskip(SKIP_2) | instid1(VALU_DEP_1)
	v_add_co_ci_u32_e32 v36, vcc_lo, s3, v36, vcc_lo
	s_waitcnt vmcnt(0)
	v_mul_f64 v[29:30], v[23:24], v[29:30]
	v_mul_f64 v[29:30], v[15:16], v[29:30]
	global_store_b64 v[31:32], v[29:30], off
	global_load_b64 v[29:30], v[35:36], off
	v_lshlrev_b64 v[31:32], 3, v[1:2]
	v_add_nc_u32_e32 v1, s4, v1
	s_delay_alu instid0(VALU_DEP_2) | instskip(NEXT) | instid1(VALU_DEP_3)
	v_add_co_u32 v31, vcc_lo, s2, v31
	v_add_co_ci_u32_e32 v32, vcc_lo, s3, v32, vcc_lo
	s_waitcnt vmcnt(0)
	v_mul_f64 v[29:30], v[43:44], v[29:30]
	s_delay_alu instid0(VALU_DEP_1) | instskip(SKIP_4) | instid1(VALU_DEP_2)
	v_mul_f64 v[29:30], v[11:12], v[29:30]
	global_store_b64 v[35:36], v[29:30], off
	global_load_b64 v[29:30], v[31:32], off
	v_lshlrev_b64 v[35:36], 3, v[1:2]
	v_add_nc_u32_e32 v1, s4, v1
	v_add_co_u32 v35, vcc_lo, s2, v35
	s_delay_alu instid0(VALU_DEP_3) | instskip(SKIP_2) | instid1(VALU_DEP_1)
	v_add_co_ci_u32_e32 v36, vcc_lo, s3, v36, vcc_lo
	s_waitcnt vmcnt(0)
	v_mul_f64 v[29:30], v[37:38], v[29:30]
	;; [unrolled: 21-line block ×3, first 2 shown]
	v_mul_f64 v[29:30], v[17:18], v[29:30]
	global_store_b64 v[31:32], v[29:30], off
	global_load_b64 v[29:30], v[35:36], off
	v_lshlrev_b64 v[31:32], 3, v[1:2]
	v_add_nc_u32_e32 v1, s4, v1
	s_delay_alu instid0(VALU_DEP_2) | instskip(NEXT) | instid1(VALU_DEP_3)
	v_add_co_u32 v31, vcc_lo, s2, v31
	v_add_co_ci_u32_e32 v32, vcc_lo, s3, v32, vcc_lo
	s_waitcnt vmcnt(0)
	v_mul_f64 v[29:30], v[23:24], v[29:30]
	s_delay_alu instid0(VALU_DEP_1) | instskip(NEXT) | instid1(VALU_DEP_1)
	v_mul_f64 v[29:30], v[15:16], v[29:30]
	v_mul_f64 v[29:30], v[3:4], v[29:30]
	global_store_b64 v[35:36], v[29:30], off
	global_load_b64 v[29:30], v[31:32], off
	v_lshlrev_b64 v[35:36], 3, v[1:2]
	v_add_nc_u32_e32 v1, s4, v1
	s_delay_alu instid0(VALU_DEP_2) | instskip(NEXT) | instid1(VALU_DEP_3)
	v_add_co_u32 v35, vcc_lo, s2, v35
	v_add_co_ci_u32_e32 v36, vcc_lo, s3, v36, vcc_lo
	s_waitcnt vmcnt(0)
	v_mul_f64 v[29:30], v[41:42], v[29:30]
	s_delay_alu instid0(VALU_DEP_1) | instskip(SKIP_4) | instid1(VALU_DEP_2)
	v_mul_f64 v[29:30], v[9:10], v[29:30]
	global_store_b64 v[31:32], v[29:30], off
	global_load_b64 v[29:30], v[35:36], off
	v_lshlrev_b64 v[31:32], 3, v[1:2]
	v_add_nc_u32_e32 v1, s4, v1
	v_add_co_u32 v31, vcc_lo, s2, v31
	s_delay_alu instid0(VALU_DEP_3) | instskip(SKIP_2) | instid1(VALU_DEP_1)
	v_add_co_ci_u32_e32 v32, vcc_lo, s3, v32, vcc_lo
	s_waitcnt vmcnt(0)
	v_mul_f64 v[29:30], v[41:42], v[29:30]
	v_mul_f64 v[29:30], v[19:20], v[29:30]
	global_store_b64 v[35:36], v[29:30], off
	global_load_b64 v[29:30], v[31:32], off
	v_lshlrev_b64 v[35:36], 3, v[1:2]
	v_add_nc_u32_e32 v1, s4, v1
	s_delay_alu instid0(VALU_DEP_2) | instskip(NEXT) | instid1(VALU_DEP_3)
	v_add_co_u32 v35, vcc_lo, s2, v35
	v_add_co_ci_u32_e32 v36, vcc_lo, s3, v36, vcc_lo
	s_waitcnt vmcnt(0)
	v_mul_f64 v[29:30], v[7:8], v[29:30]
	global_store_b64 v[31:32], v[29:30], off
	global_load_b64 v[29:30], v[35:36], off
	v_lshlrev_b64 v[31:32], 3, v[1:2]
	v_add_nc_u32_e32 v1, s4, v1
	s_delay_alu instid0(VALU_DEP_2) | instskip(NEXT) | instid1(VALU_DEP_3)
	v_add_co_u32 v31, vcc_lo, s2, v31
	v_add_co_ci_u32_e32 v32, vcc_lo, s3, v32, vcc_lo
	s_waitcnt vmcnt(0)
	;; [unrolled: 9-line block ×7, first 2 shown]
	v_mul_f64 v[29:30], v[33:34], v[29:30]
	global_store_b64 v[31:32], v[29:30], off
	global_load_b64 v[29:30], v[35:36], off
	s_waitcnt vmcnt(0)
	v_mul_f64 v[29:30], v[21:22], v[29:30]
	s_delay_alu instid0(VALU_DEP_1) | instskip(SKIP_2) | instid1(VALU_DEP_1)
	v_mul_f64 v[13:14], v[13:14], v[29:30]
	v_lshlrev_b64 v[29:30], 3, v[1:2]
	v_add_nc_u32_e32 v1, s4, v1
	v_lshlrev_b64 v[31:32], 3, v[1:2]
	s_delay_alu instid0(VALU_DEP_3) | instskip(NEXT) | instid1(VALU_DEP_4)
	v_add_co_u32 v29, vcc_lo, s2, v29
	v_add_co_ci_u32_e32 v30, vcc_lo, s3, v30, vcc_lo
	v_add_nc_u32_e32 v1, s5, v1
	s_delay_alu instid0(VALU_DEP_4)
	v_add_co_u32 v31, vcc_lo, s2, v31
	v_add_co_ci_u32_e32 v32, vcc_lo, s3, v32, vcc_lo
	global_store_b64 v[35:36], v[13:14], off
	global_load_b64 v[13:14], v[29:30], off
	s_waitcnt vmcnt(0)
	v_mul_f64 v[13:14], v[3:4], v[13:14]
	s_delay_alu instid0(VALU_DEP_1) | instskip(SKIP_4) | instid1(VALU_DEP_1)
	v_mul_f64 v[13:14], v[15:16], v[13:14]
	global_store_b64 v[29:30], v[13:14], off
	global_load_b64 v[13:14], v[31:32], off
	s_waitcnt vmcnt(0)
	v_mul_f64 v[13:14], v[21:22], v[13:14]
	v_mul_f64 v[13:14], v[19:20], v[13:14]
	v_lshlrev_b64 v[19:20], 3, v[1:2]
	v_add_nc_u32_e32 v1, s4, v1
	s_delay_alu instid0(VALU_DEP_1) | instskip(NEXT) | instid1(VALU_DEP_3)
	v_lshlrev_b64 v[29:30], 3, v[1:2]
	v_add_co_u32 v19, vcc_lo, s2, v19
	s_delay_alu instid0(VALU_DEP_4) | instskip(SKIP_1) | instid1(VALU_DEP_4)
	v_add_co_ci_u32_e32 v20, vcc_lo, s3, v20, vcc_lo
	v_add_nc_u32_e32 v1, s4, v1
	v_add_co_u32 v29, vcc_lo, s2, v29
	v_add_co_ci_u32_e32 v30, vcc_lo, s3, v30, vcc_lo
	global_store_b64 v[31:32], v[13:14], off
	global_load_b64 v[13:14], v[19:20], off
	s_waitcnt vmcnt(0)
	v_mul_f64 v[13:14], v[37:38], v[13:14]
	s_delay_alu instid0(VALU_DEP_1) | instskip(SKIP_4) | instid1(VALU_DEP_2)
	v_mul_f64 v[13:14], v[23:24], v[13:14]
	global_store_b64 v[19:20], v[13:14], off
	global_load_b64 v[13:14], v[29:30], off
	v_lshlrev_b64 v[19:20], 3, v[1:2]
	v_add_nc_u32_e32 v1, s5, v1
	v_add_co_u32 v19, vcc_lo, s2, v19
	s_delay_alu instid0(VALU_DEP_3) | instskip(SKIP_2) | instid1(VALU_DEP_1)
	v_add_co_ci_u32_e32 v20, vcc_lo, s3, v20, vcc_lo
	s_waitcnt vmcnt(0)
	v_mul_f64 v[13:14], v[25:26], v[13:14]
	v_mul_f64 v[13:14], v[7:8], v[13:14]
	global_store_b64 v[29:30], v[13:14], off
	global_load_b64 v[13:14], v[19:20], off
	s_waitcnt vmcnt(0)
	v_mul_f64 v[13:14], v[27:28], v[13:14]
	s_delay_alu instid0(VALU_DEP_1) | instskip(NEXT) | instid1(VALU_DEP_1)
	v_mul_f64 v[13:14], v[23:24], v[13:14]
	v_mul_f64 v[11:12], v[11:12], v[13:14]
	v_lshlrev_b64 v[13:14], 3, v[1:2]
	v_add_nc_u32_e32 v1, s4, v1
	s_delay_alu instid0(VALU_DEP_2) | instskip(NEXT) | instid1(VALU_DEP_3)
	v_add_co_u32 v13, vcc_lo, s2, v13
	v_add_co_ci_u32_e32 v14, vcc_lo, s3, v14, vcc_lo
	global_store_b64 v[19:20], v[11:12], off
	global_load_b64 v[11:12], v[13:14], off
	v_lshlrev_b64 v[19:20], 3, v[1:2]
	v_add_nc_u32_e32 v1, s4, v1
	s_delay_alu instid0(VALU_DEP_2) | instskip(NEXT) | instid1(VALU_DEP_3)
	v_add_co_u32 v19, vcc_lo, s2, v19
	v_add_co_ci_u32_e32 v20, vcc_lo, s3, v20, vcc_lo
	s_waitcnt vmcnt(0)
	v_mul_f64 v[11:12], v[25:26], v[11:12]
	s_delay_alu instid0(VALU_DEP_1) | instskip(SKIP_4) | instid1(VALU_DEP_2)
	v_mul_f64 v[11:12], v[3:4], v[11:12]
	global_store_b64 v[13:14], v[11:12], off
	global_load_b64 v[11:12], v[19:20], off
	v_lshlrev_b64 v[13:14], 3, v[1:2]
	v_add_nc_u32_e32 v1, s4, v1
	v_add_co_u32 v13, vcc_lo, s2, v13
	s_delay_alu instid0(VALU_DEP_3) | instskip(SKIP_2) | instid1(VALU_DEP_1)
	v_add_co_ci_u32_e32 v14, vcc_lo, s3, v14, vcc_lo
	s_waitcnt vmcnt(0)
	v_mul_f64 v[11:12], v[25:26], v[11:12]
	v_mul_f64 v[11:12], v[5:6], v[11:12]
	global_store_b64 v[19:20], v[11:12], off
	global_load_b64 v[11:12], v[13:14], off
	s_waitcnt vmcnt(0)
	v_mul_f64 v[11:12], v[25:26], v[11:12]
	s_delay_alu instid0(VALU_DEP_1) | instskip(SKIP_2) | instid1(VALU_DEP_2)
	v_mul_f64 v[11:12], v[17:18], v[11:12]
	v_lshlrev_b64 v[17:18], 3, v[1:2]
	v_add_nc_u32_e32 v1, s4, v1
	v_add_co_u32 v17, vcc_lo, s2, v17
	s_delay_alu instid0(VALU_DEP_3) | instskip(SKIP_4) | instid1(VALU_DEP_2)
	v_add_co_ci_u32_e32 v18, vcc_lo, s3, v18, vcc_lo
	global_store_b64 v[13:14], v[11:12], off
	global_load_b64 v[11:12], v[17:18], off
	v_lshlrev_b64 v[13:14], 3, v[1:2]
	v_add_nc_u32_e32 v1, s4, v1
	v_add_co_u32 v13, vcc_lo, s2, v13
	s_delay_alu instid0(VALU_DEP_3) | instskip(SKIP_2) | instid1(VALU_DEP_1)
	v_add_co_ci_u32_e32 v14, vcc_lo, s3, v14, vcc_lo
	s_waitcnt vmcnt(0)
	v_mul_f64 v[11:12], v[25:26], v[11:12]
	v_mul_f64 v[11:12], v[33:34], v[11:12]
	global_store_b64 v[17:18], v[11:12], off
	global_load_b64 v[11:12], v[13:14], off
	v_lshlrev_b64 v[17:18], 3, v[1:2]
	v_add_nc_u32_e32 v1, s4, v1
	s_delay_alu instid0(VALU_DEP_2) | instskip(NEXT) | instid1(VALU_DEP_3)
	v_add_co_u32 v17, vcc_lo, s2, v17
	v_add_co_ci_u32_e32 v18, vcc_lo, s3, v18, vcc_lo
	s_waitcnt vmcnt(0)
	v_mul_f64 v[11:12], v[23:24], v[11:12]
	global_store_b64 v[13:14], v[11:12], off
	global_load_b64 v[11:12], v[17:18], off
	s_waitcnt vmcnt(0)
	v_mul_f64 v[11:12], v[21:22], v[11:12]
	s_delay_alu instid0(VALU_DEP_1) | instskip(SKIP_2) | instid1(VALU_DEP_1)
	v_mul_f64 v[7:8], v[7:8], v[11:12]
	v_lshlrev_b64 v[11:12], 3, v[1:2]
	v_add_nc_u32_e32 v1, s4, v1
	v_lshlrev_b64 v[13:14], 3, v[1:2]
	s_delay_alu instid0(VALU_DEP_3) | instskip(NEXT) | instid1(VALU_DEP_4)
	v_add_co_u32 v11, vcc_lo, s2, v11
	v_add_co_ci_u32_e32 v12, vcc_lo, s3, v12, vcc_lo
	v_add_nc_u32_e32 v1, s4, v1
	s_delay_alu instid0(VALU_DEP_4)
	v_add_co_u32 v13, vcc_lo, s2, v13
	v_add_co_ci_u32_e32 v14, vcc_lo, s3, v14, vcc_lo
	global_store_b64 v[17:18], v[7:8], off
	global_load_b64 v[7:8], v[11:12], off
	s_waitcnt vmcnt(0)
	v_mul_f64 v[7:8], v[15:16], v[7:8]
	global_store_b64 v[11:12], v[7:8], off
	global_load_b64 v[7:8], v[13:14], off
	s_waitcnt vmcnt(0)
	v_mul_f64 v[7:8], v[21:22], v[7:8]
	s_delay_alu instid0(VALU_DEP_1) | instskip(SKIP_2) | instid1(VALU_DEP_2)
	v_mul_f64 v[5:6], v[5:6], v[7:8]
	v_lshlrev_b64 v[7:8], 3, v[1:2]
	v_add_nc_u32_e32 v1, s4, v1
	v_add_co_u32 v7, vcc_lo, s2, v7
	s_delay_alu instid0(VALU_DEP_3) | instskip(SKIP_4) | instid1(VALU_DEP_1)
	v_add_co_ci_u32_e32 v8, vcc_lo, s3, v8, vcc_lo
	global_store_b64 v[13:14], v[5:6], off
	global_load_b64 v[5:6], v[7:8], off
	s_waitcnt vmcnt(0)
	v_mul_f64 v[5:6], v[21:22], v[5:6]
	v_mul_f64 v[5:6], v[9:10], v[5:6]
	v_lshlrev_b64 v[9:10], 3, v[1:2]
	v_add_nc_u32_e32 v1, s4, v1
	s_delay_alu instid0(VALU_DEP_2) | instskip(NEXT) | instid1(VALU_DEP_3)
	v_add_co_u32 v9, vcc_lo, s2, v9
	v_add_co_ci_u32_e32 v10, vcc_lo, s3, v10, vcc_lo
	global_store_b64 v[7:8], v[5:6], off
	global_load_b64 v[5:6], v[9:10], off
	s_waitcnt vmcnt(0)
	v_mul_f64 v[3:4], v[3:4], v[5:6]
	v_lshlrev_b64 v[5:6], 3, v[1:2]
	v_add_nc_u32_e32 v1, s4, v1
	s_delay_alu instid0(VALU_DEP_1) | instskip(NEXT) | instid1(VALU_DEP_3)
	v_lshlrev_b64 v[0:1], 3, v[1:2]
	v_add_co_u32 v5, vcc_lo, s2, v5
	s_delay_alu instid0(VALU_DEP_4) | instskip(NEXT) | instid1(VALU_DEP_3)
	v_add_co_ci_u32_e32 v6, vcc_lo, s3, v6, vcc_lo
	v_add_co_u32 v0, vcc_lo, s2, v0
	s_delay_alu instid0(VALU_DEP_4)
	v_add_co_ci_u32_e32 v1, vcc_lo, s3, v1, vcc_lo
	v_mul_f64 v[3:4], v[15:16], v[3:4]
	global_store_b64 v[9:10], v[3:4], off
	global_load_b64 v[3:4], v[5:6], off
	s_waitcnt vmcnt(0)
	v_mul_f64 v[3:4], v[33:34], v[3:4]
	s_delay_alu instid0(VALU_DEP_1) | instskip(SKIP_4) | instid1(VALU_DEP_1)
	v_mul_f64 v[3:4], v[21:22], v[3:4]
	global_store_b64 v[5:6], v[3:4], off
	global_load_b64 v[2:3], v[0:1], off
	s_waitcnt vmcnt(0)
	v_mul_f64 v[2:3], v[25:26], v[2:3]
	v_mul_f64 v[2:3], v[23:24], v[2:3]
	global_store_b64 v[0:1], v[2:3], off
	s_nop 0
	s_sendmsg sendmsg(MSG_DEALLOC_VGPRS)
	s_endpgm
	.section	.rodata,"a",@progbits
	.p2align	6, 0x0
	.amdhsa_kernel _Z12ratx4_kernelIdEvPKT_PS0_S3_
		.amdhsa_group_segment_fixed_size 0
		.amdhsa_private_segment_fixed_size 0
		.amdhsa_kernarg_size 280
		.amdhsa_user_sgpr_count 15
		.amdhsa_user_sgpr_dispatch_ptr 0
		.amdhsa_user_sgpr_queue_ptr 0
		.amdhsa_user_sgpr_kernarg_segment_ptr 1
		.amdhsa_user_sgpr_dispatch_id 0
		.amdhsa_user_sgpr_private_segment_size 0
		.amdhsa_wavefront_size32 1
		.amdhsa_uses_dynamic_stack 0
		.amdhsa_enable_private_segment 0
		.amdhsa_system_sgpr_workgroup_id_x 1
		.amdhsa_system_sgpr_workgroup_id_y 0
		.amdhsa_system_sgpr_workgroup_id_z 0
		.amdhsa_system_sgpr_workgroup_info 0
		.amdhsa_system_vgpr_workitem_id 0
		.amdhsa_next_free_vgpr 73
		.amdhsa_next_free_sgpr 16
		.amdhsa_reserve_vcc 1
		.amdhsa_float_round_mode_32 0
		.amdhsa_float_round_mode_16_64 0
		.amdhsa_float_denorm_mode_32 3
		.amdhsa_float_denorm_mode_16_64 3
		.amdhsa_dx10_clamp 1
		.amdhsa_ieee_mode 1
		.amdhsa_fp16_overflow 0
		.amdhsa_workgroup_processor_mode 1
		.amdhsa_memory_ordered 1
		.amdhsa_forward_progress 0
		.amdhsa_shared_vgpr_count 0
		.amdhsa_exception_fp_ieee_invalid_op 0
		.amdhsa_exception_fp_denorm_src 0
		.amdhsa_exception_fp_ieee_div_zero 0
		.amdhsa_exception_fp_ieee_overflow 0
		.amdhsa_exception_fp_ieee_underflow 0
		.amdhsa_exception_fp_ieee_inexact 0
		.amdhsa_exception_int_div_zero 0
	.end_amdhsa_kernel
	.section	.text._Z12ratx4_kernelIdEvPKT_PS0_S3_,"axG",@progbits,_Z12ratx4_kernelIdEvPKT_PS0_S3_,comdat
.Lfunc_end42:
	.size	_Z12ratx4_kernelIdEvPKT_PS0_S3_, .Lfunc_end42-_Z12ratx4_kernelIdEvPKT_PS0_S3_
                                        ; -- End function
	.section	.AMDGPU.csdata,"",@progbits
; Kernel info:
; codeLenInByte = 12752
; NumSgprs: 18
; NumVgprs: 73
; ScratchSize: 0
; MemoryBound: 1
; FloatMode: 240
; IeeeMode: 1
; LDSByteSize: 0 bytes/workgroup (compile time only)
; SGPRBlocks: 2
; VGPRBlocks: 9
; NumSGPRsForWavesPerEU: 18
; NumVGPRsForWavesPerEU: 73
; Occupancy: 16
; WaveLimiterHint : 1
; COMPUTE_PGM_RSRC2:SCRATCH_EN: 0
; COMPUTE_PGM_RSRC2:USER_SGPR: 15
; COMPUTE_PGM_RSRC2:TRAP_HANDLER: 0
; COMPUTE_PGM_RSRC2:TGID_X_EN: 1
; COMPUTE_PGM_RSRC2:TGID_Y_EN: 0
; COMPUTE_PGM_RSRC2:TGID_Z_EN: 0
; COMPUTE_PGM_RSRC2:TIDIG_COMP_CNT: 0
	.section	.text._Z11qssa_kernelIdEvPT_S1_S1_,"axG",@progbits,_Z11qssa_kernelIdEvPT_S1_S1_,comdat
	.protected	_Z11qssa_kernelIdEvPT_S1_S1_ ; -- Begin function _Z11qssa_kernelIdEvPT_S1_S1_
	.globl	_Z11qssa_kernelIdEvPT_S1_S1_
	.p2align	8
	.type	_Z11qssa_kernelIdEvPT_S1_S1_,@function
_Z11qssa_kernelIdEvPT_S1_S1_:           ; @_Z11qssa_kernelIdEvPT_S1_S1_
; %bb.0:
	s_clause 0x3
	s_load_b128 s[4:7], s[0:1], 0x0
	s_load_b64 s[2:3], s[0:1], 0x10
	s_load_b32 s8, s[0:1], 0x18
	s_load_b32 s0, s[0:1], 0x24
	s_waitcnt lgkmcnt(0)
	s_and_b32 s0, s0, 0xffff
	s_delay_alu instid0(SALU_CYCLE_1)
	s_mul_i32 s1, s8, s0
	s_mul_i32 s15, s15, s0
	;; [unrolled: 1-line block ×4, first 2 shown]
	v_add3_u32 v0, s8, s15, v0
	s_mov_b32 s8, 0
	s_mul_i32 s10, s1, 37
	s_mov_b32 s9, s8
	v_dual_mov_b32 v1, 0 :: v_dual_mov_b32 v6, s8
	v_mov_b32_e32 v7, s9
	s_mul_i32 s18, s1, 10
	s_mul_i32 s14, s1, 6
	s_delay_alu instid0(VALU_DEP_2)
	v_lshlrev_b64 v[2:3], 3, v[0:1]
	v_add_nc_u32_e32 v0, s1, v0
	s_mul_i32 s9, s1, 0xffffffc7
	s_lshl_b32 s8, s1, 1
	s_mul_i32 s12, s1, 3
	s_mul_i32 s13, s1, 30
	v_add_co_u32 v4, vcc_lo, s4, v2
	v_lshlrev_b64 v[16:17], 3, v[0:1]
	v_add_co_ci_u32_e32 v5, vcc_lo, s5, v3, vcc_lo
	s_lshl_b32 s0, s1, 3
	s_mul_i32 s15, s1, 11
	s_mul_i32 s16, s1, 17
	global_store_b64 v[4:5], v[6:7], off
	v_add_co_u32 v4, vcc_lo, s4, v16
	v_add_co_ci_u32_e32 v5, vcc_lo, s5, v17, vcc_lo
	s_mul_i32 s17, s1, 31
	global_store_b64 v[4:5], v[6:7], off
	v_mad_u64_u32 v[4:5], null, 0x55, s1, v[0:1]
	v_mov_b32_e32 v5, v1
	s_delay_alu instid0(VALU_DEP_1) | instskip(NEXT) | instid1(VALU_DEP_1)
	v_lshlrev_b64 v[34:35], 3, v[4:5]
	v_add_co_u32 v8, vcc_lo, s4, v34
	s_delay_alu instid0(VALU_DEP_2) | instskip(SKIP_3) | instid1(VALU_DEP_1)
	v_add_co_ci_u32_e32 v9, vcc_lo, s5, v35, vcc_lo
	global_store_b64 v[8:9], v[6:7], off
	v_mad_u64_u32 v[8:9], null, s1, 36, v[4:5]
	v_mov_b32_e32 v9, v1
	v_lshlrev_b64 v[32:33], 3, v[8:9]
	v_add_nc_u32_e32 v0, s11, v8
	s_delay_alu instid0(VALU_DEP_2) | instskip(NEXT) | instid1(VALU_DEP_2)
	v_add_co_u32 v4, vcc_lo, s4, v32
	v_lshlrev_b64 v[104:105], 3, v[0:1]
	s_delay_alu instid0(VALU_DEP_4)
	v_add_co_ci_u32_e32 v5, vcc_lo, s5, v33, vcc_lo
	global_store_b64 v[4:5], v[6:7], off
	v_add_co_u32 v4, vcc_lo, s6, v104
	v_add_co_ci_u32_e32 v5, vcc_lo, s7, v105, vcc_lo
	global_store_b64 v[4:5], v[6:7], off
	v_mad_u64_u32 v[4:5], null, s1, 12, v[0:1]
	v_mov_b32_e32 v5, v1
	s_delay_alu instid0(VALU_DEP_1) | instskip(NEXT) | instid1(VALU_DEP_1)
	v_lshlrev_b64 v[46:47], 3, v[4:5]
	v_add_co_u32 v8, vcc_lo, s4, v46
	s_delay_alu instid0(VALU_DEP_2) | instskip(SKIP_2) | instid1(VALU_DEP_1)
	v_add_co_ci_u32_e32 v9, vcc_lo, s5, v47, vcc_lo
	global_store_b64 v[8:9], v[6:7], off
	v_mad_u64_u32 v[6:7], null, 0xffffff54, s1, v[4:5]
	v_add_nc_u32_e32 v0, s1, v6
	s_delay_alu instid0(VALU_DEP_1) | instskip(SKIP_1) | instid1(VALU_DEP_1)
	v_lshlrev_b64 v[10:11], 3, v[0:1]
	v_dual_mov_b32 v7, v1 :: v_dual_add_nc_u32 v0, s1, v0
	v_lshlrev_b64 v[4:5], 3, v[6:7]
	s_delay_alu instid0(VALU_DEP_1) | instskip(NEXT) | instid1(VALU_DEP_2)
	v_add_co_u32 v7, vcc_lo, s4, v4
	v_add_co_ci_u32_e32 v8, vcc_lo, s5, v5, vcc_lo
	v_add_co_u32 v18, vcc_lo, s4, v10
	v_add_co_ci_u32_e32 v19, vcc_lo, s5, v11, vcc_lo
	s_clause 0x1
	global_load_b64 v[7:8], v[7:8], off
	global_load_b64 v[12:13], v[18:19], off
	s_waitcnt vmcnt(0)
	v_add_f64 v[8:9], v[7:8], v[12:13]
	v_lshlrev_b64 v[12:13], 3, v[0:1]
	v_add_nc_u32_e32 v0, s1, v0
	s_delay_alu instid0(VALU_DEP_2) | instskip(NEXT) | instid1(VALU_DEP_3)
	v_add_co_u32 v6, vcc_lo, s4, v12
	v_add_co_ci_u32_e32 v7, vcc_lo, s5, v13, vcc_lo
	s_delay_alu instid0(VALU_DEP_3)
	v_lshlrev_b64 v[26:27], 3, v[0:1]
	v_add_nc_u32_e32 v0, s1, v0
	global_load_b64 v[6:7], v[6:7], off
	v_add_co_u32 v14, vcc_lo, s4, v26
	v_add_co_ci_u32_e32 v15, vcc_lo, s5, v27, vcc_lo
	v_lshlrev_b64 v[30:31], 3, v[0:1]
	v_add_nc_u32_e32 v0, s1, v0
	global_load_b64 v[14:15], v[14:15], off
	v_add_co_u32 v24, vcc_lo, s4, v30
	v_add_co_ci_u32_e32 v25, vcc_lo, s5, v31, vcc_lo
	v_lshlrev_b64 v[36:37], 3, v[0:1]
	v_add_nc_u32_e32 v0, s1, v0
	s_waitcnt vmcnt(1)
	v_add_f64 v[8:9], v[8:9], v[6:7]
	s_waitcnt vmcnt(0)
	s_delay_alu instid0(VALU_DEP_1)
	v_add_f64 v[8:9], v[8:9], v[14:15]
	global_load_b64 v[14:15], v[24:25], off
	s_waitcnt vmcnt(0)
	v_add_f64 v[8:9], v[8:9], v[14:15]
	v_add_co_u32 v14, vcc_lo, s4, v36
	v_add_co_ci_u32_e32 v15, vcc_lo, s5, v37, vcc_lo
	global_load_b64 v[14:15], v[14:15], off
	s_waitcnt vmcnt(0)
	v_add_f64 v[8:9], v[8:9], v[14:15]
	v_lshlrev_b64 v[14:15], 3, v[0:1]
	v_add_nc_u32_e32 v0, s10, v0
	s_delay_alu instid0(VALU_DEP_2) | instskip(NEXT) | instid1(VALU_DEP_3)
	v_add_co_u32 v20, vcc_lo, s4, v14
	v_add_co_ci_u32_e32 v21, vcc_lo, s5, v15, vcc_lo
	s_delay_alu instid0(VALU_DEP_3)
	v_lshlrev_b64 v[54:55], 3, v[0:1]
	v_add_nc_u32_e32 v0, s18, v0
	global_load_b64 v[22:23], v[20:21], off
	s_waitcnt vmcnt(0)
	v_add_f64 v[8:9], v[8:9], v[22:23]
	v_add_co_u32 v22, vcc_lo, s4, v54
	v_add_co_ci_u32_e32 v23, vcc_lo, s5, v55, vcc_lo
	global_load_b64 v[22:23], v[22:23], off
	s_waitcnt vmcnt(0)
	v_add_f64 v[8:9], v[8:9], v[22:23]
	v_lshlrev_b64 v[22:23], 3, v[0:1]
	s_delay_alu instid0(VALU_DEP_1) | instskip(NEXT) | instid1(VALU_DEP_2)
	v_add_co_u32 v40, vcc_lo, s4, v22
	v_add_co_ci_u32_e32 v41, vcc_lo, s5, v23, vcc_lo
	global_load_b64 v[28:29], v[40:41], off
	s_waitcnt vmcnt(0)
	v_add_f64 v[8:9], v[8:9], v[28:29]
	v_mad_u64_u32 v[28:29], null, s1, 18, v[0:1]
	v_mov_b32_e32 v29, v1
	s_delay_alu instid0(VALU_DEP_1) | instskip(SKIP_1) | instid1(VALU_DEP_2)
	v_lshlrev_b64 v[38:39], 3, v[28:29]
	v_add_nc_u32_e32 v0, s14, v28
	v_add_co_u32 v42, vcc_lo, s4, v38
	s_delay_alu instid0(VALU_DEP_3) | instskip(NEXT) | instid1(VALU_DEP_3)
	v_add_co_ci_u32_e32 v43, vcc_lo, s5, v39, vcc_lo
	v_lshlrev_b64 v[28:29], 3, v[0:1]
	v_add_nc_u32_e32 v0, s9, v0
	global_load_b64 v[42:43], v[42:43], off
	s_waitcnt vmcnt(0)
	v_add_f64 v[8:9], v[8:9], v[42:43]
	v_add_co_u32 v42, vcc_lo, s4, v28
	v_add_co_ci_u32_e32 v43, vcc_lo, s5, v29, vcc_lo
	global_load_b64 v[42:43], v[42:43], off
	s_waitcnt vmcnt(0)
	v_add_f64 v[8:9], v[8:9], v[42:43]
	v_lshlrev_b64 v[42:43], 3, v[0:1]
	v_add_nc_u32_e32 v0, s14, v0
	s_delay_alu instid0(VALU_DEP_2) | instskip(NEXT) | instid1(VALU_DEP_3)
	v_add_co_u32 v44, vcc_lo, s6, v42
	v_add_co_ci_u32_e32 v45, vcc_lo, s7, v43, vcc_lo
	global_load_b64 v[60:61], v[44:45], off
	v_lshlrev_b64 v[44:45], 3, v[0:1]
	s_delay_alu instid0(VALU_DEP_1) | instskip(NEXT) | instid1(VALU_DEP_2)
	v_add_co_u32 v82, vcc_lo, s6, v44
	v_add_co_ci_u32_e32 v83, vcc_lo, s7, v45, vcc_lo
	s_clause 0x1
	global_load_b64 v[48:49], v[82:83], off
	global_load_b64 v[82:83], v[82:83], off
	s_waitcnt vmcnt(2)
	v_add_f64 v[8:9], v[8:9], v[60:61]
	v_add_f64 v[6:7], v[6:7], v[60:61]
	s_waitcnt vmcnt(1)
	s_delay_alu instid0(VALU_DEP_2)
	v_add_f64 v[8:9], v[8:9], v[48:49]
	v_add_co_u32 v48, vcc_lo, s6, v4
	v_add_co_ci_u32_e32 v49, vcc_lo, s7, v5, vcc_lo
	v_add_co_u32 v50, vcc_lo, s6, v26
	v_add_co_ci_u32_e32 v51, vcc_lo, s7, v27, vcc_lo
	s_clause 0x1
	global_load_b64 v[48:49], v[48:49], off
	global_load_b64 v[50:51], v[50:51], off
	s_waitcnt vmcnt(0)
	v_add_f64 v[48:49], v[48:49], v[50:51]
	v_add_co_u32 v50, vcc_lo, s6, v36
	v_add_co_ci_u32_e32 v51, vcc_lo, s7, v37, vcc_lo
	v_add_co_u32 v2, vcc_lo, s6, v2
	v_add_co_ci_u32_e32 v3, vcc_lo, s7, v3, vcc_lo
	s_clause 0x1
	global_load_b64 v[50:51], v[50:51], off
	global_load_b64 v[70:71], v[2:3], off
	s_waitcnt vmcnt(1)
	v_add_f64 v[48:49], v[48:49], v[50:51]
	s_waitcnt vmcnt(0)
	s_delay_alu instid0(VALU_DEP_1)
	v_add_f64 v[2:3], v[48:49], v[70:71]
	v_add_co_u32 v48, vcc_lo, s6, v54
	v_add_co_ci_u32_e32 v49, vcc_lo, s7, v55, vcc_lo
	v_add_co_u32 v38, vcc_lo, s6, v38
	v_add_co_ci_u32_e32 v39, vcc_lo, s7, v39, vcc_lo
	global_load_b64 v[48:49], v[48:49], off
	v_add_co_u32 v28, vcc_lo, s6, v28
	global_load_b64 v[38:39], v[38:39], off
	v_add_co_ci_u32_e32 v29, vcc_lo, s7, v29, vcc_lo
	global_load_b64 v[28:29], v[28:29], off
	s_waitcnt vmcnt(2)
	v_add_f64 v[2:3], v[2:3], v[48:49]
	s_waitcnt vmcnt(1)
	s_delay_alu instid0(VALU_DEP_1) | instskip(SKIP_1) | instid1(VALU_DEP_1)
	v_add_f64 v[2:3], v[2:3], v[38:39]
	s_waitcnt vmcnt(0)
	v_add_f64 v[2:3], v[2:3], v[28:29]
	v_div_scale_f64 v[28:29], null, v[8:9], v[8:9], 1.0
	s_delay_alu instid0(VALU_DEP_1) | instskip(SKIP_2) | instid1(VALU_DEP_1)
	v_rcp_f64_e32 v[38:39], v[28:29]
	s_waitcnt_depctr 0xfff
	v_fma_f64 v[48:49], -v[28:29], v[38:39], 1.0
	v_fma_f64 v[38:39], v[38:39], v[48:49], v[38:39]
	s_delay_alu instid0(VALU_DEP_1) | instskip(NEXT) | instid1(VALU_DEP_1)
	v_fma_f64 v[48:49], -v[28:29], v[38:39], 1.0
	v_fma_f64 v[38:39], v[38:39], v[48:49], v[38:39]
	v_div_scale_f64 v[48:49], vcc_lo, 1.0, v[8:9], 1.0
	s_delay_alu instid0(VALU_DEP_1) | instskip(NEXT) | instid1(VALU_DEP_1)
	v_mul_f64 v[50:51], v[48:49], v[38:39]
	v_fma_f64 v[28:29], -v[28:29], v[50:51], v[48:49]
	s_delay_alu instid0(VALU_DEP_1) | instskip(NEXT) | instid1(VALU_DEP_1)
	v_div_fmas_f64 v[28:29], v[28:29], v[38:39], v[50:51]
	v_div_fixup_f64 v[8:9], v[28:29], v[8:9], 1.0
	v_mad_u64_u32 v[28:29], null, 0xffffffcf, s1, v[0:1]
	v_mov_b32_e32 v29, v1
	s_delay_alu instid0(VALU_DEP_1) | instskip(SKIP_1) | instid1(VALU_DEP_2)
	v_lshlrev_b64 v[38:39], 3, v[28:29]
	v_add_nc_u32_e32 v0, s8, v28
	v_add_co_u32 v38, vcc_lo, s2, v38
	s_delay_alu instid0(VALU_DEP_3) | instskip(NEXT) | instid1(VALU_DEP_3)
	v_add_co_ci_u32_e32 v39, vcc_lo, s3, v39, vcc_lo
	v_lshlrev_b64 v[28:29], 3, v[0:1]
	v_add_nc_u32_e32 v0, s1, v0
	v_mul_f64 v[2:3], v[8:9], v[2:3]
	global_store_b64 v[38:39], v[2:3], off
	v_add_co_u32 v2, vcc_lo, s6, v12
	v_add_co_ci_u32_e32 v3, vcc_lo, s7, v13, vcc_lo
	v_lshlrev_b64 v[38:39], 3, v[0:1]
	v_add_nc_u32_e32 v0, s1, v0
	global_load_b64 v[48:49], v[2:3], off
	v_add_co_u32 v2, vcc_lo, s4, v42
	v_add_co_ci_u32_e32 v3, vcc_lo, s5, v43, vcc_lo
	v_add_co_u32 v28, vcc_lo, s2, v28
	v_add_co_ci_u32_e32 v29, vcc_lo, s3, v29, vcc_lo
	global_load_b64 v[2:3], v[2:3], off
	s_waitcnt vmcnt(0)
	v_add_f64 v[12:13], v[48:49], v[2:3]
	s_delay_alu instid0(VALU_DEP_1)
	v_mul_f64 v[12:13], v[8:9], v[12:13]
	global_store_b64 v[28:29], v[12:13], off
	v_add_co_u32 v12, vcc_lo, s4, v44
	v_add_co_ci_u32_e32 v13, vcc_lo, s5, v45, vcc_lo
	v_add_co_u32 v38, vcc_lo, s2, v38
	v_add_co_ci_u32_e32 v39, vcc_lo, s3, v39, vcc_lo
	global_load_b64 v[28:29], v[12:13], off
	s_waitcnt vmcnt(0)
	v_mul_f64 v[12:13], v[8:9], v[28:29]
	global_store_b64 v[38:39], v[12:13], off
	v_add_co_u32 v38, vcc_lo, s6, v10
	v_add_co_ci_u32_e32 v39, vcc_lo, s7, v11, vcc_lo
	v_add_co_u32 v84, vcc_lo, s6, v30
	v_add_co_ci_u32_e32 v85, vcc_lo, s7, v31, vcc_lo
	global_load_b64 v[12:13], v[38:39], off
	v_add_co_u32 v86, vcc_lo, s6, v14
	global_load_b64 v[42:43], v[84:85], off
	v_add_co_ci_u32_e32 v87, vcc_lo, s7, v15, vcc_lo
	global_load_b64 v[14:15], v[86:87], off
	s_waitcnt vmcnt(1)
	v_add_f64 v[12:13], v[12:13], v[42:43]
	s_waitcnt vmcnt(0)
	s_delay_alu instid0(VALU_DEP_1) | instskip(SKIP_2) | instid1(VALU_DEP_2)
	v_add_f64 v[12:13], v[12:13], v[14:15]
	v_lshlrev_b64 v[14:15], 3, v[0:1]
	v_add_nc_u32_e32 v0, s12, v0
	v_add_co_u32 v14, vcc_lo, s2, v14
	s_delay_alu instid0(VALU_DEP_3)
	v_add_co_ci_u32_e32 v15, vcc_lo, s3, v15, vcc_lo
	v_add_co_u32 v52, vcc_lo, s6, v22
	v_add_co_ci_u32_e32 v53, vcc_lo, s7, v23, vcc_lo
	v_mul_f64 v[12:13], v[8:9], v[12:13]
	global_store_b64 v[14:15], v[12:13], off
	global_load_b64 v[12:13], v[52:53], off
	s_waitcnt vmcnt(0)
	v_mul_f64 v[8:9], v[8:9], v[12:13]
	v_lshlrev_b64 v[12:13], 3, v[0:1]
	v_add_nc_u32_e32 v0, s13, v0
	s_delay_alu instid0(VALU_DEP_2) | instskip(NEXT) | instid1(VALU_DEP_3)
	v_add_co_u32 v12, vcc_lo, s2, v12
	v_add_co_ci_u32_e32 v13, vcc_lo, s3, v13, vcc_lo
	global_store_b64 v[12:13], v[8:9], off
	v_lshlrev_b64 v[8:9], 3, v[0:1]
	v_add_nc_u32_e32 v0, s1, v0
	s_delay_alu instid0(VALU_DEP_1) | instskip(NEXT) | instid1(VALU_DEP_3)
	v_lshlrev_b64 v[14:15], 3, v[0:1]
	v_add_co_u32 v12, vcc_lo, s4, v8
	s_delay_alu instid0(VALU_DEP_4) | instskip(SKIP_1) | instid1(VALU_DEP_4)
	v_add_co_ci_u32_e32 v13, vcc_lo, s5, v9, vcc_lo
	v_add_nc_u32_e32 v0, s1, v0
	v_add_co_u32 v22, vcc_lo, s4, v14
	v_add_co_ci_u32_e32 v23, vcc_lo, s5, v15, vcc_lo
	global_load_b64 v[12:13], v[12:13], off
	v_lshlrev_b64 v[72:73], 3, v[0:1]
	v_add_nc_u32_e32 v0, s1, v0
	global_load_b64 v[22:23], v[22:23], off
	v_add_co_u32 v66, vcc_lo, s4, v72
	v_add_co_ci_u32_e32 v67, vcc_lo, s5, v73, vcc_lo
	v_lshlrev_b64 v[42:43], 3, v[0:1]
	v_add_nc_u32_e32 v0, s1, v0
	s_delay_alu instid0(VALU_DEP_2) | instskip(NEXT) | instid1(VALU_DEP_3)
	v_add_co_u32 v68, vcc_lo, s4, v42
	v_add_co_ci_u32_e32 v69, vcc_lo, s5, v43, vcc_lo
	s_delay_alu instid0(VALU_DEP_3) | instskip(SKIP_1) | instid1(VALU_DEP_1)
	v_lshlrev_b64 v[64:65], 3, v[0:1]
	v_add_nc_u32_e32 v0, s1, v0
	v_lshlrev_b64 v[62:63], 3, v[0:1]
	v_add_nc_u32_e32 v0, s8, v0
	s_delay_alu instid0(VALU_DEP_1) | instskip(SKIP_1) | instid1(VALU_DEP_1)
	v_lshlrev_b64 v[44:45], 3, v[0:1]
	v_add_nc_u32_e32 v0, s1, v0
	v_lshlrev_b64 v[74:75], 3, v[0:1]
	s_waitcnt vmcnt(0)
	v_add_f64 v[12:13], v[12:13], v[22:23]
	global_load_b64 v[22:23], v[66:67], off
	s_waitcnt vmcnt(0)
	v_add_f64 v[12:13], v[12:13], v[22:23]
	global_load_b64 v[22:23], v[68:69], off
	s_waitcnt vmcnt(0)
	v_add_f64 v[12:13], v[12:13], v[22:23]
	v_add_co_u32 v22, vcc_lo, s4, v64
	v_add_co_ci_u32_e32 v23, vcc_lo, s5, v65, vcc_lo
	global_load_b64 v[22:23], v[22:23], off
	s_waitcnt vmcnt(0)
	v_add_f64 v[12:13], v[12:13], v[22:23]
	v_add_co_u32 v22, vcc_lo, s4, v62
	v_add_co_ci_u32_e32 v23, vcc_lo, s5, v63, vcc_lo
	global_load_b64 v[22:23], v[22:23], off
	s_waitcnt vmcnt(0)
	v_add_f64 v[12:13], v[12:13], v[22:23]
	v_mad_u64_u32 v[22:23], null, s1, 35, v[0:1]
	s_delay_alu instid0(VALU_DEP_1) | instskip(NEXT) | instid1(VALU_DEP_3)
	v_dual_mov_b32 v23, v1 :: v_dual_add_nc_u32 v0, s11, v22
	v_add_f64 v[2:3], v[2:3], v[12:13]
	v_add_co_u32 v12, vcc_lo, s4, v44
	v_add_co_ci_u32_e32 v13, vcc_lo, s5, v45, vcc_lo
	global_load_b64 v[12:13], v[12:13], off
	s_waitcnt vmcnt(0)
	v_add_f64 v[2:3], v[12:13], v[2:3]
	v_add_co_u32 v12, vcc_lo, s4, v74
	v_add_co_ci_u32_e32 v13, vcc_lo, s5, v75, vcc_lo
	global_load_b64 v[12:13], v[12:13], off
	s_waitcnt vmcnt(0)
	v_add_f64 v[2:3], v[12:13], v[2:3]
	v_lshlrev_b64 v[12:13], 3, v[22:23]
	s_delay_alu instid0(VALU_DEP_1) | instskip(NEXT) | instid1(VALU_DEP_2)
	v_add_co_u32 v50, vcc_lo, s4, v12
	v_add_co_ci_u32_e32 v51, vcc_lo, s5, v13, vcc_lo
	global_load_b64 v[50:51], v[50:51], off
	s_waitcnt vmcnt(0)
	v_add_f64 v[50:51], v[50:51], v[2:3]
	v_lshlrev_b64 v[2:3], 3, v[0:1]
	v_add_nc_u32_e32 v0, s14, v0
	s_delay_alu instid0(VALU_DEP_2) | instskip(NEXT) | instid1(VALU_DEP_3)
	v_add_co_u32 v22, vcc_lo, s4, v2
	v_add_co_ci_u32_e32 v23, vcc_lo, s5, v3, vcc_lo
	s_delay_alu instid0(VALU_DEP_3)
	v_lshlrev_b64 v[76:77], 3, v[0:1]
	global_load_b64 v[22:23], v[22:23], off
	s_waitcnt vmcnt(0)
	v_add_f64 v[50:51], v[22:23], v[50:51]
	v_add_co_u32 v22, vcc_lo, s4, v76
	v_add_co_ci_u32_e32 v23, vcc_lo, s5, v77, vcc_lo
	global_load_b64 v[56:57], v[22:23], off
	s_waitcnt vmcnt(0)
	v_add_f64 v[50:51], v[56:57], v[50:51]
	v_mad_u64_u32 v[56:57], null, s1, 53, v[0:1]
	v_mov_b32_e32 v57, v1
	s_delay_alu instid0(VALU_DEP_1) | instskip(NEXT) | instid1(VALU_DEP_1)
	v_lshlrev_b64 v[78:79], 3, v[56:57]
	v_add_co_u32 v57, vcc_lo, s4, v78
	s_delay_alu instid0(VALU_DEP_2) | instskip(SKIP_3) | instid1(VALU_DEP_1)
	v_add_co_ci_u32_e32 v58, vcc_lo, s5, v79, vcc_lo
	global_load_b64 v[57:58], v[57:58], off
	s_waitcnt vmcnt(0)
	v_add_f64 v[50:51], v[57:58], v[50:51]
	v_add_f64 v[48:49], v[48:49], v[50:51]
	v_mad_u64_u32 v[50:51], null, 0xffffff96, s1, v[56:57]
	v_mov_b32_e32 v51, v1
	s_delay_alu instid0(VALU_DEP_1) | instskip(SKIP_1) | instid1(VALU_DEP_2)
	v_lshlrev_b64 v[80:81], 3, v[50:51]
	v_add_nc_u32_e32 v0, s0, v50
	v_add_co_u32 v88, vcc_lo, s6, v80
	s_delay_alu instid0(VALU_DEP_3) | instskip(NEXT) | instid1(VALU_DEP_3)
	v_add_co_ci_u32_e32 v89, vcc_lo, s7, v81, vcc_lo
	v_lshlrev_b64 v[90:91], 3, v[0:1]
	v_add_nc_u32_e32 v0, s1, v0
	global_load_b64 v[56:57], v[88:89], off
	v_add_co_u32 v92, vcc_lo, s6, v90
	v_add_co_ci_u32_e32 v93, vcc_lo, s7, v91, vcc_lo
	global_load_b64 v[50:51], v[92:93], off
	s_waitcnt vmcnt(1)
	v_add_f64 v[48:49], v[56:57], v[48:49]
	s_waitcnt vmcnt(0)
	s_delay_alu instid0(VALU_DEP_1) | instskip(SKIP_2) | instid1(VALU_DEP_2)
	v_add_f64 v[50:51], v[50:51], v[48:49]
	v_lshlrev_b64 v[48:49], 3, v[0:1]
	v_add_nc_u32_e32 v0, s1, v0
	v_add_co_u32 v94, vcc_lo, s6, v48
	s_delay_alu instid0(VALU_DEP_3)
	v_add_co_ci_u32_e32 v95, vcc_lo, s7, v49, vcc_lo
	global_load_b64 v[56:57], v[94:95], off
	s_waitcnt vmcnt(0)
	v_add_f64 v[56:57], v[56:57], v[50:51]
	v_lshlrev_b64 v[50:51], 3, v[0:1]
	v_add_nc_u32_e32 v0, s15, v0
	s_delay_alu instid0(VALU_DEP_2) | instskip(NEXT) | instid1(VALU_DEP_3)
	v_add_co_u32 v96, vcc_lo, s6, v50
	v_add_co_ci_u32_e32 v97, vcc_lo, s7, v51, vcc_lo
	s_delay_alu instid0(VALU_DEP_3) | instskip(SKIP_4) | instid1(VALU_DEP_1)
	v_lshlrev_b64 v[98:99], 3, v[0:1]
	v_add_nc_u32_e32 v0, s10, v0
	global_load_b64 v[58:59], v[96:97], off
	v_lshlrev_b64 v[100:101], 3, v[0:1]
	v_add_nc_u32_e32 v0, s14, v0
	v_lshlrev_b64 v[102:103], 3, v[0:1]
	v_add_nc_u32_e32 v0, s8, v0
	s_delay_alu instid0(VALU_DEP_1)
	v_lshlrev_b64 v[108:109], 3, v[0:1]
	s_waitcnt vmcnt(0)
	v_add_f64 v[56:57], v[58:59], v[56:57]
	v_add_co_u32 v58, vcc_lo, s6, v98
	v_add_co_ci_u32_e32 v59, vcc_lo, s7, v99, vcc_lo
	global_load_b64 v[58:59], v[58:59], off
	s_waitcnt vmcnt(0)
	v_add_f64 v[56:57], v[58:59], v[56:57]
	v_add_co_u32 v58, vcc_lo, s6, v100
	v_add_co_ci_u32_e32 v59, vcc_lo, s7, v101, vcc_lo
	global_load_b64 v[58:59], v[58:59], off
	;; [unrolled: 5-line block ×4, first 2 shown]
	s_waitcnt vmcnt(0)
	v_add_f64 v[106:107], v[110:111], v[106:107]
	v_mad_u64_u32 v[110:111], null, s1, 5, v[0:1]
	v_mov_b32_e32 v111, v1
	s_delay_alu instid0(VALU_DEP_1) | instskip(SKIP_2) | instid1(VALU_DEP_2)
	v_lshlrev_b64 v[111:112], 3, v[110:111]
	v_add_nc_u32_e32 v0, s13, v110
	s_lshl_b32 s13, s1, 2
	v_add_co_u32 v113, vcc_lo, s6, v111
	s_delay_alu instid0(VALU_DEP_3) | instskip(SKIP_4) | instid1(VALU_DEP_1)
	v_add_co_ci_u32_e32 v114, vcc_lo, s7, v112, vcc_lo
	global_load_b64 v[113:114], v[113:114], off
	s_waitcnt vmcnt(0)
	v_add_f64 v[106:107], v[113:114], v[106:107]
	v_lshlrev_b64 v[113:114], 3, v[0:1]
	v_add_co_u32 v115, vcc_lo, s6, v113
	s_delay_alu instid0(VALU_DEP_2)
	v_add_co_ci_u32_e32 v116, vcc_lo, s7, v114, vcc_lo
	v_add_co_u32 v8, vcc_lo, s6, v8
	v_add_co_ci_u32_e32 v9, vcc_lo, s7, v9, vcc_lo
	v_add_co_u32 v14, vcc_lo, s6, v14
	v_add_co_ci_u32_e32 v15, vcc_lo, s7, v15, vcc_lo
	s_clause 0x2
	global_load_b64 v[115:116], v[115:116], off
	global_load_b64 v[8:9], v[8:9], off
	;; [unrolled: 1-line block ×3, first 2 shown]
	s_waitcnt vmcnt(2)
	v_add_f64 v[106:107], v[115:116], v[106:107]
	s_waitcnt vmcnt(0)
	v_add_f64 v[8:9], v[8:9], v[14:15]
	v_add_co_u32 v14, vcc_lo, s6, v64
	v_add_co_ci_u32_e32 v15, vcc_lo, s7, v65, vcc_lo
	global_load_b64 v[14:15], v[14:15], off
	s_waitcnt vmcnt(0)
	v_add_f64 v[8:9], v[8:9], v[14:15]
	v_add_co_u32 v14, vcc_lo, s6, v62
	v_add_co_ci_u32_e32 v15, vcc_lo, s7, v63, vcc_lo
	global_load_b64 v[14:15], v[14:15], off
	;; [unrolled: 5-line block ×5, first 2 shown]
	v_add_f64 v[8:9], v[70:71], v[8:9]
	s_waitcnt vmcnt(0)
	s_delay_alu instid0(VALU_DEP_1) | instskip(NEXT) | instid1(VALU_DEP_1)
	v_add_f64 v[8:9], v[14:15], v[8:9]
	v_add_f64 v[8:9], v[14:15], v[8:9]
	v_add_co_u32 v14, vcc_lo, s4, v98
	v_add_co_ci_u32_e32 v15, vcc_lo, s5, v99, vcc_lo
	global_load_b64 v[14:15], v[14:15], off
	s_waitcnt vmcnt(0)
	v_add_f64 v[8:9], v[14:15], v[8:9]
	v_add_co_u32 v14, vcc_lo, s6, v12
	v_add_co_ci_u32_e32 v15, vcc_lo, s7, v13, vcc_lo
	global_load_b64 v[14:15], v[14:15], off
	s_waitcnt vmcnt(0)
	;; [unrolled: 5-line block ×7, first 2 shown]
	v_add_f64 v[8:9], v[14:15], v[8:9]
	v_div_scale_f64 v[14:15], null, v[106:107], v[106:107], 1.0
	s_delay_alu instid0(VALU_DEP_1) | instskip(SKIP_2) | instid1(VALU_DEP_1)
	v_rcp_f64_e32 v[70:71], v[14:15]
	s_waitcnt_depctr 0xfff
	v_fma_f64 v[74:75], -v[14:15], v[70:71], 1.0
	v_fma_f64 v[70:71], v[70:71], v[74:75], v[70:71]
	s_delay_alu instid0(VALU_DEP_1) | instskip(NEXT) | instid1(VALU_DEP_1)
	v_fma_f64 v[74:75], -v[14:15], v[70:71], 1.0
	v_fma_f64 v[70:71], v[70:71], v[74:75], v[70:71]
	v_div_scale_f64 v[74:75], vcc_lo, 1.0, v[106:107], 1.0
	s_delay_alu instid0(VALU_DEP_1) | instskip(NEXT) | instid1(VALU_DEP_1)
	v_mul_f64 v[78:79], v[74:75], v[70:71]
	v_fma_f64 v[14:15], -v[14:15], v[78:79], v[74:75]
	s_delay_alu instid0(VALU_DEP_1) | instskip(SKIP_2) | instid1(VALU_DEP_1)
	v_div_fmas_f64 v[14:15], v[14:15], v[70:71], v[78:79]
	v_mad_u64_u32 v[70:71], null, 0xffffff76, s1, v[0:1]
	v_mov_b32_e32 v71, v1
	v_lshlrev_b64 v[74:75], 3, v[70:71]
	v_add_nc_u32_e32 v0, s1, v70
	s_delay_alu instid0(VALU_DEP_2) | instskip(NEXT) | instid1(VALU_DEP_3)
	v_add_co_u32 v74, vcc_lo, s2, v74
	v_add_co_ci_u32_e32 v75, vcc_lo, s3, v75, vcc_lo
	v_div_fixup_f64 v[14:15], v[14:15], v[106:107], 1.0
	s_delay_alu instid0(VALU_DEP_1) | instskip(SKIP_4) | instid1(VALU_DEP_2)
	v_mul_f64 v[8:9], v[14:15], v[8:9]
	v_mul_f64 v[6:7], v[6:7], v[14:15]
	global_store_b64 v[74:75], v[8:9], off
	v_lshlrev_b64 v[8:9], 3, v[0:1]
	v_add_nc_u32_e32 v0, s8, v0
	v_add_co_u32 v8, vcc_lo, s2, v8
	s_delay_alu instid0(VALU_DEP_3)
	v_add_co_ci_u32_e32 v9, vcc_lo, s3, v9, vcc_lo
	global_store_b64 v[8:9], v[6:7], off
	v_add_co_u32 v6, vcc_lo, s4, v80
	v_add_co_ci_u32_e32 v7, vcc_lo, s5, v81, vcc_lo
	v_add_co_u32 v8, vcc_lo, s4, v90
	v_add_co_ci_u32_e32 v9, vcc_lo, s5, v91, vcc_lo
	global_load_b64 v[6:7], v[6:7], off
	v_add_co_u32 v70, vcc_lo, s4, v48
	global_load_b64 v[8:9], v[8:9], off
	v_add_co_ci_u32_e32 v71, vcc_lo, s5, v49, vcc_lo
	global_load_b64 v[78:79], v[70:71], off
	v_add_co_u32 v70, vcc_lo, s4, v50
	v_add_co_ci_u32_e32 v71, vcc_lo, s5, v51, vcc_lo
	global_load_b64 v[90:91], v[70:71], off
	v_lshlrev_b64 v[70:71], 3, v[0:1]
	v_add_nc_u32_e32 v0, s1, v0
	s_delay_alu instid0(VALU_DEP_2) | instskip(NEXT) | instid1(VALU_DEP_3)
	v_add_co_u32 v70, vcc_lo, s2, v70
	v_add_co_ci_u32_e32 v71, vcc_lo, s3, v71, vcc_lo
	v_add_co_u32 v100, vcc_lo, s6, v72
	v_add_co_ci_u32_e32 v101, vcc_lo, s7, v73, vcc_lo
	v_add_co_u32 v106, vcc_lo, s6, v42
	v_add_co_ci_u32_e32 v107, vcc_lo, s7, v43, vcc_lo
	s_waitcnt vmcnt(2)
	v_add_f64 v[60:61], v[6:7], v[8:9]
	v_add_f64 v[6:7], v[28:29], v[6:7]
	s_waitcnt vmcnt(1)
	s_delay_alu instid0(VALU_DEP_2) | instskip(SKIP_1) | instid1(VALU_DEP_1)
	v_add_f64 v[60:61], v[60:61], v[78:79]
	s_waitcnt vmcnt(0)
	v_add_f64 v[60:61], v[60:61], v[90:91]
	s_delay_alu instid0(VALU_DEP_1)
	v_mul_f64 v[60:61], v[14:15], v[60:61]
	global_store_b64 v[70:71], v[60:61], off
	s_clause 0x1
	global_load_b64 v[60:61], v[100:101], off
	global_load_b64 v[70:71], v[106:107], off
	s_waitcnt vmcnt(0)
	v_add_f64 v[60:61], v[60:61], v[70:71]
	v_lshlrev_b64 v[70:71], 3, v[0:1]
	v_add_nc_u32_e32 v0, s8, v0
	s_delay_alu instid0(VALU_DEP_2) | instskip(NEXT) | instid1(VALU_DEP_3)
	v_add_co_u32 v70, vcc_lo, s2, v70
	v_add_co_ci_u32_e32 v71, vcc_lo, s3, v71, vcc_lo
	v_add_co_u32 v74, vcc_lo, s4, v102
	v_add_co_ci_u32_e32 v75, vcc_lo, s5, v103, vcc_lo
	;; [unrolled: 2-line block ×3, first 2 shown]
	v_mul_f64 v[60:61], v[14:15], v[60:61]
	global_store_b64 v[70:71], v[60:61], off
	s_clause 0x1
	global_load_b64 v[60:61], v[74:75], off
	global_load_b64 v[70:71], v[72:73], off
	s_waitcnt vmcnt(0)
	v_add_f64 v[60:61], v[60:61], v[70:71]
	v_lshlrev_b64 v[70:71], 3, v[0:1]
	v_add_nc_u32_e32 v0, s1, v0
	s_delay_alu instid0(VALU_DEP_2) | instskip(NEXT) | instid1(VALU_DEP_3)
	v_add_co_u32 v70, vcc_lo, s2, v70
	v_add_co_ci_u32_e32 v71, vcc_lo, s3, v71, vcc_lo
	v_mul_f64 v[60:61], v[14:15], v[60:61]
	global_store_b64 v[70:71], v[60:61], off
	v_add_co_u32 v60, vcc_lo, s6, v76
	v_add_co_ci_u32_e32 v61, vcc_lo, s7, v77, vcc_lo
	global_load_b64 v[70:71], v[60:61], off
	s_waitcnt vmcnt(0)
	v_mul_f64 v[14:15], v[14:15], v[70:71]
	v_lshlrev_b64 v[70:71], 3, v[0:1]
	v_lshl_add_u32 v0, s1, 5, v0
	s_delay_alu instid0(VALU_DEP_2) | instskip(NEXT) | instid1(VALU_DEP_2)
	v_add_co_u32 v70, vcc_lo, s2, v70
	v_lshlrev_b64 v[98:99], 3, v[0:1]
	s_delay_alu instid0(VALU_DEP_4) | instskip(SKIP_1) | instid1(VALU_DEP_1)
	v_add_co_ci_u32_e32 v71, vcc_lo, s3, v71, vcc_lo
	v_add_nc_u32_e32 v0, s1, v0
	v_lshlrev_b64 v[102:103], 3, v[0:1]
	v_add_nc_u32_e32 v0, s1, v0
	s_delay_alu instid0(VALU_DEP_1) | instskip(SKIP_1) | instid1(VALU_DEP_1)
	v_lshlrev_b64 v[108:109], 3, v[0:1]
	v_add_nc_u32_e32 v0, s1, v0
	v_lshlrev_b64 v[110:111], 3, v[0:1]
	v_add_nc_u32_e32 v0, s1, v0
	s_delay_alu instid0(VALU_DEP_1)
	v_lshlrev_b64 v[112:113], 3, v[0:1]
	v_add_nc_u32_e32 v0, s1, v0
	global_store_b64 v[70:71], v[14:15], off
	v_add_co_u32 v14, vcc_lo, s4, v98
	v_add_co_ci_u32_e32 v15, vcc_lo, s5, v99, vcc_lo
	v_add_co_u32 v80, vcc_lo, s4, v102
	v_add_co_ci_u32_e32 v81, vcc_lo, s5, v103, vcc_lo
	global_load_b64 v[14:15], v[14:15], off
	v_lshlrev_b64 v[70:71], 3, v[0:1]
	v_add_nc_u32_e32 v0, s13, v0
	s_waitcnt vmcnt(0)
	v_add_f64 v[6:7], v[6:7], v[14:15]
	global_load_b64 v[14:15], v[80:81], off
	s_waitcnt vmcnt(0)
	v_add_f64 v[6:7], v[6:7], v[14:15]
	v_add_co_u32 v14, vcc_lo, s4, v108
	v_add_co_ci_u32_e32 v15, vcc_lo, s5, v109, vcc_lo
	global_load_b64 v[14:15], v[14:15], off
	s_waitcnt vmcnt(0)
	v_add_f64 v[6:7], v[6:7], v[14:15]
	v_add_co_u32 v14, vcc_lo, s4, v110
	v_add_co_ci_u32_e32 v15, vcc_lo, s5, v111, vcc_lo
	;; [unrolled: 5-line block ×4, first 2 shown]
	global_load_b64 v[14:15], v[14:15], off
	s_waitcnt vmcnt(0)
	v_add_f64 v[6:7], v[6:7], v[14:15]
	v_mad_u64_u32 v[14:15], null, s1, 22, v[0:1]
	v_mov_b32_e32 v15, v1
	s_delay_alu instid0(VALU_DEP_3) | instskip(NEXT) | instid1(VALU_DEP_1)
	v_add_f64 v[6:7], v[6:7], v[8:9]
	v_add_f64 v[6:7], v[6:7], v[78:79]
	s_delay_alu instid0(VALU_DEP_1) | instskip(SKIP_2) | instid1(VALU_DEP_2)
	v_add_f64 v[6:7], v[6:7], v[90:91]
	v_lshlrev_b64 v[90:91], 3, v[0:1]
	v_add_nc_u32_e32 v0, s11, v14
	v_add_co_u32 v8, vcc_lo, s4, v90
	s_delay_alu instid0(VALU_DEP_3) | instskip(NEXT) | instid1(VALU_DEP_3)
	v_add_co_ci_u32_e32 v9, vcc_lo, s5, v91, vcc_lo
	v_lshlrev_b64 v[114:115], 3, v[0:1]
	global_load_b64 v[8:9], v[8:9], off
	s_waitcnt vmcnt(0)
	v_add_f64 v[8:9], v[6:7], v[8:9]
	v_lshlrev_b64 v[6:7], 3, v[14:15]
	s_delay_alu instid0(VALU_DEP_1) | instskip(NEXT) | instid1(VALU_DEP_2)
	v_add_co_u32 v28, vcc_lo, s4, v6
	v_add_co_ci_u32_e32 v29, vcc_lo, s5, v7, vcc_lo
	v_add_co_u32 v14, vcc_lo, s4, v114
	v_add_co_ci_u32_e32 v15, vcc_lo, s5, v115, vcc_lo
	s_clause 0x1
	global_load_b64 v[28:29], v[28:29], off
	global_load_b64 v[14:15], v[14:15], off
	s_waitcnt vmcnt(1)
	v_add_f64 v[8:9], v[8:9], v[28:29]
	s_waitcnt vmcnt(0)
	s_delay_alu instid0(VALU_DEP_1) | instskip(SKIP_2) | instid1(VALU_DEP_1)
	v_add_f64 v[8:9], v[8:9], v[14:15]
	v_mad_u64_u32 v[14:15], null, s1, 59, v[0:1]
	v_mov_b32_e32 v15, v1
	v_lshlrev_b64 v[116:117], 3, v[14:15]
	v_add_nc_u32_e32 v0, s1, v14
	s_delay_alu instid0(VALU_DEP_2) | instskip(NEXT) | instid1(VALU_DEP_3)
	v_add_co_u32 v76, vcc_lo, s4, v116
	v_add_co_ci_u32_e32 v77, vcc_lo, s5, v117, vcc_lo
	s_delay_alu instid0(VALU_DEP_3)
	v_lshlrev_b64 v[118:119], 3, v[0:1]
	v_lshl_add_u32 v0, s1, 4, v0
	global_load_b64 v[28:29], v[76:77], off
	v_add_co_u32 v14, vcc_lo, s4, v118
	v_add_co_ci_u32_e32 v15, vcc_lo, s5, v119, vcc_lo
	v_lshlrev_b64 v[120:121], 3, v[0:1]
	v_mad_u64_u32 v[78:79], null, 0xffffff9a, s1, v[0:1]
	global_load_b64 v[14:15], v[14:15], off
	v_dual_mov_b32 v79, v1 :: v_dual_add_nc_u32 v0, s16, v78
	s_waitcnt vmcnt(1)
	v_add_f64 v[8:9], v[8:9], v[28:29]
	s_waitcnt vmcnt(0)
	s_delay_alu instid0(VALU_DEP_1)
	v_add_f64 v[8:9], v[8:9], v[14:15]
	v_add_co_u32 v14, vcc_lo, s4, v120
	v_add_co_ci_u32_e32 v15, vcc_lo, s5, v121, vcc_lo
	global_load_b64 v[28:29], v[14:15], off
	s_waitcnt vmcnt(0)
	v_add_f64 v[8:9], v[8:9], v[28:29]
	v_lshlrev_b64 v[28:29], 3, v[78:79]
	s_delay_alu instid0(VALU_DEP_1) | instskip(NEXT) | instid1(VALU_DEP_2)
	v_add_co_u32 v122, vcc_lo, s6, v28
	v_add_co_ci_u32_e32 v123, vcc_lo, s7, v29, vcc_lo
	global_load_b64 v[122:123], v[122:123], off
	s_waitcnt vmcnt(0)
	v_add_f64 v[122:123], v[8:9], v[122:123]
	v_lshlrev_b64 v[8:9], 3, v[0:1]
	v_add_nc_u32_e32 v0, s18, v0
	s_delay_alu instid0(VALU_DEP_2) | instskip(NEXT) | instid1(VALU_DEP_3)
	v_add_co_u32 v78, vcc_lo, s6, v8
	v_add_co_ci_u32_e32 v79, vcc_lo, s7, v9, vcc_lo
	global_load_b64 v[124:125], v[78:79], off
	s_waitcnt vmcnt(0)
	v_add_f64 v[122:123], v[122:123], v[124:125]
	v_lshlrev_b64 v[124:125], 3, v[0:1]
	s_delay_alu instid0(VALU_DEP_1) | instskip(NEXT) | instid1(VALU_DEP_2)
	v_add_co_u32 v126, vcc_lo, s6, v124
	v_add_co_ci_u32_e32 v127, vcc_lo, s7, v125, vcc_lo
	v_add_co_u32 v98, vcc_lo, s6, v98
	v_add_co_ci_u32_e32 v99, vcc_lo, s7, v99, vcc_lo
	;; [unrolled: 2-line block ×3, first 2 shown]
	s_clause 0x2
	global_load_b64 v[98:99], v[98:99], off
	global_load_b64 v[126:127], v[126:127], off
	;; [unrolled: 1-line block ×3, first 2 shown]
	s_waitcnt vmcnt(0)
	v_add_f64 v[98:99], v[98:99], v[108:109]
	v_add_co_u32 v108, vcc_lo, s6, v110
	v_add_co_ci_u32_e32 v109, vcc_lo, s7, v111, vcc_lo
	global_load_b64 v[108:109], v[108:109], off
	s_waitcnt vmcnt(0)
	v_add_f64 v[98:99], v[98:99], v[108:109]
	v_add_co_u32 v108, vcc_lo, s6, v112
	v_add_co_ci_u32_e32 v109, vcc_lo, s7, v113, vcc_lo
	global_load_b64 v[108:109], v[108:109], off
	s_waitcnt vmcnt(0)
	v_add_f64 v[98:99], v[98:99], v[108:109]
	v_add_co_u32 v108, vcc_lo, s6, v70
	v_add_co_ci_u32_e32 v109, vcc_lo, s7, v71, vcc_lo
	v_add_co_u32 v90, vcc_lo, s6, v90
	v_add_co_ci_u32_e32 v91, vcc_lo, s7, v91, vcc_lo
	s_clause 0x1
	global_load_b64 v[108:109], v[108:109], off
	global_load_b64 v[90:91], v[90:91], off
	s_waitcnt vmcnt(1)
	v_add_f64 v[98:99], v[98:99], v[108:109]
	s_waitcnt vmcnt(0)
	s_delay_alu instid0(VALU_DEP_1)
	v_add_f64 v[90:91], v[98:99], v[90:91]
	v_add_co_u32 v98, vcc_lo, s4, v28
	v_add_co_ci_u32_e32 v99, vcc_lo, s5, v29, vcc_lo
	global_load_b64 v[98:99], v[98:99], off
	s_waitcnt vmcnt(0)
	v_add_f64 v[90:91], v[90:91], v[98:99]
	v_add_co_u32 v98, vcc_lo, s6, v6
	v_add_co_ci_u32_e32 v99, vcc_lo, s7, v7, vcc_lo
	global_load_b64 v[98:99], v[98:99], off
	v_add_f64 v[122:123], v[122:123], v[126:127]
	s_waitcnt vmcnt(0)
	v_add_f64 v[90:91], v[90:91], v[98:99]
	v_add_co_u32 v98, vcc_lo, s6, v114
	v_add_co_ci_u32_e32 v99, vcc_lo, s7, v115, vcc_lo
	global_load_b64 v[98:99], v[98:99], off
	s_waitcnt vmcnt(0)
	v_add_f64 v[90:91], v[90:91], v[98:99]
	v_add_co_u32 v98, vcc_lo, s4, v124
	v_add_co_ci_u32_e32 v99, vcc_lo, s5, v125, vcc_lo
	global_load_b64 v[98:99], v[98:99], off
	;; [unrolled: 5-line block ×3, first 2 shown]
	s_waitcnt vmcnt(0)
	v_add_f64 v[90:91], v[90:91], v[98:99]
	v_div_scale_f64 v[98:99], null, v[122:123], v[122:123], 1.0
	s_delay_alu instid0(VALU_DEP_1) | instskip(SKIP_2) | instid1(VALU_DEP_1)
	v_rcp_f64_e32 v[108:109], v[98:99]
	s_waitcnt_depctr 0xfff
	v_fma_f64 v[110:111], -v[98:99], v[108:109], 1.0
	v_fma_f64 v[108:109], v[108:109], v[110:111], v[108:109]
	s_delay_alu instid0(VALU_DEP_1) | instskip(NEXT) | instid1(VALU_DEP_1)
	v_fma_f64 v[110:111], -v[98:99], v[108:109], 1.0
	v_fma_f64 v[108:109], v[108:109], v[110:111], v[108:109]
	v_div_scale_f64 v[110:111], vcc_lo, 1.0, v[122:123], 1.0
	s_delay_alu instid0(VALU_DEP_1) | instskip(NEXT) | instid1(VALU_DEP_1)
	v_mul_f64 v[112:113], v[110:111], v[108:109]
	v_fma_f64 v[98:99], -v[98:99], v[112:113], v[110:111]
	s_delay_alu instid0(VALU_DEP_1) | instskip(SKIP_2) | instid1(VALU_DEP_1)
	v_div_fmas_f64 v[98:99], v[98:99], v[108:109], v[112:113]
	v_mad_u64_u32 v[108:109], null, 0xffffffb5, s1, v[0:1]
	v_mov_b32_e32 v109, v1
	v_lshlrev_b64 v[109:110], 3, v[108:109]
	v_add_nc_u32_e32 v0, s0, v108
	s_delay_alu instid0(VALU_DEP_2) | instskip(NEXT) | instid1(VALU_DEP_3)
	v_add_co_u32 v109, vcc_lo, s2, v109
	v_add_co_ci_u32_e32 v110, vcc_lo, s3, v110, vcc_lo
	v_add_co_u32 v4, vcc_lo, s2, v4
	v_add_co_ci_u32_e32 v5, vcc_lo, s3, v5, vcc_lo
	;; [unrolled: 2-line block ×3, first 2 shown]
	v_div_fixup_f64 v[98:99], v[98:99], v[122:123], 1.0
	s_delay_alu instid0(VALU_DEP_1)
	v_mul_f64 v[90:91], v[98:99], v[90:91]
	v_mul_f64 v[82:83], v[98:99], v[82:83]
	s_clause 0x1
	global_store_b64 v[109:110], v[90:91], off
	global_store_b64 v[4:5], v[82:83], off
	s_clause 0x1
	global_load_b64 v[4:5], v[88:89], off
	global_load_b64 v[82:83], v[92:93], off
	v_lshlrev_b64 v[108:109], 3, v[0:1]
	v_add_nc_u32_e32 v0, s1, v0
	s_clause 0x1
	global_load_b64 v[38:39], v[38:39], off
	global_load_b64 v[84:85], v[84:85], off
	v_lshlrev_b64 v[110:111], 3, v[0:1]
	v_add_nc_u32_e32 v0, s1, v0
	s_delay_alu instid0(VALU_DEP_1) | instskip(SKIP_1) | instid1(VALU_DEP_1)
	v_lshlrev_b64 v[112:113], 3, v[0:1]
	v_add_nc_u32_e32 v0, s1, v0
	v_lshlrev_b64 v[114:115], 3, v[0:1]
	v_add_nc_u32_e32 v0, s1, v0
	s_delay_alu instid0(VALU_DEP_1) | instskip(SKIP_1) | instid1(VALU_DEP_1)
	v_lshlrev_b64 v[92:93], 3, v[0:1]
	v_add_nc_u32_e32 v0, s1, v0
	v_lshlrev_b64 v[90:91], 3, v[0:1]
	v_add_nc_u32_e32 v0, s1, v0
	s_waitcnt vmcnt(2)
	v_add_f64 v[4:5], v[4:5], v[82:83]
	global_load_b64 v[82:83], v[94:95], off
	v_lshlrev_b64 v[94:95], 3, v[0:1]
	s_waitcnt vmcnt(0)
	v_add_f64 v[4:5], v[4:5], v[82:83]
	global_load_b64 v[82:83], v[96:97], off
	s_waitcnt vmcnt(0)
	v_add_f64 v[4:5], v[4:5], v[82:83]
	s_delay_alu instid0(VALU_DEP_1)
	v_mul_f64 v[4:5], v[98:99], v[4:5]
	global_store_b64 v[10:11], v[4:5], off
	v_add_co_u32 v4, vcc_lo, s6, v102
	v_add_co_ci_u32_e32 v5, vcc_lo, s7, v103, vcc_lo
	v_add_co_u32 v26, vcc_lo, s2, v26
	v_add_co_ci_u32_e32 v27, vcc_lo, s3, v27, vcc_lo
	global_load_b64 v[4:5], v[4:5], off
	v_add_co_u32 v88, vcc_lo, s4, v8
	v_add_co_ci_u32_e32 v89, vcc_lo, s5, v9, vcc_lo
	s_waitcnt vmcnt(0)
	v_mul_f64 v[10:11], v[98:99], v[4:5]
	global_store_b64 v[26:27], v[10:11], off
	global_load_b64 v[10:11], v[88:89], off
	v_add_co_u32 v26, vcc_lo, s2, v30
	v_add_co_ci_u32_e32 v27, vcc_lo, s3, v31, vcc_lo
	v_add_co_u32 v82, vcc_lo, s6, v116
	v_add_co_ci_u32_e32 v83, vcc_lo, s7, v117, vcc_lo
	s_waitcnt vmcnt(0)
	v_mul_f64 v[10:11], v[98:99], v[10:11]
	global_store_b64 v[26:27], v[10:11], off
	global_load_b64 v[10:11], v[82:83], off
	v_add_co_u32 v26, vcc_lo, s2, v36
	v_add_co_ci_u32_e32 v27, vcc_lo, s3, v37, vcc_lo
	v_add_co_u32 v30, vcc_lo, s6, v120
	v_add_co_ci_u32_e32 v31, vcc_lo, s7, v121, vcc_lo
	v_mad_u64_u32 v[36:37], null, s1, 41, v[0:1]
	s_delay_alu instid0(VALU_DEP_1) | instskip(NEXT) | instid1(VALU_DEP_1)
	v_dual_mov_b32 v37, v1 :: v_dual_add_nc_u32 v0, s1, v36
	v_lshlrev_b64 v[116:117], 3, v[0:1]
	v_add_nc_u32_e32 v0, s17, v0
	s_delay_alu instid0(VALU_DEP_1)
	v_mad_u64_u32 v[118:119], null, s1, 44, v[0:1]
	v_mov_b32_e32 v119, v1
	s_waitcnt vmcnt(0)
	v_mul_f64 v[10:11], v[98:99], v[10:11]
	global_store_b64 v[26:27], v[10:11], off
	global_load_b64 v[10:11], v[30:31], off
	v_add_co_u32 v26, vcc_lo, s2, v108
	v_add_co_ci_u32_e32 v27, vcc_lo, s3, v109, vcc_lo
	s_waitcnt vmcnt(0)
	v_mul_f64 v[10:11], v[98:99], v[10:11]
	v_lshlrev_b64 v[98:99], 3, v[0:1]
	global_store_b64 v[26:27], v[10:11], off
	v_add_co_u32 v10, vcc_lo, s4, v108
	v_add_co_ci_u32_e32 v11, vcc_lo, s5, v109, vcc_lo
	v_add_co_u32 v26, vcc_lo, s4, v110
	v_add_co_ci_u32_e32 v27, vcc_lo, s5, v111, vcc_lo
	s_clause 0x1
	global_load_b64 v[10:11], v[10:11], off
	global_load_b64 v[26:27], v[26:27], off
	s_waitcnt vmcnt(0)
	v_add_f64 v[10:11], v[10:11], v[26:27]
	v_add_co_u32 v26, vcc_lo, s4, v112
	v_add_co_ci_u32_e32 v27, vcc_lo, s5, v113, vcc_lo
	global_load_b64 v[26:27], v[26:27], off
	s_waitcnt vmcnt(0)
	v_add_f64 v[10:11], v[10:11], v[26:27]
	v_add_co_u32 v26, vcc_lo, s4, v114
	v_add_co_ci_u32_e32 v27, vcc_lo, s5, v115, vcc_lo
	;; [unrolled: 5-line block ×5, first 2 shown]
	global_load_b64 v[26:27], v[26:27], off
	s_waitcnt vmcnt(0)
	v_add_f64 v[10:11], v[10:11], v[26:27]
	v_lshlrev_b64 v[26:27], 3, v[36:37]
	s_delay_alu instid0(VALU_DEP_1) | instskip(NEXT) | instid1(VALU_DEP_2)
	v_add_co_u32 v96, vcc_lo, s4, v26
	v_add_co_ci_u32_e32 v97, vcc_lo, s5, v27, vcc_lo
	v_add_co_u32 v36, vcc_lo, s4, v116
	v_add_co_ci_u32_e32 v37, vcc_lo, s5, v117, vcc_lo
	s_clause 0x1
	global_load_b64 v[96:97], v[96:97], off
	global_load_b64 v[36:37], v[36:37], off
	s_waitcnt vmcnt(1)
	v_add_f64 v[10:11], v[10:11], v[96:97]
	s_waitcnt vmcnt(0)
	s_delay_alu instid0(VALU_DEP_1)
	v_add_f64 v[10:11], v[10:11], v[36:37]
	v_add_co_u32 v36, vcc_lo, s4, v98
	v_add_co_ci_u32_e32 v37, vcc_lo, s5, v99, vcc_lo
	global_load_b64 v[96:97], v[36:37], off
	s_waitcnt vmcnt(0)
	v_add_f64 v[102:103], v[10:11], v[96:97]
	v_lshlrev_b64 v[96:97], 3, v[118:119]
	s_delay_alu instid0(VALU_DEP_1) | instskip(NEXT) | instid1(VALU_DEP_2)
	v_add_co_u32 v10, vcc_lo, s4, v96
	v_add_co_ci_u32_e32 v11, vcc_lo, s5, v97, vcc_lo
	global_load_b64 v[119:120], v[10:11], off
	s_waitcnt vmcnt(0)
	v_add_f64 v[102:103], v[102:103], v[119:120]
	v_mad_u64_u32 v[119:120], null, s1, 25, v[118:119]
	v_mov_b32_e32 v120, v1
	s_delay_alu instid0(VALU_DEP_1) | instskip(NEXT) | instid1(VALU_DEP_1)
	v_lshlrev_b64 v[120:121], 3, v[119:120]
	v_add_co_u32 v122, vcc_lo, s4, v120
	s_delay_alu instid0(VALU_DEP_2) | instskip(SKIP_3) | instid1(VALU_DEP_1)
	v_add_co_ci_u32_e32 v123, vcc_lo, s5, v121, vcc_lo
	global_load_b64 v[122:123], v[122:123], off
	s_waitcnt vmcnt(0)
	v_add_f64 v[102:103], v[102:103], v[122:123]
	v_add_f64 v[38:39], v[102:103], v[38:39]
	s_delay_alu instid0(VALU_DEP_1)
	v_add_f64 v[38:39], v[38:39], v[84:85]
	global_load_b64 v[84:85], v[86:87], off
	s_waitcnt vmcnt(0)
	v_add_f64 v[38:39], v[38:39], v[84:85]
	global_load_b64 v[84:85], v[100:101], off
	s_waitcnt vmcnt(0)
	;; [unrolled: 3-line block ×3, first 2 shown]
	v_add_f64 v[38:39], v[38:39], v[84:85]
	s_delay_alu instid0(VALU_DEP_1) | instskip(SKIP_2) | instid1(VALU_DEP_1)
	v_add_f64 v[4:5], v[38:39], v[4:5]
	v_mad_u64_u32 v[38:39], null, 0xffffff8b, s1, v[119:120]
	v_mov_b32_e32 v39, v1
	v_lshlrev_b64 v[84:85], 3, v[38:39]
	v_add_nc_u32_e32 v0, s1, v38
	s_delay_alu instid0(VALU_DEP_2) | instskip(NEXT) | instid1(VALU_DEP_3)
	v_add_co_u32 v86, vcc_lo, s6, v84
	v_add_co_ci_u32_e32 v87, vcc_lo, s7, v85, vcc_lo
	global_load_b64 v[86:87], v[86:87], off
	s_waitcnt vmcnt(0)
	v_add_f64 v[4:5], v[4:5], v[86:87]
	v_lshlrev_b64 v[86:87], 3, v[0:1]
	v_add_nc_u32_e32 v0, s1, v0
	s_delay_alu instid0(VALU_DEP_2) | instskip(NEXT) | instid1(VALU_DEP_3)
	v_add_co_u32 v38, vcc_lo, s6, v86
	v_add_co_ci_u32_e32 v39, vcc_lo, s7, v87, vcc_lo
	s_delay_alu instid0(VALU_DEP_3) | instskip(SKIP_4) | instid1(VALU_DEP_1)
	v_lshlrev_b64 v[106:107], 3, v[0:1]
	v_add_nc_u32_e32 v0, s1, v0
	global_load_b64 v[38:39], v[38:39], off
	v_lshlrev_b64 v[118:119], 3, v[0:1]
	v_add_nc_u32_e32 v0, s1, v0
	v_lshlrev_b64 v[122:123], 3, v[0:1]
	s_waitcnt vmcnt(0)
	v_add_f64 v[4:5], v[4:5], v[38:39]
	v_add_co_u32 v38, vcc_lo, s6, v106
	v_add_co_ci_u32_e32 v39, vcc_lo, s7, v107, vcc_lo
	global_load_b64 v[38:39], v[38:39], off
	s_waitcnt vmcnt(0)
	v_add_f64 v[4:5], v[4:5], v[38:39]
	v_add_co_u32 v38, vcc_lo, s6, v118
	v_add_co_ci_u32_e32 v39, vcc_lo, s7, v119, vcc_lo
	global_load_b64 v[38:39], v[38:39], off
	;; [unrolled: 5-line block ×3, first 2 shown]
	s_waitcnt vmcnt(0)
	v_add_f64 v[4:5], v[4:5], v[38:39]
	v_mad_u64_u32 v[38:39], null, s1, 14, v[0:1]
	v_mov_b32_e32 v39, v1
	s_delay_alu instid0(VALU_DEP_1) | instskip(NEXT) | instid1(VALU_DEP_1)
	v_lshlrev_b64 v[124:125], 3, v[38:39]
	v_add_co_u32 v100, vcc_lo, s6, v124
	s_delay_alu instid0(VALU_DEP_2)
	v_add_co_ci_u32_e32 v101, vcc_lo, s7, v125, vcc_lo
	global_load_b64 v[100:101], v[100:101], off
	s_waitcnt vmcnt(0)
	v_add_f64 v[4:5], v[4:5], v[100:101]
	v_mad_u64_u32 v[100:101], null, s1, 50, v[38:39]
	v_mov_b32_e32 v101, v1
	s_delay_alu instid0(VALU_DEP_1) | instskip(SKIP_2) | instid1(VALU_DEP_3)
	v_lshlrev_b64 v[102:103], 3, v[100:101]
	v_mad_u64_u32 v[128:129], null, s1, 9, v[100:101]
	v_mov_b32_e32 v129, v1
	v_add_co_u32 v38, vcc_lo, s6, v102
	s_delay_alu instid0(VALU_DEP_4) | instskip(NEXT) | instid1(VALU_DEP_3)
	v_add_co_ci_u32_e32 v39, vcc_lo, s7, v103, vcc_lo
	v_lshlrev_b64 v[100:101], 3, v[128:129]
	v_add_nc_u32_e32 v0, s18, v128
	s_mul_i32 s18, s1, 20
	global_load_b64 v[126:127], v[38:39], off
	s_waitcnt vmcnt(0)
	v_add_f64 v[126:127], v[4:5], v[126:127]
	v_add_co_u32 v4, vcc_lo, s6, v100
	v_add_co_ci_u32_e32 v5, vcc_lo, s7, v101, vcc_lo
	global_load_b64 v[129:130], v[4:5], off
	s_waitcnt vmcnt(0)
	v_add_f64 v[126:127], v[126:127], v[129:130]
	v_lshlrev_b64 v[128:129], 3, v[0:1]
	s_delay_alu instid0(VALU_DEP_1) | instskip(NEXT) | instid1(VALU_DEP_2)
	v_add_co_u32 v130, vcc_lo, s6, v128
	v_add_co_ci_u32_e32 v131, vcc_lo, s7, v129, vcc_lo
	v_add_co_u32 v108, vcc_lo, s6, v108
	v_add_co_ci_u32_e32 v109, vcc_lo, s7, v109, vcc_lo
	;; [unrolled: 2-line block ×3, first 2 shown]
	s_clause 0x2
	global_load_b64 v[108:109], v[108:109], off
	global_load_b64 v[130:131], v[130:131], off
	;; [unrolled: 1-line block ×3, first 2 shown]
	s_waitcnt vmcnt(0)
	v_add_f64 v[108:109], v[108:109], v[110:111]
	v_add_co_u32 v110, vcc_lo, s6, v112
	v_add_co_ci_u32_e32 v111, vcc_lo, s7, v113, vcc_lo
	global_load_b64 v[110:111], v[110:111], off
	s_waitcnt vmcnt(0)
	v_add_f64 v[108:109], v[108:109], v[110:111]
	v_add_co_u32 v110, vcc_lo, s6, v114
	v_add_co_ci_u32_e32 v111, vcc_lo, s7, v115, vcc_lo
	global_load_b64 v[110:111], v[110:111], off
	;; [unrolled: 5-line block ×4, first 2 shown]
	s_waitcnt vmcnt(0)
	v_add_f64 v[108:109], v[108:109], v[110:111]
	v_add_co_u32 v110, vcc_lo, s6, v94
	v_add_co_ci_u32_e32 v111, vcc_lo, s7, v95, vcc_lo
	v_add_co_u32 v84, vcc_lo, s4, v84
	v_add_co_ci_u32_e32 v85, vcc_lo, s5, v85, vcc_lo
	global_load_b64 v[110:111], v[110:111], off
	global_load_b64 v[84:85], v[84:85], off
	s_waitcnt vmcnt(1)
	v_add_f64 v[108:109], v[108:109], v[110:111]
	s_waitcnt vmcnt(0)
	s_delay_alu instid0(VALU_DEP_1)
	v_add_f64 v[84:85], v[108:109], v[84:85]
	v_add_co_u32 v108, vcc_lo, s4, v86
	v_add_co_ci_u32_e32 v109, vcc_lo, s5, v87, vcc_lo
	v_add_co_u32 v106, vcc_lo, s4, v106
	v_add_co_ci_u32_e32 v107, vcc_lo, s5, v107, vcc_lo
	s_clause 0x1
	global_load_b64 v[108:109], v[108:109], off
	global_load_b64 v[106:107], v[106:107], off
	s_waitcnt vmcnt(1)
	v_add_f64 v[84:85], v[84:85], v[108:109]
	s_waitcnt vmcnt(0)
	s_delay_alu instid0(VALU_DEP_1)
	v_add_f64 v[84:85], v[84:85], v[106:107]
	v_add_co_u32 v106, vcc_lo, s4, v118
	v_add_co_ci_u32_e32 v107, vcc_lo, s5, v119, vcc_lo
	global_load_b64 v[106:107], v[106:107], off
	s_waitcnt vmcnt(0)
	v_add_f64 v[84:85], v[84:85], v[106:107]
	v_add_co_u32 v106, vcc_lo, s4, v122
	v_add_co_ci_u32_e32 v107, vcc_lo, s5, v123, vcc_lo
	global_load_b64 v[106:107], v[106:107], off
	s_waitcnt vmcnt(0)
	v_add_f64 v[84:85], v[84:85], v[106:107]
	v_add_co_u32 v106, vcc_lo, s6, v26
	v_add_co_ci_u32_e32 v107, vcc_lo, s7, v27, vcc_lo
	global_load_b64 v[106:107], v[106:107], off
	s_waitcnt vmcnt(0)
	v_add_f64 v[84:85], v[84:85], v[106:107]
	v_add_co_u32 v106, vcc_lo, s6, v116
	v_add_co_ci_u32_e32 v107, vcc_lo, s7, v117, vcc_lo
	global_load_b64 v[106:107], v[106:107], off
	s_waitcnt vmcnt(0)
	v_add_f64 v[84:85], v[84:85], v[106:107]
	v_add_co_u32 v106, vcc_lo, s4, v124
	v_add_co_ci_u32_e32 v107, vcc_lo, s5, v125, vcc_lo
	global_load_b64 v[106:107], v[106:107], off
	s_waitcnt vmcnt(0)
	v_add_f64 v[106:107], v[84:85], v[106:107]
	v_add_co_u32 v84, vcc_lo, s6, v34
	v_add_co_ci_u32_e32 v85, vcc_lo, s7, v35, vcc_lo
	global_load_b64 v[34:35], v[84:85], off
	s_waitcnt vmcnt(0)
	v_add_f64 v[34:35], v[106:107], v[34:35]
	v_add_co_u32 v106, vcc_lo, s4, v128
	v_add_co_ci_u32_e32 v107, vcc_lo, s5, v129, vcc_lo
	global_load_b64 v[106:107], v[106:107], off
	s_waitcnt vmcnt(0)
	v_add_f64 v[106:107], v[34:35], v[106:107]
	v_add_co_u32 v34, vcc_lo, s6, v32
	v_add_co_ci_u32_e32 v35, vcc_lo, s7, v33, vcc_lo
	global_load_b64 v[32:33], v[34:35], off
	v_add_f64 v[126:127], v[126:127], v[130:131]
	s_waitcnt vmcnt(0)
	v_add_f64 v[32:33], v[106:107], v[32:33]
	v_add_co_u32 v106, vcc_lo, s6, v120
	v_add_co_ci_u32_e32 v107, vcc_lo, s7, v121, vcc_lo
	global_load_b64 v[106:107], v[106:107], off
	s_waitcnt vmcnt(0)
	v_add_f64 v[106:107], v[32:33], v[106:107]
	v_add_co_u32 v32, vcc_lo, s4, v104
	v_add_co_ci_u32_e32 v33, vcc_lo, s5, v105, vcc_lo
	global_load_b64 v[104:105], v[32:33], off
	s_waitcnt vmcnt(0)
	v_add_f64 v[106:107], v[106:107], v[104:105]
	v_div_scale_f64 v[104:105], null, v[126:127], v[126:127], 1.0
	s_delay_alu instid0(VALU_DEP_1) | instskip(SKIP_2) | instid1(VALU_DEP_1)
	v_rcp_f64_e32 v[108:109], v[104:105]
	s_waitcnt_depctr 0xfff
	v_fma_f64 v[110:111], -v[104:105], v[108:109], 1.0
	v_fma_f64 v[108:109], v[108:109], v[110:111], v[108:109]
	s_delay_alu instid0(VALU_DEP_1) | instskip(NEXT) | instid1(VALU_DEP_1)
	v_fma_f64 v[110:111], -v[104:105], v[108:109], 1.0
	v_fma_f64 v[108:109], v[108:109], v[110:111], v[108:109]
	v_div_scale_f64 v[110:111], vcc_lo, 1.0, v[126:127], 1.0
	s_delay_alu instid0(VALU_DEP_1) | instskip(NEXT) | instid1(VALU_DEP_1)
	v_mul_f64 v[112:113], v[110:111], v[108:109]
	v_fma_f64 v[104:105], -v[104:105], v[112:113], v[110:111]
	s_delay_alu instid0(VALU_DEP_1) | instskip(SKIP_2) | instid1(VALU_DEP_3)
	v_div_fmas_f64 v[104:105], v[104:105], v[108:109], v[112:113]
	v_add_co_u32 v108, vcc_lo, s2, v114
	v_add_co_ci_u32_e32 v109, vcc_lo, s3, v115, vcc_lo
	v_div_fixup_f64 v[104:105], v[104:105], v[126:127], 1.0
	s_delay_alu instid0(VALU_DEP_1)
	v_mul_f64 v[106:107], v[104:105], v[106:107]
	global_store_b64 v[108:109], v[106:107], off
	s_clause 0x2
	global_load_b64 v[18:19], v[18:19], off
	global_load_b64 v[24:25], v[24:25], off
	;; [unrolled: 1-line block ×3, first 2 shown]
	s_waitcnt vmcnt(1)
	v_add_f64 v[18:19], v[18:19], v[24:25]
	s_waitcnt vmcnt(0)
	s_delay_alu instid0(VALU_DEP_1) | instskip(SKIP_2) | instid1(VALU_DEP_3)
	v_add_f64 v[18:19], v[18:19], v[20:21]
	v_add_co_u32 v20, vcc_lo, s2, v92
	v_add_co_ci_u32_e32 v21, vcc_lo, s3, v93, vcc_lo
	v_mul_f64 v[18:19], v[104:105], v[18:19]
	global_store_b64 v[20:21], v[18:19], off
	s_clause 0x1
	global_load_b64 v[18:19], v[66:67], off
	global_load_b64 v[20:21], v[68:69], off
	s_waitcnt vmcnt(0)
	v_add_f64 v[18:19], v[18:19], v[20:21]
	v_add_co_u32 v20, vcc_lo, s2, v90
	v_add_co_ci_u32_e32 v21, vcc_lo, s3, v91, vcc_lo
	s_delay_alu instid0(VALU_DEP_3)
	v_mul_f64 v[18:19], v[104:105], v[18:19]
	global_store_b64 v[20:21], v[18:19], off
	global_load_b64 v[18:19], v[80:81], off
	v_add_co_u32 v20, vcc_lo, s2, v94
	v_add_co_ci_u32_e32 v21, vcc_lo, s3, v95, vcc_lo
	v_add_co_u32 v66, vcc_lo, s6, v98
	v_add_co_ci_u32_e32 v67, vcc_lo, s7, v99, vcc_lo
	;; [unrolled: 2-line block ×3, first 2 shown]
	s_waitcnt vmcnt(0)
	v_mul_f64 v[18:19], v[104:105], v[18:19]
	global_store_b64 v[20:21], v[18:19], off
	global_load_b64 v[18:19], v[66:67], off
	global_load_b64 v[20:21], v[68:69], off
	s_waitcnt vmcnt(0)
	v_add_f64 v[18:19], v[18:19], v[20:21]
	v_add_co_u32 v20, vcc_lo, s2, v42
	v_add_co_ci_u32_e32 v21, vcc_lo, s3, v43, vcc_lo
	v_add_co_u32 v42, vcc_lo, s6, v96
	v_add_co_ci_u32_e32 v43, vcc_lo, s7, v97, vcc_lo
	v_mul_f64 v[18:19], v[104:105], v[18:19]
	global_store_b64 v[20:21], v[18:19], off
	global_load_b64 v[18:19], v[42:43], off
	v_add_co_u32 v20, vcc_lo, s2, v64
	v_add_co_ci_u32_e32 v21, vcc_lo, s3, v65, vcc_lo
	v_add_co_u32 v24, vcc_lo, s4, v100
	v_add_co_ci_u32_e32 v25, vcc_lo, s5, v101, vcc_lo
	s_waitcnt vmcnt(0)
	v_mul_f64 v[18:19], v[104:105], v[18:19]
	global_store_b64 v[20:21], v[18:19], off
	global_load_b64 v[18:19], v[24:25], off
	v_add_co_u32 v20, vcc_lo, s2, v62
	v_add_co_ci_u32_e32 v21, vcc_lo, s3, v63, vcc_lo
	s_waitcnt vmcnt(0)
	v_mul_f64 v[18:19], v[104:105], v[18:19]
	global_store_b64 v[20:21], v[18:19], off
	v_mad_u64_u32 v[18:19], null, 0xffffffc1, s1, v[0:1]
	s_delay_alu instid0(VALU_DEP_1) | instskip(NEXT) | instid1(VALU_DEP_1)
	v_dual_mov_b32 v19, v1 :: v_dual_add_nc_u32 v0, s1, v18
	v_lshlrev_b64 v[62:63], 3, v[18:19]
	s_delay_alu instid0(VALU_DEP_2) | instskip(SKIP_1) | instid1(VALU_DEP_3)
	v_lshlrev_b64 v[64:65], 3, v[0:1]
	v_add_nc_u32_e32 v0, s8, v0
	v_add_co_u32 v19, vcc_lo, s4, v62
	s_delay_alu instid0(VALU_DEP_4) | instskip(NEXT) | instid1(VALU_DEP_4)
	v_add_co_ci_u32_e32 v20, vcc_lo, s5, v63, vcc_lo
	v_add_co_u32 v80, vcc_lo, s4, v64
	v_add_co_ci_u32_e32 v81, vcc_lo, s5, v65, vcc_lo
	s_clause 0x1
	global_load_b64 v[19:20], v[19:20], off
	global_load_b64 v[80:81], v[80:81], off
	s_waitcnt vmcnt(0)
	v_add_f64 v[18:19], v[19:20], v[80:81]
	global_load_b64 v[20:21], v[88:89], off
	s_waitcnt vmcnt(0)
	v_add_f64 v[18:19], v[18:19], v[20:21]
	v_lshlrev_b64 v[20:21], 3, v[0:1]
	v_add_nc_u32_e32 v0, s1, v0
	s_delay_alu instid0(VALU_DEP_2) | instskip(NEXT) | instid1(VALU_DEP_3)
	v_add_co_u32 v80, vcc_lo, s4, v20
	v_add_co_ci_u32_e32 v81, vcc_lo, s5, v21, vcc_lo
	global_load_b64 v[80:81], v[80:81], off
	s_waitcnt vmcnt(0)
	v_add_f64 v[18:19], v[18:19], v[80:81]
	v_lshlrev_b64 v[80:81], 3, v[0:1]
	v_add_nc_u32_e32 v0, s1, v0
	s_delay_alu instid0(VALU_DEP_2) | instskip(NEXT) | instid1(VALU_DEP_3)
	v_add_co_u32 v88, vcc_lo, s4, v80
	v_add_co_ci_u32_e32 v89, vcc_lo, s5, v81, vcc_lo
	global_load_b64 v[88:89], v[88:89], off
	s_waitcnt vmcnt(0)
	v_add_f64 v[18:19], v[18:19], v[88:89]
	v_lshlrev_b64 v[88:89], 3, v[0:1]
	s_delay_alu instid0(VALU_DEP_1) | instskip(NEXT) | instid1(VALU_DEP_2)
	v_add_co_u32 v90, vcc_lo, s4, v88
	v_add_co_ci_u32_e32 v91, vcc_lo, s5, v89, vcc_lo
	global_load_b64 v[90:91], v[90:91], off
	s_waitcnt vmcnt(0)
	v_add_f64 v[18:19], v[18:19], v[90:91]
	v_mad_u64_u32 v[90:91], null, 0xffffffe2, s1, v[0:1]
	v_mov_b32_e32 v91, v1
	s_delay_alu instid0(VALU_DEP_1) | instskip(SKIP_1) | instid1(VALU_DEP_2)
	v_lshlrev_b64 v[91:92], 3, v[90:91]
	v_add_nc_u32_e32 v0, s15, v90
	v_add_co_u32 v93, vcc_lo, s6, v91
	s_delay_alu instid0(VALU_DEP_3)
	v_add_co_ci_u32_e32 v94, vcc_lo, s7, v92, vcc_lo
	global_load_b64 v[93:94], v[93:94], off
	s_waitcnt vmcnt(0)
	v_add_f64 v[18:19], v[18:19], v[93:94]
	v_lshlrev_b64 v[93:94], 3, v[0:1]
	v_add_nc_u32_e32 v0, s12, v0
	s_delay_alu instid0(VALU_DEP_2) | instskip(NEXT) | instid1(VALU_DEP_3)
	v_add_co_u32 v95, vcc_lo, s6, v93
	v_add_co_ci_u32_e32 v96, vcc_lo, s7, v94, vcc_lo
	global_load_b64 v[95:96], v[95:96], off
	s_waitcnt vmcnt(0)
	v_add_f64 v[18:19], v[18:19], v[95:96]
	v_lshlrev_b64 v[95:96], 3, v[0:1]
	v_add_nc_u32_e32 v0, s10, v0
	s_mul_i32 s10, s1, 21
	s_delay_alu instid0(VALU_DEP_2) | instskip(NEXT) | instid1(VALU_DEP_3)
	v_add_co_u32 v97, vcc_lo, s6, v95
	v_add_co_ci_u32_e32 v98, vcc_lo, s7, v96, vcc_lo
	v_add_co_u32 v90, vcc_lo, s4, v91
	v_add_co_ci_u32_e32 v91, vcc_lo, s5, v92, vcc_lo
	;; [unrolled: 2-line block ×3, first 2 shown]
	global_load_b64 v[90:91], v[90:91], off
	global_load_b64 v[97:98], v[97:98], off
	;; [unrolled: 1-line block ×3, first 2 shown]
	s_waitcnt vmcnt(0)
	v_add_f64 v[90:91], v[90:91], v[92:93]
	v_add_co_u32 v92, vcc_lo, s4, v95
	v_add_co_ci_u32_e32 v93, vcc_lo, s5, v96, vcc_lo
	v_add_co_u32 v62, vcc_lo, s6, v62
	v_add_co_ci_u32_e32 v63, vcc_lo, s7, v63, vcc_lo
	global_load_b64 v[92:93], v[92:93], off
	v_add_co_u32 v64, vcc_lo, s6, v64
	global_load_b64 v[62:63], v[62:63], off
	v_add_co_ci_u32_e32 v65, vcc_lo, s7, v65, vcc_lo
	global_load_b64 v[64:65], v[64:65], off
	s_waitcnt vmcnt(2)
	v_add_f64 v[90:91], v[90:91], v[92:93]
	s_waitcnt vmcnt(1)
	s_delay_alu instid0(VALU_DEP_1) | instskip(SKIP_1) | instid1(VALU_DEP_1)
	v_add_f64 v[62:63], v[90:91], v[62:63]
	s_waitcnt vmcnt(0)
	v_add_f64 v[62:63], v[62:63], v[64:65]
	v_add_co_u32 v64, vcc_lo, s6, v20
	v_add_co_ci_u32_e32 v65, vcc_lo, s7, v21, vcc_lo
	global_load_b64 v[64:65], v[64:65], off
	v_add_f64 v[18:19], v[18:19], v[97:98]
	s_waitcnt vmcnt(0)
	v_add_f64 v[62:63], v[62:63], v[64:65]
	v_add_co_u32 v64, vcc_lo, s6, v80
	v_add_co_ci_u32_e32 v65, vcc_lo, s7, v81, vcc_lo
	global_load_b64 v[64:65], v[64:65], off
	s_waitcnt vmcnt(0)
	v_add_f64 v[62:63], v[62:63], v[64:65]
	v_add_co_u32 v64, vcc_lo, s6, v88
	v_add_co_ci_u32_e32 v65, vcc_lo, s7, v89, vcc_lo
	global_load_b64 v[64:65], v[64:65], off
	s_waitcnt vmcnt(0)
	v_add_f64 v[62:63], v[62:63], v[64:65]
	v_div_scale_f64 v[64:65], null, v[18:19], v[18:19], 1.0
	s_delay_alu instid0(VALU_DEP_1) | instskip(SKIP_2) | instid1(VALU_DEP_1)
	v_rcp_f64_e32 v[80:81], v[64:65]
	s_waitcnt_depctr 0xfff
	v_fma_f64 v[88:89], -v[64:65], v[80:81], 1.0
	v_fma_f64 v[80:81], v[80:81], v[88:89], v[80:81]
	s_delay_alu instid0(VALU_DEP_1) | instskip(NEXT) | instid1(VALU_DEP_1)
	v_fma_f64 v[88:89], -v[64:65], v[80:81], 1.0
	v_fma_f64 v[80:81], v[80:81], v[88:89], v[80:81]
	v_div_scale_f64 v[88:89], vcc_lo, 1.0, v[18:19], 1.0
	s_delay_alu instid0(VALU_DEP_1) | instskip(NEXT) | instid1(VALU_DEP_1)
	v_mul_f64 v[90:91], v[88:89], v[80:81]
	v_fma_f64 v[64:65], -v[64:65], v[90:91], v[88:89]
	s_delay_alu instid0(VALU_DEP_1)
	v_div_fmas_f64 v[64:65], v[64:65], v[80:81], v[90:91]
	v_add_co_u32 v44, vcc_lo, s2, v44
	v_add_co_ci_u32_e32 v45, vcc_lo, s3, v45, vcc_lo
	v_add_co_u32 v16, vcc_lo, s2, v16
	v_add_co_ci_u32_e32 v17, vcc_lo, s3, v17, vcc_lo
	v_div_fixup_f64 v[18:19], v[64:65], v[18:19], 1.0
	s_delay_alu instid0(VALU_DEP_1)
	v_mul_f64 v[62:63], v[18:19], v[62:63]
	global_store_b64 v[44:45], v[62:63], off
	global_load_b64 v[44:45], v[78:79], off
	s_waitcnt vmcnt(0)
	v_mul_f64 v[18:19], v[18:19], v[44:45]
	global_store_b64 v[16:17], v[18:19], off
	v_lshlrev_b64 v[16:17], 3, v[0:1]
	v_add_nc_u32_e32 v0, s8, v0
	s_delay_alu instid0(VALU_DEP_2) | instskip(NEXT) | instid1(VALU_DEP_3)
	v_add_co_u32 v18, vcc_lo, s4, v16
	v_add_co_ci_u32_e32 v19, vcc_lo, s5, v17, vcc_lo
	s_clause 0x1
	global_load_b64 v[18:19], v[18:19], off
	global_load_b64 v[44:45], v[74:75], off
	v_lshlrev_b64 v[62:63], 3, v[0:1]
	s_waitcnt vmcnt(0)
	v_add_f64 v[18:19], v[18:19], v[44:45]
	s_delay_alu instid0(VALU_DEP_2) | instskip(NEXT) | instid1(VALU_DEP_3)
	v_add_co_u32 v44, vcc_lo, s4, v62
	v_add_co_ci_u32_e32 v45, vcc_lo, s5, v63, vcc_lo
	global_load_b64 v[44:45], v[44:45], off
	s_waitcnt vmcnt(0)
	v_add_f64 v[18:19], v[18:19], v[44:45]
	global_load_b64 v[44:45], v[72:73], off
	s_waitcnt vmcnt(0)
	v_add_f64 v[18:19], v[18:19], v[44:45]
	v_mad_u64_u32 v[44:45], null, s1, -10, v[0:1]
	v_mov_b32_e32 v45, v1
	s_delay_alu instid0(VALU_DEP_1) | instskip(SKIP_1) | instid1(VALU_DEP_2)
	v_lshlrev_b64 v[64:65], 3, v[44:45]
	v_add_nc_u32_e32 v0, s18, v44
	v_add_co_u32 v72, vcc_lo, s6, v64
	s_delay_alu instid0(VALU_DEP_3)
	v_add_co_ci_u32_e32 v73, vcc_lo, s7, v65, vcc_lo
	global_load_b64 v[72:73], v[72:73], off
	s_waitcnt vmcnt(0)
	v_add_f64 v[18:19], v[18:19], v[72:73]
	v_lshlrev_b64 v[72:73], 3, v[0:1]
	v_add_nc_u32_e32 v0, s10, v0
	s_delay_alu instid0(VALU_DEP_2) | instskip(NEXT) | instid1(VALU_DEP_3)
	v_add_co_u32 v44, vcc_lo, s6, v72
	v_add_co_ci_u32_e32 v45, vcc_lo, s7, v73, vcc_lo
	global_load_b64 v[74:75], v[44:45], off
	s_waitcnt vmcnt(0)
	v_add_f64 v[18:19], v[18:19], v[74:75]
	v_lshlrev_b64 v[74:75], 3, v[0:1]
	v_add_nc_u32_e32 v0, s17, v0
	s_delay_alu instid0(VALU_DEP_2) | instskip(NEXT) | instid1(VALU_DEP_3)
	v_add_co_u32 v78, vcc_lo, s6, v74
	v_add_co_ci_u32_e32 v79, vcc_lo, s7, v75, vcc_lo
	global_load_b64 v[78:79], v[78:79], off
	s_waitcnt vmcnt(0)
	v_add_f64 v[18:19], v[18:19], v[78:79]
	global_load_b64 v[78:79], v[82:83], off
	s_waitcnt vmcnt(0)
	v_add_f64 v[18:19], v[18:19], v[78:79]
	v_lshlrev_b64 v[78:79], 3, v[0:1]
	s_delay_alu instid0(VALU_DEP_1) | instskip(NEXT) | instid1(VALU_DEP_2)
	v_add_co_u32 v80, vcc_lo, s6, v78
	v_add_co_ci_u32_e32 v81, vcc_lo, s7, v79, vcc_lo
	v_add_co_u32 v64, vcc_lo, s4, v64
	v_add_co_ci_u32_e32 v65, vcc_lo, s5, v65, vcc_lo
	;; [unrolled: 2-line block ×3, first 2 shown]
	global_load_b64 v[64:65], v[64:65], off
	v_add_co_u32 v62, vcc_lo, s6, v62
	global_load_b64 v[16:17], v[16:17], off
	v_add_co_ci_u32_e32 v63, vcc_lo, s7, v63, vcc_lo
	s_clause 0x1
	global_load_b64 v[80:81], v[80:81], off
	global_load_b64 v[62:63], v[62:63], off
	s_waitcnt vmcnt(2)
	v_add_f64 v[16:17], v[64:65], v[16:17]
	s_waitcnt vmcnt(1)
	v_add_f64 v[18:19], v[18:19], v[80:81]
	s_waitcnt vmcnt(0)
	s_delay_alu instid0(VALU_DEP_2)
	v_add_f64 v[16:17], v[16:17], v[62:63]
	v_add_co_u32 v62, vcc_lo, s4, v74
	v_add_co_ci_u32_e32 v63, vcc_lo, s5, v75, vcc_lo
	global_load_b64 v[62:63], v[62:63], off
	s_waitcnt vmcnt(0)
	v_add_f64 v[16:17], v[16:17], v[62:63]
	v_add_co_u32 v62, vcc_lo, s4, v78
	v_add_co_ci_u32_e32 v63, vcc_lo, s5, v79, vcc_lo
	global_load_b64 v[62:63], v[62:63], off
	s_waitcnt vmcnt(0)
	v_add_f64 v[16:17], v[16:17], v[62:63]
	v_div_scale_f64 v[62:63], null, v[18:19], v[18:19], 1.0
	s_delay_alu instid0(VALU_DEP_1) | instskip(SKIP_2) | instid1(VALU_DEP_1)
	v_rcp_f64_e32 v[64:65], v[62:63]
	s_waitcnt_depctr 0xfff
	v_fma_f64 v[74:75], -v[62:63], v[64:65], 1.0
	v_fma_f64 v[64:65], v[64:65], v[74:75], v[64:65]
	s_delay_alu instid0(VALU_DEP_1) | instskip(NEXT) | instid1(VALU_DEP_1)
	v_fma_f64 v[74:75], -v[62:63], v[64:65], 1.0
	v_fma_f64 v[64:65], v[64:65], v[74:75], v[64:65]
	v_div_scale_f64 v[74:75], vcc_lo, 1.0, v[18:19], 1.0
	s_delay_alu instid0(VALU_DEP_1) | instskip(NEXT) | instid1(VALU_DEP_1)
	v_mul_f64 v[78:79], v[74:75], v[64:65]
	v_fma_f64 v[62:63], -v[62:63], v[78:79], v[74:75]
	s_delay_alu instid0(VALU_DEP_1) | instskip(NEXT) | instid1(VALU_DEP_1)
	v_div_fmas_f64 v[62:63], v[62:63], v[64:65], v[78:79]
	v_div_fixup_f64 v[18:19], v[62:63], v[18:19], 1.0
	v_add_co_u32 v62, vcc_lo, s2, v70
	v_add_co_ci_u32_e32 v63, vcc_lo, s3, v71, vcc_lo
	v_add_co_u32 v48, vcc_lo, s2, v48
	v_add_co_ci_u32_e32 v49, vcc_lo, s3, v49, vcc_lo
	v_mul_f64 v[16:17], v[18:19], v[16:17]
	global_store_b64 v[62:63], v[16:17], off
	s_clause 0x3
	global_load_b64 v[16:17], v[56:57], off
	global_load_b64 v[56:57], v[58:59], off
	;; [unrolled: 1-line block ×4, first 2 shown]
	s_clause 0x1
	global_load_b64 v[22:23], v[22:23], off
	global_load_b64 v[40:41], v[40:41], off
	s_waitcnt vmcnt(4)
	v_add_f64 v[16:17], v[16:17], v[56:57]
	s_delay_alu instid0(VALU_DEP_1)
	v_mul_f64 v[16:17], v[18:19], v[16:17]
	global_store_b64 v[48:49], v[16:17], off
	global_load_b64 v[16:17], v[76:77], off
	v_add_co_u32 v48, vcc_lo, s2, v50
	v_add_co_ci_u32_e32 v49, vcc_lo, s3, v51, vcc_lo
	s_waitcnt vmcnt(0)
	v_mul_f64 v[16:17], v[18:19], v[16:17]
	global_store_b64 v[48:49], v[16:17], off
	v_add_co_u32 v16, vcc_lo, s4, v72
	v_add_co_ci_u32_e32 v17, vcc_lo, s5, v73, vcc_lo
	v_add_co_u32 v48, vcc_lo, s2, v86
	v_add_co_ci_u32_e32 v49, vcc_lo, s3, v87, vcc_lo
	global_load_b64 v[16:17], v[16:17], off
	s_waitcnt vmcnt(0)
	v_mul_f64 v[18:19], v[18:19], v[16:17]
	global_store_b64 v[48:49], v[18:19], off
	v_mad_u64_u32 v[18:19], null, 0xffffffb9, s1, v[0:1]
	s_delay_alu instid0(VALU_DEP_1) | instskip(NEXT) | instid1(VALU_DEP_1)
	v_dual_mov_b32 v19, v1 :: v_dual_add_nc_u32 v0, s16, v18
	v_lshlrev_b64 v[56:57], 3, v[18:19]
	s_delay_alu instid0(VALU_DEP_2) | instskip(SKIP_1) | instid1(VALU_DEP_3)
	v_lshlrev_b64 v[58:59], 3, v[0:1]
	v_add_nc_u32_e32 v0, s1, v0
	v_add_co_u32 v48, vcc_lo, s4, v56
	s_delay_alu instid0(VALU_DEP_4) | instskip(NEXT) | instid1(VALU_DEP_4)
	v_add_co_ci_u32_e32 v49, vcc_lo, s5, v57, vcc_lo
	v_add_co_u32 v18, vcc_lo, s4, v58
	v_add_co_ci_u32_e32 v19, vcc_lo, s5, v59, vcc_lo
	global_load_b64 v[48:49], v[48:49], off
	v_lshlrev_b64 v[62:63], 3, v[0:1]
	v_add_nc_u32_e32 v0, s8, v0
	global_load_b64 v[18:19], v[18:19], off
	v_lshlrev_b64 v[64:65], 3, v[0:1]
	v_add_nc_u32_e32 v0, s1, v0
	s_delay_alu instid0(VALU_DEP_1) | instskip(SKIP_1) | instid1(VALU_DEP_1)
	v_lshlrev_b64 v[70:71], 3, v[0:1]
	v_add_nc_u32_e32 v0, s1, v0
	v_lshlrev_b64 v[72:73], 3, v[0:1]
	v_add_nc_u32_e32 v0, s1, v0
	s_delay_alu instid0(VALU_DEP_1)
	v_lshlrev_b64 v[74:75], 3, v[0:1]
	v_add_nc_u32_e32 v0, s1, v0
	s_waitcnt vmcnt(0)
	v_add_f64 v[18:19], v[48:49], v[18:19]
	v_add_co_u32 v48, vcc_lo, s4, v62
	v_add_co_ci_u32_e32 v49, vcc_lo, s5, v63, vcc_lo
	global_load_b64 v[48:49], v[48:49], off
	s_waitcnt vmcnt(0)
	v_add_f64 v[18:19], v[18:19], v[48:49]
	v_lshlrev_b64 v[48:49], 3, v[0:1]
	v_add_nc_u32_e32 v0, s8, v0
	s_delay_alu instid0(VALU_DEP_3)
	v_add_f64 v[16:17], v[18:19], v[16:17]
	v_add_co_u32 v18, vcc_lo, s4, v64
	v_add_co_ci_u32_e32 v19, vcc_lo, s5, v65, vcc_lo
	global_load_b64 v[18:19], v[18:19], off
	s_waitcnt vmcnt(0)
	v_add_f64 v[16:17], v[16:17], v[18:19]
	v_add_co_u32 v18, vcc_lo, s4, v70
	v_add_co_ci_u32_e32 v19, vcc_lo, s5, v71, vcc_lo
	global_load_b64 v[18:19], v[18:19], off
	s_waitcnt vmcnt(0)
	;; [unrolled: 5-line block ×5, first 2 shown]
	v_add_f64 v[16:17], v[16:17], v[50:51]
	global_load_b64 v[50:51], v[68:69], off
	s_waitcnt vmcnt(0)
	v_add_f64 v[68:69], v[16:17], v[50:51]
	v_lshlrev_b64 v[50:51], 3, v[0:1]
	v_add_nc_u32_e32 v0, s1, v0
	s_delay_alu instid0(VALU_DEP_2) | instskip(NEXT) | instid1(VALU_DEP_3)
	v_add_co_u32 v16, vcc_lo, s4, v50
	v_add_co_ci_u32_e32 v17, vcc_lo, s5, v51, vcc_lo
	global_load_b64 v[76:77], v[16:17], off
	s_waitcnt vmcnt(0)
	v_add_f64 v[68:69], v[68:69], v[76:77]
	v_lshlrev_b64 v[76:77], 3, v[0:1]
	v_add_nc_u32_e32 v0, s8, v0
	s_delay_alu instid0(VALU_DEP_2) | instskip(NEXT) | instid1(VALU_DEP_3)
	v_add_co_u32 v78, vcc_lo, s4, v76
	v_add_co_ci_u32_e32 v79, vcc_lo, s5, v77, vcc_lo
	;; [unrolled: 8-line block ×5, first 2 shown]
	global_load_b64 v[86:87], v[86:87], off
	s_waitcnt vmcnt(0)
	v_add_f64 v[68:69], v[68:69], v[86:87]
	s_delay_alu instid0(VALU_DEP_1) | instskip(NEXT) | instid1(VALU_DEP_1)
	v_add_f64 v[52:53], v[68:69], v[52:53]
	v_add_f64 v[52:53], v[52:53], v[60:61]
	global_load_b64 v[60:61], v[66:67], off
	s_waitcnt vmcnt(0)
	v_add_f64 v[52:53], v[52:53], v[60:61]
	v_lshlrev_b64 v[60:61], 3, v[0:1]
	v_add_nc_u32_e32 v0, s1, v0
	s_delay_alu instid0(VALU_DEP_2) | instskip(NEXT) | instid1(VALU_DEP_3)
	v_add_co_u32 v66, vcc_lo, s6, v60
	v_add_co_ci_u32_e32 v67, vcc_lo, s7, v61, vcc_lo
	global_load_b64 v[66:67], v[66:67], off
	s_waitcnt vmcnt(0)
	v_add_f64 v[52:53], v[52:53], v[66:67]
	v_lshlrev_b64 v[66:67], 3, v[0:1]
	v_add_nc_u32_e32 v0, s12, v0
	s_delay_alu instid0(VALU_DEP_2) | instskip(NEXT) | instid1(VALU_DEP_3)
	v_add_co_u32 v68, vcc_lo, s6, v66
	v_add_co_ci_u32_e32 v69, vcc_lo, s7, v67, vcc_lo
	global_load_b64 v[68:69], v[68:69], off
	s_waitcnt vmcnt(0)
	v_add_f64 v[52:53], v[52:53], v[68:69]
	v_lshlrev_b64 v[68:69], 3, v[0:1]
	v_add_nc_u32_e32 v0, s1, v0
	s_delay_alu instid0(VALU_DEP_2) | instskip(NEXT) | instid1(VALU_DEP_3)
	v_add_co_u32 v86, vcc_lo, s6, v68
	v_add_co_ci_u32_e32 v87, vcc_lo, s7, v69, vcc_lo
	global_load_b64 v[86:87], v[86:87], off
	s_waitcnt vmcnt(0)
	v_add_f64 v[52:53], v[52:53], v[86:87]
	v_lshlrev_b64 v[86:87], 3, v[0:1]
	v_add_nc_u32_e32 v0, s14, v0
	s_delay_alu instid0(VALU_DEP_2) | instskip(NEXT) | instid1(VALU_DEP_3)
	v_add_co_u32 v88, vcc_lo, s6, v86
	v_add_co_ci_u32_e32 v89, vcc_lo, s7, v87, vcc_lo
	global_load_b64 v[88:89], v[88:89], off
	s_waitcnt vmcnt(0)
	v_add_f64 v[52:53], v[52:53], v[88:89]
	v_lshlrev_b64 v[88:89], 3, v[0:1]
	v_add_nc_u32_e32 v0, s18, v0
	s_delay_alu instid0(VALU_DEP_2) | instskip(NEXT) | instid1(VALU_DEP_3)
	v_add_co_u32 v90, vcc_lo, s6, v88
	v_add_co_ci_u32_e32 v91, vcc_lo, s7, v89, vcc_lo
	global_load_b64 v[90:91], v[90:91], off
	s_waitcnt vmcnt(0)
	v_add_f64 v[52:53], v[52:53], v[90:91]
	v_lshlrev_b64 v[90:91], 3, v[0:1]
	s_delay_alu instid0(VALU_DEP_1) | instskip(NEXT) | instid1(VALU_DEP_2)
	v_add_co_u32 v92, vcc_lo, s6, v90
	v_add_co_ci_u32_e32 v93, vcc_lo, s7, v91, vcc_lo
	v_add_co_u32 v56, vcc_lo, s6, v56
	v_add_co_ci_u32_e32 v57, vcc_lo, s7, v57, vcc_lo
	;; [unrolled: 2-line block ×3, first 2 shown]
	s_clause 0x2
	global_load_b64 v[56:57], v[56:57], off
	global_load_b64 v[92:93], v[92:93], off
	;; [unrolled: 1-line block ×3, first 2 shown]
	s_waitcnt vmcnt(0)
	v_add_f64 v[56:57], v[56:57], v[58:59]
	v_add_co_u32 v58, vcc_lo, s6, v62
	v_add_co_ci_u32_e32 v59, vcc_lo, s7, v63, vcc_lo
	global_load_b64 v[58:59], v[58:59], off
	s_waitcnt vmcnt(0)
	v_add_f64 v[56:57], v[56:57], v[58:59]
	v_add_co_u32 v58, vcc_lo, s6, v64
	v_add_co_ci_u32_e32 v59, vcc_lo, s7, v65, vcc_lo
	global_load_b64 v[58:59], v[58:59], off
	;; [unrolled: 5-line block ×6, first 2 shown]
	s_waitcnt vmcnt(0)
	v_add_f64 v[56:57], v[56:57], v[58:59]
	global_load_b64 v[58:59], v[84:85], off
	s_waitcnt vmcnt(0)
	v_add_f64 v[56:57], v[56:57], v[58:59]
	v_add_co_u32 v58, vcc_lo, s6, v78
	v_add_co_ci_u32_e32 v59, vcc_lo, s7, v79, vcc_lo
	global_load_b64 v[58:59], v[58:59], off
	s_waitcnt vmcnt(0)
	v_add_f64 v[56:57], v[56:57], v[58:59]
	v_add_co_u32 v58, vcc_lo, s6, v80
	v_add_co_ci_u32_e32 v59, vcc_lo, s7, v81, vcc_lo
	;; [unrolled: 5-line block ×9, first 2 shown]
	v_add_co_u32 v46, vcc_lo, s6, v46
	v_add_co_ci_u32_e32 v47, vcc_lo, s7, v47, vcc_lo
	global_load_b64 v[58:59], v[58:59], off
	s_waitcnt vmcnt(0)
	v_add_f64 v[56:57], v[56:57], v[58:59]
	global_load_b64 v[58:59], v[46:47], off
	v_add_f64 v[52:53], v[52:53], v[92:93]
	s_waitcnt vmcnt(0)
	v_add_f64 v[56:57], v[56:57], v[58:59]
	s_delay_alu instid0(VALU_DEP_2) | instskip(NEXT) | instid1(VALU_DEP_1)
	v_div_scale_f64 v[58:59], null, v[52:53], v[52:53], 1.0
	v_rcp_f64_e32 v[60:61], v[58:59]
	s_waitcnt_depctr 0xfff
	v_fma_f64 v[62:63], -v[58:59], v[60:61], 1.0
	s_delay_alu instid0(VALU_DEP_1) | instskip(NEXT) | instid1(VALU_DEP_1)
	v_fma_f64 v[60:61], v[60:61], v[62:63], v[60:61]
	v_fma_f64 v[62:63], -v[58:59], v[60:61], 1.0
	s_delay_alu instid0(VALU_DEP_1) | instskip(SKIP_1) | instid1(VALU_DEP_1)
	v_fma_f64 v[60:61], v[60:61], v[62:63], v[60:61]
	v_div_scale_f64 v[62:63], vcc_lo, 1.0, v[52:53], 1.0
	v_mul_f64 v[64:65], v[62:63], v[60:61]
	s_delay_alu instid0(VALU_DEP_1) | instskip(NEXT) | instid1(VALU_DEP_1)
	v_fma_f64 v[58:59], -v[58:59], v[64:65], v[62:63]
	v_div_fmas_f64 v[58:59], v[58:59], v[60:61], v[64:65]
	v_add_co_u32 v54, vcc_lo, s2, v54
	v_add_co_ci_u32_e32 v55, vcc_lo, s3, v55, vcc_lo
	s_delay_alu instid0(VALU_DEP_3) | instskip(NEXT) | instid1(VALU_DEP_1)
	v_div_fixup_f64 v[52:53], v[58:59], v[52:53], 1.0
	v_mul_f64 v[56:57], v[52:53], v[56:57]
	v_mul_f64 v[22:23], v[52:53], v[22:23]
	global_store_b64 v[54:55], v[56:57], off
	v_mul_f64 v[54:55], v[52:53], v[40:41]
	v_mad_u64_u32 v[40:41], null, 0xffffff92, s1, v[0:1]
	s_delay_alu instid0(VALU_DEP_1) | instskip(NEXT) | instid1(VALU_DEP_1)
	v_dual_mov_b32 v41, v1 :: v_dual_add_nc_u32 v0, s1, v40
	v_lshlrev_b64 v[56:57], 3, v[40:41]
	s_delay_alu instid0(VALU_DEP_2) | instskip(SKIP_1) | instid1(VALU_DEP_3)
	v_lshlrev_b64 v[40:41], 3, v[0:1]
	v_add_nc_u32_e32 v0, s13, v0
	v_add_co_u32 v56, vcc_lo, s2, v56
	s_delay_alu instid0(VALU_DEP_4) | instskip(NEXT) | instid1(VALU_DEP_4)
	v_add_co_ci_u32_e32 v57, vcc_lo, s3, v57, vcc_lo
	v_add_co_u32 v40, vcc_lo, s2, v40
	v_add_co_ci_u32_e32 v41, vcc_lo, s3, v41, vcc_lo
	v_add_co_u32 v28, vcc_lo, s2, v28
	v_add_co_ci_u32_e32 v29, vcc_lo, s3, v29, vcc_lo
	s_clause 0x1
	global_store_b64 v[56:57], v[54:55], off
	global_store_b64 v[40:41], v[22:23], off
	global_load_b64 v[22:23], v[36:37], off
	s_clause 0x1
	global_load_b64 v[36:37], v[38:39], off
	global_load_b64 v[4:5], v[4:5], off
	s_clause 0x2
	global_load_b64 v[14:15], v[14:15], off
	global_load_b64 v[10:11], v[10:11], off
	;; [unrolled: 1-line block ×5, first 2 shown]
	s_waitcnt vmcnt(6)
	v_add_f64 v[22:23], v[22:23], v[36:37]
	s_delay_alu instid0(VALU_DEP_1) | instskip(SKIP_4) | instid1(VALU_DEP_2)
	v_mul_f64 v[22:23], v[52:53], v[22:23]
	global_store_b64 v[28:29], v[22:23], off
	global_load_b64 v[22:23], v[44:45], off
	v_lshlrev_b64 v[28:29], 3, v[0:1]
	v_add_nc_u32_e32 v0, s12, v0
	v_add_co_u32 v28, vcc_lo, s2, v28
	s_delay_alu instid0(VALU_DEP_3)
	v_add_co_ci_u32_e32 v29, vcc_lo, s3, v29, vcc_lo
	v_add_co_u32 v36, vcc_lo, s6, v48
	v_add_co_ci_u32_e32 v37, vcc_lo, s7, v49, vcc_lo
	v_add_co_u32 v38, vcc_lo, s6, v50
	v_add_co_ci_u32_e32 v39, vcc_lo, s7, v51, vcc_lo
	s_waitcnt vmcnt(0)
	v_mul_f64 v[22:23], v[52:53], v[22:23]
	global_store_b64 v[28:29], v[22:23], off
	s_clause 0x3
	global_load_b64 v[22:23], v[36:37], off
	global_load_b64 v[28:29], v[38:39], off
	;; [unrolled: 1-line block ×4, first 2 shown]
	s_waitcnt vmcnt(2)
	v_add_f64 v[22:23], v[22:23], v[28:29]
	v_lshlrev_b64 v[28:29], 3, v[0:1]
	s_delay_alu instid0(VALU_DEP_1) | instskip(NEXT) | instid1(VALU_DEP_2)
	v_add_co_u32 v28, vcc_lo, s2, v28
	v_add_co_ci_u32_e32 v29, vcc_lo, s3, v29, vcc_lo
	s_delay_alu instid0(VALU_DEP_4) | instskip(SKIP_2) | instid1(VALU_DEP_1)
	v_mul_f64 v[22:23], v[52:53], v[22:23]
	global_store_b64 v[28:29], v[22:23], off
	v_mad_u64_u32 v[22:23], null, 0x54, s1, v[0:1]
	v_dual_mov_b32 v23, v1 :: v_dual_add_nc_u32 v0, s1, v22
	s_delay_alu instid0(VALU_DEP_1) | instskip(NEXT) | instid1(VALU_DEP_2)
	v_lshlrev_b64 v[48:49], 3, v[22:23]
	v_lshlrev_b64 v[50:51], 3, v[0:1]
	v_add_nc_u32_e32 v0, s1, v0
	s_delay_alu instid0(VALU_DEP_3) | instskip(NEXT) | instid1(VALU_DEP_4)
	v_add_co_u32 v28, vcc_lo, s4, v48
	v_add_co_ci_u32_e32 v29, vcc_lo, s5, v49, vcc_lo
	s_delay_alu instid0(VALU_DEP_4)
	v_add_co_u32 v22, vcc_lo, s4, v50
	v_add_co_ci_u32_e32 v23, vcc_lo, s5, v51, vcc_lo
	global_load_b64 v[28:29], v[28:29], off
	v_lshlrev_b64 v[52:53], 3, v[0:1]
	v_add_nc_u32_e32 v0, s1, v0
	global_load_b64 v[22:23], v[22:23], off
	v_lshlrev_b64 v[54:55], 3, v[0:1]
	v_add_nc_u32_e32 v0, s1, v0
	s_delay_alu instid0(VALU_DEP_1) | instskip(SKIP_1) | instid1(VALU_DEP_1)
	v_lshlrev_b64 v[56:57], 3, v[0:1]
	v_add_nc_u32_e32 v0, s1, v0
	v_lshlrev_b64 v[58:59], 3, v[0:1]
	v_add_nc_u32_e32 v0, s1, v0
	s_delay_alu instid0(VALU_DEP_1) | instskip(SKIP_1) | instid1(VALU_DEP_1)
	v_lshlrev_b64 v[60:61], 3, v[0:1]
	v_add_nc_u32_e32 v0, s1, v0
	v_lshlrev_b64 v[62:63], 3, v[0:1]
	v_add_nc_u32_e32 v0, s1, v0
	s_delay_alu instid0(VALU_DEP_1)
	v_lshlrev_b64 v[64:65], 3, v[0:1]
	s_waitcnt vmcnt(0)
	v_add_f64 v[22:23], v[28:29], v[22:23]
	v_add_co_u32 v28, vcc_lo, s4, v52
	v_add_co_ci_u32_e32 v29, vcc_lo, s5, v53, vcc_lo
	global_load_b64 v[28:29], v[28:29], off
	s_waitcnt vmcnt(0)
	v_add_f64 v[22:23], v[22:23], v[28:29]
	v_add_co_u32 v28, vcc_lo, s4, v54
	v_add_co_ci_u32_e32 v29, vcc_lo, s5, v55, vcc_lo
	global_load_b64 v[28:29], v[28:29], off
	s_waitcnt vmcnt(0)
	v_add_f64 v[22:23], v[22:23], v[28:29]
	v_add_co_u32 v28, vcc_lo, s4, v56
	v_add_co_ci_u32_e32 v29, vcc_lo, s5, v57, vcc_lo
	global_load_b64 v[28:29], v[28:29], off
	s_waitcnt vmcnt(0)
	v_add_f64 v[22:23], v[22:23], v[28:29]
	v_add_co_u32 v28, vcc_lo, s4, v58
	v_add_co_ci_u32_e32 v29, vcc_lo, s5, v59, vcc_lo
	global_load_b64 v[28:29], v[28:29], off
	s_waitcnt vmcnt(0)
	v_add_f64 v[22:23], v[22:23], v[28:29]
	v_add_co_u32 v28, vcc_lo, s4, v60
	v_add_co_ci_u32_e32 v29, vcc_lo, s5, v61, vcc_lo
	global_load_b64 v[28:29], v[28:29], off
	s_waitcnt vmcnt(0)
	v_add_f64 v[22:23], v[22:23], v[28:29]
	v_add_co_u32 v28, vcc_lo, s4, v62
	v_add_co_ci_u32_e32 v29, vcc_lo, s5, v63, vcc_lo
	global_load_b64 v[28:29], v[28:29], off
	s_waitcnt vmcnt(0)
	v_add_f64 v[22:23], v[22:23], v[28:29]
	v_add_co_u32 v28, vcc_lo, s4, v64
	v_add_co_ci_u32_e32 v29, vcc_lo, s5, v65, vcc_lo
	global_load_b64 v[28:29], v[28:29], off
	s_waitcnt vmcnt(0)
	v_add_f64 v[22:23], v[22:23], v[28:29]
	v_mad_u64_u32 v[28:29], null, 0xffffffac, s1, v[0:1]
	v_mov_b32_e32 v29, v1
	s_delay_alu instid0(VALU_DEP_1) | instskip(NEXT) | instid1(VALU_DEP_1)
	v_lshlrev_b64 v[66:67], 3, v[28:29]
	v_add_co_u32 v40, vcc_lo, s6, v66
	s_delay_alu instid0(VALU_DEP_2)
	v_add_co_ci_u32_e32 v41, vcc_lo, s7, v67, vcc_lo
	global_load_b64 v[40:41], v[40:41], off
	s_waitcnt vmcnt(0)
	v_add_f64 v[22:23], v[22:23], v[40:41]
	v_mad_u64_u32 v[40:41], null, s1, 62, v[28:29]
	v_mov_b32_e32 v41, v1
	s_delay_alu instid0(VALU_DEP_1) | instskip(NEXT) | instid1(VALU_DEP_1)
	v_lshlrev_b64 v[68:69], 3, v[40:41]
	v_add_co_u32 v28, vcc_lo, s6, v68
	s_delay_alu instid0(VALU_DEP_2)
	v_add_co_ci_u32_e32 v29, vcc_lo, s7, v69, vcc_lo
	global_load_b64 v[28:29], v[28:29], off
	s_waitcnt vmcnt(0)
	v_add_f64 v[22:23], v[22:23], v[28:29]
	global_load_b64 v[28:29], v[42:43], off
	s_waitcnt vmcnt(0)
	v_add_f64 v[22:23], v[22:23], v[28:29]
	v_mad_u64_u32 v[28:29], null, s1, 24, v[40:41]
	v_mov_b32_e32 v29, v1
	s_delay_alu instid0(VALU_DEP_1) | instskip(SKIP_1) | instid1(VALU_DEP_2)
	v_lshlrev_b64 v[70:71], 3, v[28:29]
	v_add_nc_u32_e32 v0, s1, v28
	v_add_co_u32 v40, vcc_lo, s6, v70
	s_delay_alu instid0(VALU_DEP_3) | instskip(NEXT) | instid1(VALU_DEP_3)
	v_add_co_ci_u32_e32 v41, vcc_lo, s7, v71, vcc_lo
	v_lshlrev_b64 v[72:73], 3, v[0:1]
	v_add_nc_u32_e32 v0, s1, v0
	global_load_b64 v[40:41], v[40:41], off
	v_add_co_u32 v28, vcc_lo, s6, v72
	v_add_co_ci_u32_e32 v29, vcc_lo, s7, v73, vcc_lo
	v_lshlrev_b64 v[74:75], 3, v[0:1]
	v_add_nc_u32_e32 v0, s8, v0
	global_load_b64 v[28:29], v[28:29], off
	v_lshlrev_b64 v[76:77], 3, v[0:1]
	v_add_nc_u32_e32 v0, s11, v0
	s_waitcnt vmcnt(1)
	v_add_f64 v[22:23], v[22:23], v[40:41]
	s_delay_alu instid0(VALU_DEP_2) | instskip(SKIP_1) | instid1(VALU_DEP_1)
	v_lshlrev_b64 v[40:41], 3, v[0:1]
	v_add_nc_u32_e32 v0, s8, v0
	v_lshlrev_b64 v[42:43], 3, v[0:1]
	v_add_nc_u32_e32 v0, s12, v0
	s_waitcnt vmcnt(0)
	v_add_f64 v[22:23], v[22:23], v[28:29]
	v_add_co_u32 v28, vcc_lo, s6, v74
	v_add_co_ci_u32_e32 v29, vcc_lo, s7, v75, vcc_lo
	global_load_b64 v[28:29], v[28:29], off
	s_waitcnt vmcnt(0)
	v_add_f64 v[22:23], v[22:23], v[28:29]
	global_load_b64 v[28:29], v[30:31], off
	s_waitcnt vmcnt(0)
	v_add_f64 v[22:23], v[22:23], v[28:29]
	v_add_co_u32 v28, vcc_lo, s6, v76
	v_add_co_ci_u32_e32 v29, vcc_lo, s7, v77, vcc_lo
	global_load_b64 v[28:29], v[28:29], off
	s_waitcnt vmcnt(0)
	v_add_f64 v[22:23], v[22:23], v[28:29]
	v_add_co_u32 v28, vcc_lo, s6, v40
	v_add_co_ci_u32_e32 v29, vcc_lo, s7, v41, vcc_lo
	;; [unrolled: 5-line block ×3, first 2 shown]
	global_load_b64 v[44:45], v[30:31], off
	s_waitcnt vmcnt(0)
	v_add_f64 v[78:79], v[22:23], v[44:45]
	v_lshlrev_b64 v[44:45], 3, v[0:1]
	v_add_nc_u32_e32 v0, s9, v0
	s_delay_alu instid0(VALU_DEP_2) | instskip(NEXT) | instid1(VALU_DEP_3)
	v_add_co_u32 v22, vcc_lo, s6, v44
	v_add_co_ci_u32_e32 v23, vcc_lo, s7, v45, vcc_lo
	v_add_co_u32 v66, vcc_lo, s4, v66
	v_add_co_ci_u32_e32 v67, vcc_lo, s5, v67, vcc_lo
	;; [unrolled: 2-line block ×3, first 2 shown]
	global_load_b64 v[66:67], v[66:67], off
	v_add_co_u32 v48, vcc_lo, s6, v48
	global_load_b64 v[68:69], v[68:69], off
	v_add_co_ci_u32_e32 v49, vcc_lo, s7, v49, vcc_lo
	v_add_co_u32 v50, vcc_lo, s6, v50
	v_add_co_ci_u32_e32 v51, vcc_lo, s7, v51, vcc_lo
	s_clause 0x2
	global_load_b64 v[48:49], v[48:49], off
	global_load_b64 v[80:81], v[22:23], off
	;; [unrolled: 1-line block ×3, first 2 shown]
	s_waitcnt vmcnt(3)
	v_add_f64 v[66:67], v[66:67], v[68:69]
	s_waitcnt vmcnt(1)
	v_add_f64 v[78:79], v[78:79], v[80:81]
	s_delay_alu instid0(VALU_DEP_2) | instskip(SKIP_1) | instid1(VALU_DEP_1)
	v_add_f64 v[48:49], v[66:67], v[48:49]
	s_waitcnt vmcnt(0)
	v_add_f64 v[48:49], v[48:49], v[50:51]
	v_add_co_u32 v50, vcc_lo, s6, v52
	v_add_co_ci_u32_e32 v51, vcc_lo, s7, v53, vcc_lo
	global_load_b64 v[50:51], v[50:51], off
	s_waitcnt vmcnt(0)
	v_add_f64 v[48:49], v[48:49], v[50:51]
	v_add_co_u32 v50, vcc_lo, s6, v54
	v_add_co_ci_u32_e32 v51, vcc_lo, s7, v55, vcc_lo
	global_load_b64 v[50:51], v[50:51], off
	;; [unrolled: 5-line block ×7, first 2 shown]
	s_waitcnt vmcnt(0)
	v_add_f64 v[48:49], v[48:49], v[50:51]
	s_delay_alu instid0(VALU_DEP_1)
	v_add_f64 v[34:35], v[48:49], v[34:35]
	v_add_co_u32 v48, vcc_lo, s4, v70
	v_add_co_ci_u32_e32 v49, vcc_lo, s5, v71, vcc_lo
	global_load_b64 v[48:49], v[48:49], off
	s_waitcnt vmcnt(0)
	v_add_f64 v[34:35], v[34:35], v[48:49]
	v_add_co_u32 v48, vcc_lo, s4, v72
	v_add_co_ci_u32_e32 v49, vcc_lo, s5, v73, vcc_lo
	global_load_b64 v[48:49], v[48:49], off
	s_waitcnt vmcnt(0)
	;; [unrolled: 5-line block ×4, first 2 shown]
	v_add_f64 v[34:35], v[34:35], v[48:49]
	s_delay_alu instid0(VALU_DEP_1) | instskip(SKIP_4) | instid1(VALU_DEP_1)
	v_add_f64 v[32:33], v[34:35], v[32:33]
	global_load_b64 v[34:35], v[46:47], off
	s_waitcnt vmcnt(0)
	v_add_f64 v[34:35], v[32:33], v[34:35]
	v_div_scale_f64 v[32:33], null, v[78:79], v[78:79], 1.0
	v_rcp_f64_e32 v[46:47], v[32:33]
	s_waitcnt_depctr 0xfff
	v_fma_f64 v[48:49], -v[32:33], v[46:47], 1.0
	s_delay_alu instid0(VALU_DEP_1) | instskip(NEXT) | instid1(VALU_DEP_1)
	v_fma_f64 v[46:47], v[46:47], v[48:49], v[46:47]
	v_fma_f64 v[48:49], -v[32:33], v[46:47], 1.0
	s_delay_alu instid0(VALU_DEP_1) | instskip(SKIP_1) | instid1(VALU_DEP_1)
	v_fma_f64 v[46:47], v[46:47], v[48:49], v[46:47]
	v_div_scale_f64 v[48:49], vcc_lo, 1.0, v[78:79], 1.0
	v_mul_f64 v[50:51], v[48:49], v[46:47]
	s_delay_alu instid0(VALU_DEP_1) | instskip(NEXT) | instid1(VALU_DEP_1)
	v_fma_f64 v[32:33], -v[32:33], v[50:51], v[48:49]
	v_div_fmas_f64 v[32:33], v[32:33], v[46:47], v[50:51]
	v_add_co_u32 v26, vcc_lo, s2, v26
	v_add_co_ci_u32_e32 v27, vcc_lo, s3, v27, vcc_lo
	v_add_co_u32 v12, vcc_lo, s2, v12
	v_add_co_ci_u32_e32 v13, vcc_lo, s3, v13, vcc_lo
	;; [unrolled: 2-line block ×3, first 2 shown]
	v_div_fixup_f64 v[32:33], v[32:33], v[78:79], 1.0
	s_delay_alu instid0(VALU_DEP_1)
	v_mul_f64 v[34:35], v[32:33], v[34:35]
	v_mul_f64 v[14:15], v[32:33], v[14:15]
	;; [unrolled: 1-line block ×3, first 2 shown]
	s_clause 0x2
	global_store_b64 v[26:27], v[34:35], off
	global_store_b64 v[12:13], v[14:15], off
	global_store_b64 v[6:7], v[10:11], off
	v_add_co_u32 v6, vcc_lo, s4, v40
	v_add_co_ci_u32_e32 v7, vcc_lo, s5, v41, vcc_lo
	v_add_co_u32 v12, vcc_lo, s4, v42
	v_add_co_ci_u32_e32 v13, vcc_lo, s5, v43, vcc_lo
	s_clause 0x1
	global_load_b64 v[10:11], v[6:7], off
	global_load_b64 v[6:7], v[12:13], off
	s_waitcnt vmcnt(0)
	v_add_f64 v[14:15], v[10:11], v[6:7]
	v_add_co_u32 v6, vcc_lo, s4, v44
	v_add_co_ci_u32_e32 v7, vcc_lo, s5, v45, vcc_lo
	v_add_co_u32 v8, vcc_lo, s2, v8
	v_add_co_ci_u32_e32 v9, vcc_lo, s3, v9, vcc_lo
	global_load_b64 v[26:27], v[6:7], off
	s_waitcnt vmcnt(0)
	v_add_f64 v[14:15], v[14:15], v[26:27]
	s_delay_alu instid0(VALU_DEP_1) | instskip(SKIP_3) | instid1(VALU_DEP_1)
	v_mul_f64 v[14:15], v[32:33], v[14:15]
	global_store_b64 v[8:9], v[14:15], off
	v_lshlrev_b64 v[8:9], 3, v[0:1]
	v_add_nc_u32_e32 v0, s1, v0
	v_lshlrev_b64 v[26:27], 3, v[0:1]
	s_delay_alu instid0(VALU_DEP_3) | instskip(NEXT) | instid1(VALU_DEP_4)
	v_add_co_u32 v14, vcc_lo, s4, v8
	v_add_co_ci_u32_e32 v15, vcc_lo, s5, v9, vcc_lo
	v_add_nc_u32_e32 v0, s8, v0
	s_delay_alu instid0(VALU_DEP_4)
	v_add_co_u32 v32, vcc_lo, s4, v26
	v_add_co_ci_u32_e32 v33, vcc_lo, s5, v27, vcc_lo
	s_clause 0x1
	global_load_b64 v[14:15], v[14:15], off
	global_load_b64 v[32:33], v[32:33], off
	s_waitcnt vmcnt(0)
	v_add_f64 v[14:15], v[14:15], v[32:33]
	s_delay_alu instid0(VALU_DEP_1) | instskip(SKIP_2) | instid1(VALU_DEP_2)
	v_add_f64 v[14:15], v[14:15], v[24:25]
	v_lshlrev_b64 v[24:25], 3, v[0:1]
	v_add_nc_u32_e32 v0, s1, v0
	v_add_co_u32 v32, vcc_lo, s4, v24
	s_delay_alu instid0(VALU_DEP_3)
	v_add_co_ci_u32_e32 v33, vcc_lo, s5, v25, vcc_lo
	global_load_b64 v[32:33], v[32:33], off
	s_waitcnt vmcnt(0)
	v_add_f64 v[14:15], v[14:15], v[32:33]
	v_lshlrev_b64 v[32:33], 3, v[0:1]
	v_add_nc_u32_e32 v0, s1, v0
	s_delay_alu instid0(VALU_DEP_2) | instskip(NEXT) | instid1(VALU_DEP_3)
	v_add_co_u32 v34, vcc_lo, s4, v32
	v_add_co_ci_u32_e32 v35, vcc_lo, s5, v33, vcc_lo
	global_load_b64 v[34:35], v[34:35], off
	s_waitcnt vmcnt(0)
	v_add_f64 v[14:15], v[14:15], v[34:35]
	v_lshlrev_b64 v[34:35], 3, v[0:1]
	v_add_nc_u32_e32 v0, s1, v0
	s_delay_alu instid0(VALU_DEP_2) | instskip(NEXT) | instid1(VALU_DEP_3)
	v_add_co_u32 v40, vcc_lo, s4, v34
	;; [unrolled: 8-line block ×3, first 2 shown]
	v_add_co_ci_u32_e32 v43, vcc_lo, s5, v41, vcc_lo
	global_load_b64 v[42:43], v[42:43], off
	s_waitcnt vmcnt(0)
	v_add_f64 v[14:15], v[14:15], v[42:43]
	v_lshlrev_b64 v[42:43], 3, v[0:1]
	s_delay_alu instid0(VALU_DEP_1) | instskip(NEXT) | instid1(VALU_DEP_2)
	v_add_co_u32 v44, vcc_lo, s4, v42
	v_add_co_ci_u32_e32 v45, vcc_lo, s5, v43, vcc_lo
	global_load_b64 v[44:45], v[44:45], off
	s_waitcnt vmcnt(0)
	v_add_f64 v[44:45], v[14:15], v[44:45]
	v_mad_u64_u32 v[14:15], null, 0xffffffe4, s1, v[0:1]
	v_mov_b32_e32 v15, v1
	s_delay_alu instid0(VALU_DEP_1) | instskip(NEXT) | instid1(VALU_DEP_1)
	v_lshlrev_b64 v[46:47], 3, v[14:15]
	v_add_co_u32 v48, vcc_lo, s6, v46
	s_delay_alu instid0(VALU_DEP_2) | instskip(SKIP_3) | instid1(VALU_DEP_1)
	v_add_co_ci_u32_e32 v49, vcc_lo, s7, v47, vcc_lo
	global_load_b64 v[48:49], v[48:49], off
	s_waitcnt vmcnt(0)
	v_add_f64 v[44:45], v[44:45], v[48:49]
	v_add_f64 v[36:37], v[44:45], v[36:37]
	s_delay_alu instid0(VALU_DEP_1)
	v_add_f64 v[36:37], v[36:37], v[38:39]
	v_add_co_u32 v38, vcc_lo, s4, v46
	v_add_co_ci_u32_e32 v39, vcc_lo, s5, v47, vcc_lo
	v_add_co_u32 v8, vcc_lo, s6, v8
	v_add_co_ci_u32_e32 v9, vcc_lo, s7, v9, vcc_lo
	global_load_b64 v[38:39], v[38:39], off
	v_add_co_u32 v26, vcc_lo, s6, v26
	global_load_b64 v[8:9], v[8:9], off
	v_add_co_ci_u32_e32 v27, vcc_lo, s7, v27, vcc_lo
	v_add_co_u32 v24, vcc_lo, s6, v24
	v_add_co_ci_u32_e32 v25, vcc_lo, s7, v25, vcc_lo
	s_clause 0x1
	global_load_b64 v[26:27], v[26:27], off
	global_load_b64 v[24:25], v[24:25], off
	s_waitcnt vmcnt(2)
	v_add_f64 v[8:9], v[38:39], v[8:9]
	s_waitcnt vmcnt(1)
	s_delay_alu instid0(VALU_DEP_1) | instskip(SKIP_1) | instid1(VALU_DEP_1)
	v_add_f64 v[8:9], v[8:9], v[26:27]
	s_waitcnt vmcnt(0)
	v_add_f64 v[8:9], v[8:9], v[24:25]
	v_add_co_u32 v24, vcc_lo, s6, v32
	v_add_co_ci_u32_e32 v25, vcc_lo, s7, v33, vcc_lo
	global_load_b64 v[24:25], v[24:25], off
	s_waitcnt vmcnt(0)
	v_add_f64 v[8:9], v[8:9], v[24:25]
	v_add_co_u32 v24, vcc_lo, s6, v34
	v_add_co_ci_u32_e32 v25, vcc_lo, s7, v35, vcc_lo
	global_load_b64 v[24:25], v[24:25], off
	;; [unrolled: 5-line block ×4, first 2 shown]
	s_waitcnt vmcnt(0)
	v_add_f64 v[24:25], v[8:9], v[24:25]
	v_div_scale_f64 v[8:9], null, v[36:37], v[36:37], 1.0
	s_delay_alu instid0(VALU_DEP_1) | instskip(SKIP_2) | instid1(VALU_DEP_1)
	v_rcp_f64_e32 v[26:27], v[8:9]
	s_waitcnt_depctr 0xfff
	v_fma_f64 v[32:33], -v[8:9], v[26:27], 1.0
	v_fma_f64 v[26:27], v[26:27], v[32:33], v[26:27]
	s_delay_alu instid0(VALU_DEP_1) | instskip(NEXT) | instid1(VALU_DEP_1)
	v_fma_f64 v[32:33], -v[8:9], v[26:27], 1.0
	v_fma_f64 v[26:27], v[26:27], v[32:33], v[26:27]
	v_div_scale_f64 v[32:33], vcc_lo, 1.0, v[36:37], 1.0
	s_delay_alu instid0(VALU_DEP_1) | instskip(NEXT) | instid1(VALU_DEP_1)
	v_mul_f64 v[34:35], v[32:33], v[26:27]
	v_fma_f64 v[8:9], -v[8:9], v[34:35], v[32:33]
	s_delay_alu instid0(VALU_DEP_1) | instskip(SKIP_2) | instid1(VALU_DEP_3)
	v_div_fmas_f64 v[8:9], v[8:9], v[26:27], v[34:35]
	v_add_co_u32 v20, vcc_lo, s2, v20
	v_add_co_ci_u32_e32 v21, vcc_lo, s3, v21, vcc_lo
	v_div_fixup_f64 v[8:9], v[8:9], v[36:37], 1.0
	s_delay_alu instid0(VALU_DEP_1) | instskip(SKIP_4) | instid1(VALU_DEP_1)
	v_mul_f64 v[24:25], v[8:9], v[24:25]
	global_store_b64 v[20:21], v[24:25], off
	v_mul_f64 v[20:21], v[8:9], v[4:5]
	v_mad_u64_u32 v[4:5], null, 0xffffffe9, s1, v[14:15]
	v_mov_b32_e32 v5, v1
	v_lshlrev_b64 v[14:15], 3, v[4:5]
	s_delay_alu instid0(VALU_DEP_1) | instskip(NEXT) | instid1(VALU_DEP_2)
	v_add_co_u32 v14, vcc_lo, s2, v14
	v_add_co_ci_u32_e32 v15, vcc_lo, s3, v15, vcc_lo
	v_add_co_u32 v2, vcc_lo, s2, v2
	v_add_co_ci_u32_e32 v3, vcc_lo, s3, v3, vcc_lo
	global_store_b64 v[14:15], v[20:21], off
	s_clause 0x1
	global_load_b64 v[14:15], v[18:19], off
	global_load_b64 v[16:17], v[16:17], off
	s_waitcnt vmcnt(0)
	v_add_f64 v[14:15], v[14:15], v[16:17]
	s_delay_alu instid0(VALU_DEP_1)
	v_mul_f64 v[8:9], v[8:9], v[14:15]
	global_store_b64 v[2:3], v[8:9], off
	v_mad_u64_u32 v[2:3], null, 0x61, s1, v[4:5]
	v_mov_b32_e32 v3, v1
	global_load_b64 v[5:6], v[6:7], off
	v_lshlrev_b64 v[3:4], 3, v[2:3]
	v_add_nc_u32_e32 v0, s8, v2
	s_delay_alu instid0(VALU_DEP_2) | instskip(NEXT) | instid1(VALU_DEP_3)
	v_add_co_u32 v8, vcc_lo, s4, v3
	v_add_co_ci_u32_e32 v9, vcc_lo, s5, v4, vcc_lo
	global_load_b64 v[8:9], v[8:9], off
	s_waitcnt vmcnt(0)
	v_add_f64 v[8:9], v[10:11], v[8:9]
	global_load_b64 v[10:11], v[12:13], off
	s_waitcnt vmcnt(0)
	v_add_f64 v[8:9], v[8:9], v[10:11]
	v_lshlrev_b64 v[10:11], 3, v[0:1]
	v_add_nc_u32_e32 v0, s1, v0
	s_delay_alu instid0(VALU_DEP_2) | instskip(NEXT) | instid1(VALU_DEP_3)
	v_add_co_u32 v12, vcc_lo, s4, v10
	v_add_co_ci_u32_e32 v13, vcc_lo, s5, v11, vcc_lo
	global_load_b64 v[12:13], v[12:13], off
	s_waitcnt vmcnt(0)
	v_add_f64 v[8:9], v[8:9], v[12:13]
	v_lshlrev_b64 v[12:13], 3, v[0:1]
	v_add_nc_u32_e32 v0, s8, v0
	s_delay_alu instid0(VALU_DEP_2) | instskip(NEXT) | instid1(VALU_DEP_3)
	v_add_co_u32 v14, vcc_lo, s4, v12
	v_add_co_ci_u32_e32 v15, vcc_lo, s5, v13, vcc_lo
	global_load_b64 v[14:15], v[14:15], off
	s_waitcnt vmcnt(0)
	v_add_f64 v[8:9], v[8:9], v[14:15]
	s_delay_alu instid0(VALU_DEP_1) | instskip(SKIP_1) | instid1(VALU_DEP_1)
	v_add_f64 v[5:6], v[8:9], v[5:6]
	v_lshlrev_b64 v[7:8], 3, v[0:1]
	v_add_co_u32 v14, vcc_lo, s4, v7
	s_delay_alu instid0(VALU_DEP_2)
	v_add_co_ci_u32_e32 v15, vcc_lo, s5, v8, vcc_lo
	global_load_b64 v[14:15], v[14:15], off
	s_waitcnt vmcnt(0)
	v_add_f64 v[5:6], v[5:6], v[14:15]
	v_mad_u64_u32 v[14:15], null, 0xffffffdc, s1, v[0:1]
	v_mov_b32_e32 v15, v1
	s_delay_alu instid0(VALU_DEP_1) | instskip(SKIP_1) | instid1(VALU_DEP_2)
	v_lshlrev_b64 v[15:16], 3, v[14:15]
	v_add_nc_u32_e32 v0, s10, v14
	v_add_co_u32 v17, vcc_lo, s6, v15
	s_delay_alu instid0(VALU_DEP_3) | instskip(SKIP_4) | instid1(VALU_DEP_1)
	v_add_co_ci_u32_e32 v18, vcc_lo, s7, v16, vcc_lo
	global_load_b64 v[17:18], v[17:18], off
	s_waitcnt vmcnt(0)
	v_add_f64 v[5:6], v[5:6], v[17:18]
	v_lshlrev_b64 v[17:18], 3, v[0:1]
	v_add_co_u32 v19, vcc_lo, s6, v17
	s_delay_alu instid0(VALU_DEP_2)
	v_add_co_ci_u32_e32 v20, vcc_lo, s7, v18, vcc_lo
	v_add_co_u32 v14, vcc_lo, s4, v15
	v_add_co_ci_u32_e32 v15, vcc_lo, s5, v16, vcc_lo
	v_add_co_u32 v16, vcc_lo, s4, v17
	v_add_co_ci_u32_e32 v17, vcc_lo, s5, v18, vcc_lo
	global_load_b64 v[14:15], v[14:15], off
	v_add_co_u32 v2, vcc_lo, s6, v3
	global_load_b64 v[16:17], v[16:17], off
	v_add_co_ci_u32_e32 v3, vcc_lo, s7, v4, vcc_lo
	v_add_co_u32 v9, vcc_lo, s6, v10
	v_add_co_ci_u32_e32 v10, vcc_lo, s7, v11, vcc_lo
	s_clause 0x2
	global_load_b64 v[2:3], v[2:3], off
	global_load_b64 v[19:20], v[19:20], off
	;; [unrolled: 1-line block ×3, first 2 shown]
	s_waitcnt vmcnt(3)
	v_add_f64 v[14:15], v[14:15], v[16:17]
	s_waitcnt vmcnt(2)
	s_delay_alu instid0(VALU_DEP_1) | instskip(SKIP_1) | instid1(VALU_DEP_1)
	v_add_f64 v[2:3], v[14:15], v[2:3]
	s_waitcnt vmcnt(0)
	v_add_f64 v[2:3], v[2:3], v[9:10]
	v_add_co_u32 v9, vcc_lo, s6, v12
	v_add_co_ci_u32_e32 v10, vcc_lo, s7, v13, vcc_lo
	v_add_co_u32 v7, vcc_lo, s6, v7
	v_add_co_ci_u32_e32 v8, vcc_lo, s7, v8, vcc_lo
	global_load_b64 v[9:10], v[9:10], off
	v_add_f64 v[5:6], v[5:6], v[19:20]
	global_load_b64 v[7:8], v[7:8], off
	s_waitcnt vmcnt(1)
	v_add_f64 v[2:3], v[2:3], v[9:10]
	s_waitcnt vmcnt(0)
	s_delay_alu instid0(VALU_DEP_1) | instskip(SKIP_1) | instid1(VALU_DEP_1)
	v_add_f64 v[2:3], v[2:3], v[7:8]
	v_div_scale_f64 v[7:8], null, v[5:6], v[5:6], 1.0
	v_rcp_f64_e32 v[9:10], v[7:8]
	s_waitcnt_depctr 0xfff
	v_fma_f64 v[11:12], -v[7:8], v[9:10], 1.0
	s_delay_alu instid0(VALU_DEP_1) | instskip(NEXT) | instid1(VALU_DEP_1)
	v_fma_f64 v[9:10], v[9:10], v[11:12], v[9:10]
	v_fma_f64 v[11:12], -v[7:8], v[9:10], 1.0
	s_delay_alu instid0(VALU_DEP_1) | instskip(SKIP_1) | instid1(VALU_DEP_1)
	v_fma_f64 v[9:10], v[9:10], v[11:12], v[9:10]
	v_div_scale_f64 v[11:12], vcc_lo, 1.0, v[5:6], 1.0
	v_mul_f64 v[13:14], v[11:12], v[9:10]
	s_delay_alu instid0(VALU_DEP_1) | instskip(NEXT) | instid1(VALU_DEP_1)
	v_fma_f64 v[7:8], -v[7:8], v[13:14], v[11:12]
	v_div_fmas_f64 v[7:8], v[7:8], v[9:10], v[13:14]
	s_delay_alu instid0(VALU_DEP_1) | instskip(NEXT) | instid1(VALU_DEP_1)
	v_div_fixup_f64 v[4:5], v[7:8], v[5:6], 1.0
	v_mul_f64 v[6:7], v[4:5], v[2:3]
	v_mad_u64_u32 v[2:3], null, 0xffffffb0, s1, v[0:1]
	v_mov_b32_e32 v3, v1
	s_delay_alu instid0(VALU_DEP_1) | instskip(SKIP_1) | instid1(VALU_DEP_2)
	v_lshlrev_b64 v[8:9], 3, v[2:3]
	v_add_nc_u32_e32 v0, s0, v2
	v_add_co_u32 v8, vcc_lo, s2, v8
	s_delay_alu instid0(VALU_DEP_3) | instskip(NEXT) | instid1(VALU_DEP_3)
	v_add_co_ci_u32_e32 v9, vcc_lo, s3, v9, vcc_lo
	v_lshlrev_b64 v[0:1], 3, v[0:1]
	s_delay_alu instid0(VALU_DEP_1) | instskip(NEXT) | instid1(VALU_DEP_2)
	v_add_co_u32 v0, vcc_lo, s2, v0
	v_add_co_ci_u32_e32 v1, vcc_lo, s3, v1, vcc_lo
	global_store_b64 v[8:9], v[6:7], off
	s_clause 0x1
	global_load_b64 v[6:7], v[28:29], off
	global_load_b64 v[8:9], v[30:31], off
	s_waitcnt vmcnt(0)
	v_add_f64 v[6:7], v[6:7], v[8:9]
	global_load_b64 v[8:9], v[22:23], off
	s_waitcnt vmcnt(0)
	v_add_f64 v[6:7], v[6:7], v[8:9]
	s_delay_alu instid0(VALU_DEP_1)
	v_mul_f64 v[3:4], v[4:5], v[6:7]
	global_store_b64 v[0:1], v[3:4], off
	s_nop 0
	s_sendmsg sendmsg(MSG_DEALLOC_VGPRS)
	s_endpgm
	.section	.rodata,"a",@progbits
	.p2align	6, 0x0
	.amdhsa_kernel _Z11qssa_kernelIdEvPT_S1_S1_
		.amdhsa_group_segment_fixed_size 0
		.amdhsa_private_segment_fixed_size 0
		.amdhsa_kernarg_size 280
		.amdhsa_user_sgpr_count 15
		.amdhsa_user_sgpr_dispatch_ptr 0
		.amdhsa_user_sgpr_queue_ptr 0
		.amdhsa_user_sgpr_kernarg_segment_ptr 1
		.amdhsa_user_sgpr_dispatch_id 0
		.amdhsa_user_sgpr_private_segment_size 0
		.amdhsa_wavefront_size32 1
		.amdhsa_uses_dynamic_stack 0
		.amdhsa_enable_private_segment 0
		.amdhsa_system_sgpr_workgroup_id_x 1
		.amdhsa_system_sgpr_workgroup_id_y 0
		.amdhsa_system_sgpr_workgroup_id_z 0
		.amdhsa_system_sgpr_workgroup_info 0
		.amdhsa_system_vgpr_workitem_id 0
		.amdhsa_next_free_vgpr 132
		.amdhsa_next_free_sgpr 19
		.amdhsa_reserve_vcc 1
		.amdhsa_float_round_mode_32 0
		.amdhsa_float_round_mode_16_64 0
		.amdhsa_float_denorm_mode_32 3
		.amdhsa_float_denorm_mode_16_64 3
		.amdhsa_dx10_clamp 1
		.amdhsa_ieee_mode 1
		.amdhsa_fp16_overflow 0
		.amdhsa_workgroup_processor_mode 1
		.amdhsa_memory_ordered 1
		.amdhsa_forward_progress 0
		.amdhsa_shared_vgpr_count 0
		.amdhsa_exception_fp_ieee_invalid_op 0
		.amdhsa_exception_fp_denorm_src 0
		.amdhsa_exception_fp_ieee_div_zero 0
		.amdhsa_exception_fp_ieee_overflow 0
		.amdhsa_exception_fp_ieee_underflow 0
		.amdhsa_exception_fp_ieee_inexact 0
		.amdhsa_exception_int_div_zero 0
	.end_amdhsa_kernel
	.section	.text._Z11qssa_kernelIdEvPT_S1_S1_,"axG",@progbits,_Z11qssa_kernelIdEvPT_S1_S1_,comdat
.Lfunc_end43:
	.size	_Z11qssa_kernelIdEvPT_S1_S1_, .Lfunc_end43-_Z11qssa_kernelIdEvPT_S1_S1_
                                        ; -- End function
	.section	.AMDGPU.csdata,"",@progbits
; Kernel info:
; codeLenInByte = 15224
; NumSgprs: 21
; NumVgprs: 132
; ScratchSize: 0
; MemoryBound: 1
; FloatMode: 240
; IeeeMode: 1
; LDSByteSize: 0 bytes/workgroup (compile time only)
; SGPRBlocks: 2
; VGPRBlocks: 16
; NumSGPRsForWavesPerEU: 21
; NumVGPRsForWavesPerEU: 132
; Occupancy: 10
; WaveLimiterHint : 1
; COMPUTE_PGM_RSRC2:SCRATCH_EN: 0
; COMPUTE_PGM_RSRC2:USER_SGPR: 15
; COMPUTE_PGM_RSRC2:TRAP_HANDLER: 0
; COMPUTE_PGM_RSRC2:TGID_X_EN: 1
; COMPUTE_PGM_RSRC2:TGID_Y_EN: 0
; COMPUTE_PGM_RSRC2:TGID_Z_EN: 0
; COMPUTE_PGM_RSRC2:TIDIG_COMP_CNT: 0
	.section	.text._Z12qssab_kernelIdEvPT_S1_S1_,"axG",@progbits,_Z12qssab_kernelIdEvPT_S1_S1_,comdat
	.protected	_Z12qssab_kernelIdEvPT_S1_S1_ ; -- Begin function _Z12qssab_kernelIdEvPT_S1_S1_
	.globl	_Z12qssab_kernelIdEvPT_S1_S1_
	.p2align	8
	.type	_Z12qssab_kernelIdEvPT_S1_S1_,@function
_Z12qssab_kernelIdEvPT_S1_S1_:          ; @_Z12qssab_kernelIdEvPT_S1_S1_
; %bb.0:
	s_clause 0x2
	s_load_b32 s2, s[0:1], 0x24
	s_load_b32 s3, s[0:1], 0x18
	s_load_b64 s[0:1], s[0:1], 0x10
	s_waitcnt lgkmcnt(0)
	s_and_b32 s4, s2, 0xffff
	s_delay_alu instid0(SALU_CYCLE_1)
	s_mul_i32 s2, s3, s4
	s_mul_i32 s15, s15, s4
	;; [unrolled: 1-line block ×4, first 2 shown]
	v_mov_b32_e32 v13, 0
	v_add3_u32 v12, s3, s15, v0
	s_mul_i32 s8, s2, 5
	s_mul_i32 s4, s2, 3
	;; [unrolled: 1-line block ×4, first 2 shown]
	v_mad_u64_u32 v[0:1], null, s2, 10, v[12:13]
	v_mov_b32_e32 v1, v13
	v_lshlrev_b64 v[2:3], 3, v[12:13]
	s_lshl_b32 s3, s2, 1
	s_mul_i32 s7, s2, -3
	s_delay_alu instid0(VALU_DEP_2) | instskip(SKIP_4) | instid1(VALU_DEP_4)
	v_mad_u64_u32 v[4:5], null, s2, 12, v[0:1]
	v_mov_b32_e32 v5, v13
	v_lshlrev_b64 v[0:1], 3, v[0:1]
	v_add_co_u32 v20, vcc_lo, s0, v2
	v_add_co_ci_u32_e32 v21, vcc_lo, s1, v3, vcc_lo
	v_lshlrev_b64 v[2:3], 3, v[4:5]
	s_delay_alu instid0(VALU_DEP_4) | instskip(SKIP_2) | instid1(VALU_DEP_4)
	v_add_co_u32 v0, vcc_lo, s0, v0
	v_add_co_ci_u32_e32 v1, vcc_lo, s1, v1, vcc_lo
	v_lshl_add_u32 v12, s2, 3, v4
	v_add_co_u32 v2, vcc_lo, s0, v2
	v_add_co_ci_u32_e32 v3, vcc_lo, s1, v3, vcc_lo
	s_clause 0x2
	global_load_b64 v[5:6], v[20:21], off
	global_load_b64 v[7:8], v[0:1], off
	;; [unrolled: 1-line block ×3, first 2 shown]
	s_waitcnt vmcnt(0)
	v_fma_f64 v[2:3], v[7:8], v[2:3], v[5:6]
	v_lshlrev_b64 v[4:5], 3, v[12:13]
	s_delay_alu instid0(VALU_DEP_1) | instskip(NEXT) | instid1(VALU_DEP_2)
	v_add_co_u32 v4, vcc_lo, s0, v4
	v_add_co_ci_u32_e32 v5, vcc_lo, s1, v5, vcc_lo
	global_store_b64 v[20:21], v[2:3], off
	s_clause 0x1
	global_load_b64 v[0:1], v[0:1], off
	global_load_b64 v[4:5], v[4:5], off
	s_waitcnt vmcnt(0)
	v_fma_f64 v[0:1], -v[0:1], v[4:5], 1.0
	s_delay_alu instid0(VALU_DEP_1) | instskip(SKIP_1) | instid1(VALU_DEP_2)
	v_div_scale_f64 v[4:5], null, v[0:1], v[0:1], 1.0
	v_div_scale_f64 v[10:11], vcc_lo, 1.0, v[0:1], 1.0
	v_rcp_f64_e32 v[6:7], v[4:5]
	s_waitcnt_depctr 0xfff
	v_fma_f64 v[8:9], -v[4:5], v[6:7], 1.0
	s_delay_alu instid0(VALU_DEP_1) | instskip(NEXT) | instid1(VALU_DEP_1)
	v_fma_f64 v[6:7], v[6:7], v[8:9], v[6:7]
	v_fma_f64 v[8:9], -v[4:5], v[6:7], 1.0
	s_delay_alu instid0(VALU_DEP_1) | instskip(NEXT) | instid1(VALU_DEP_1)
	v_fma_f64 v[6:7], v[6:7], v[8:9], v[6:7]
	v_mul_f64 v[8:9], v[10:11], v[6:7]
	s_delay_alu instid0(VALU_DEP_1) | instskip(NEXT) | instid1(VALU_DEP_1)
	v_fma_f64 v[4:5], -v[4:5], v[8:9], v[10:11]
	v_div_fmas_f64 v[4:5], v[4:5], v[6:7], v[8:9]
	s_delay_alu instid0(VALU_DEP_1) | instskip(SKIP_2) | instid1(VALU_DEP_1)
	v_div_fixup_f64 v[0:1], v[4:5], v[0:1], 1.0
	v_mad_u64_u32 v[4:5], null, 0xffffffe6, s2, v[12:13]
	v_mov_b32_e32 v5, v13
	v_lshlrev_b64 v[5:6], 3, v[4:5]
	v_subrev_nc_u32_e32 v12, s2, v4
	s_delay_alu instid0(VALU_DEP_2) | instskip(NEXT) | instid1(VALU_DEP_3)
	v_add_co_u32 v28, vcc_lo, s0, v5
	v_add_co_ci_u32_e32 v29, vcc_lo, s1, v6, vcc_lo
	s_delay_alu instid0(VALU_DEP_3) | instskip(SKIP_1) | instid1(VALU_DEP_2)
	v_lshlrev_b64 v[4:5], 3, v[12:13]
	v_add_nc_u32_e32 v12, s5, v12
	v_add_co_u32 v30, vcc_lo, s0, v4
	s_delay_alu instid0(VALU_DEP_3)
	v_add_co_ci_u32_e32 v31, vcc_lo, s1, v5, vcc_lo
	v_mul_f64 v[2:3], v[2:3], v[0:1]
	global_store_b64 v[20:21], v[2:3], off
	global_load_b64 v[2:3], v[28:29], off
	s_waitcnt vmcnt(0)
	v_mul_f64 v[2:3], v[2:3], v[0:1]
	global_store_b64 v[28:29], v[2:3], off
	global_load_b64 v[2:3], v[30:31], off
	s_waitcnt vmcnt(0)
	v_mul_f64 v[2:3], v[0:1], v[2:3]
	v_lshlrev_b64 v[0:1], 3, v[12:13]
	v_add_nc_u32_e32 v12, s8, v12
	s_delay_alu instid0(VALU_DEP_1) | instskip(SKIP_4) | instid1(VALU_DEP_4)
	v_mad_u64_u32 v[4:5], null, s2, 17, v[12:13]
	v_mov_b32_e32 v5, v13
	v_lshlrev_b64 v[6:7], 3, v[12:13]
	v_add_co_u32 v0, vcc_lo, s0, v0
	v_add_co_ci_u32_e32 v1, vcc_lo, s1, v1, vcc_lo
	v_lshlrev_b64 v[8:9], 3, v[4:5]
	s_delay_alu instid0(VALU_DEP_4) | instskip(SKIP_2) | instid1(VALU_DEP_4)
	v_add_co_u32 v5, vcc_lo, s0, v6
	v_add_co_ci_u32_e32 v6, vcc_lo, s1, v7, vcc_lo
	v_add_nc_u32_e32 v12, s4, v4
	v_add_co_u32 v7, vcc_lo, s0, v8
	v_add_co_ci_u32_e32 v8, vcc_lo, s1, v9, vcc_lo
	global_store_b64 v[30:31], v[2:3], off
	s_clause 0x2
	global_load_b64 v[2:3], v[0:1], off
	global_load_b64 v[9:10], v[5:6], off
	;; [unrolled: 1-line block ×3, first 2 shown]
	s_waitcnt vmcnt(0)
	v_fma_f64 v[2:3], v[9:10], v[7:8], v[2:3]
	v_lshlrev_b64 v[7:8], 3, v[12:13]
	s_delay_alu instid0(VALU_DEP_1) | instskip(NEXT) | instid1(VALU_DEP_2)
	v_add_co_u32 v7, vcc_lo, s0, v7
	v_add_co_ci_u32_e32 v8, vcc_lo, s1, v8, vcc_lo
	global_store_b64 v[0:1], v[2:3], off
	s_clause 0x1
	global_load_b64 v[4:5], v[5:6], off
	global_load_b64 v[6:7], v[7:8], off
	s_waitcnt vmcnt(0)
	v_fma_f64 v[4:5], -v[4:5], v[6:7], 1.0
	s_delay_alu instid0(VALU_DEP_1) | instskip(SKIP_1) | instid1(VALU_DEP_2)
	v_div_scale_f64 v[6:7], null, v[4:5], v[4:5], 1.0
	v_div_scale_f64 v[14:15], vcc_lo, 1.0, v[4:5], 1.0
	v_rcp_f64_e32 v[8:9], v[6:7]
	s_waitcnt_depctr 0xfff
	v_fma_f64 v[10:11], -v[6:7], v[8:9], 1.0
	s_delay_alu instid0(VALU_DEP_1) | instskip(NEXT) | instid1(VALU_DEP_1)
	v_fma_f64 v[8:9], v[8:9], v[10:11], v[8:9]
	v_fma_f64 v[10:11], -v[6:7], v[8:9], 1.0
	s_delay_alu instid0(VALU_DEP_1) | instskip(NEXT) | instid1(VALU_DEP_1)
	v_fma_f64 v[8:9], v[8:9], v[10:11], v[8:9]
	v_mul_f64 v[10:11], v[14:15], v[8:9]
	s_delay_alu instid0(VALU_DEP_1) | instskip(NEXT) | instid1(VALU_DEP_1)
	v_fma_f64 v[6:7], -v[6:7], v[10:11], v[14:15]
	v_div_fmas_f64 v[6:7], v[6:7], v[8:9], v[10:11]
	v_mad_u64_u32 v[8:9], null, 0xffffffeb, s2, v[12:13]
	v_mov_b32_e32 v9, v13
	s_delay_alu instid0(VALU_DEP_2) | instskip(NEXT) | instid1(VALU_DEP_4)
	v_subrev_nc_u32_e32 v12, s3, v8
	v_div_fixup_f64 v[4:5], v[6:7], v[4:5], 1.0
	s_delay_alu instid0(VALU_DEP_1) | instskip(NEXT) | instid1(VALU_DEP_4)
	v_mul_f64 v[6:7], v[2:3], v[4:5]
	v_lshlrev_b64 v[2:3], 3, v[8:9]
	s_delay_alu instid0(VALU_DEP_1) | instskip(NEXT) | instid1(VALU_DEP_2)
	v_add_co_u32 v2, vcc_lo, s0, v2
	v_add_co_ci_u32_e32 v3, vcc_lo, s1, v3, vcc_lo
	global_store_b64 v[0:1], v[6:7], off
	global_load_b64 v[6:7], v[2:3], off
	s_waitcnt vmcnt(0)
	v_mul_f64 v[9:10], v[6:7], v[4:5]
	v_lshlrev_b64 v[6:7], 3, v[12:13]
	v_subrev_nc_u32_e32 v12, s2, v12
	s_delay_alu instid0(VALU_DEP_2) | instskip(NEXT) | instid1(VALU_DEP_3)
	v_add_co_u32 v6, vcc_lo, s0, v6
	v_add_co_ci_u32_e32 v7, vcc_lo, s1, v7, vcc_lo
	global_store_b64 v[2:3], v[9:10], off
	global_load_b64 v[8:9], v[6:7], off
	v_lshlrev_b64 v[10:11], 3, v[12:13]
	v_add_nc_u32_e32 v12, s9, v12
	s_delay_alu instid0(VALU_DEP_2) | instskip(NEXT) | instid1(VALU_DEP_3)
	v_add_co_u32 v18, vcc_lo, s0, v10
	v_add_co_ci_u32_e32 v19, vcc_lo, s1, v11, vcc_lo
	s_delay_alu instid0(VALU_DEP_3) | instskip(SKIP_1) | instid1(VALU_DEP_2)
	v_lshlrev_b64 v[10:11], 3, v[12:13]
	v_subrev_nc_u32_e32 v12, s3, v12
	v_add_co_u32 v34, vcc_lo, s0, v10
	s_delay_alu instid0(VALU_DEP_3) | instskip(NEXT) | instid1(VALU_DEP_3)
	v_add_co_ci_u32_e32 v35, vcc_lo, s1, v11, vcc_lo
	v_lshlrev_b64 v[10:11], 3, v[12:13]
	v_add_nc_u32_e32 v12, s8, v12
	s_delay_alu instid0(VALU_DEP_2) | instskip(NEXT) | instid1(VALU_DEP_3)
	v_add_co_u32 v32, vcc_lo, s0, v10
	v_add_co_ci_u32_e32 v33, vcc_lo, s1, v11, vcc_lo
	s_waitcnt vmcnt(0)
	v_mul_f64 v[8:9], v[4:5], v[8:9]
	global_store_b64 v[6:7], v[8:9], off
	global_load_b64 v[8:9], v[18:19], off
	s_waitcnt vmcnt(0)
	v_mul_f64 v[8:9], v[4:5], v[8:9]
	global_store_b64 v[18:19], v[8:9], off
	global_load_b64 v[8:9], v[34:35], off
	;; [unrolled: 4-line block ×3, first 2 shown]
	s_waitcnt vmcnt(0)
	v_mul_f64 v[8:9], v[4:5], v[8:9]
	v_lshlrev_b64 v[4:5], 3, v[12:13]
	v_add_nc_u32_e32 v12, s6, v12
	s_delay_alu instid0(VALU_DEP_1) | instskip(SKIP_4) | instid1(VALU_DEP_4)
	v_mad_u64_u32 v[10:11], null, s2, 46, v[12:13]
	v_mov_b32_e32 v11, v13
	v_lshlrev_b64 v[14:15], 3, v[12:13]
	v_add_co_u32 v4, vcc_lo, s0, v4
	v_add_co_ci_u32_e32 v5, vcc_lo, s1, v5, vcc_lo
	v_lshlrev_b64 v[11:12], 3, v[10:11]
	s_delay_alu instid0(VALU_DEP_4) | instskip(SKIP_1) | instid1(VALU_DEP_3)
	v_add_co_u32 v14, vcc_lo, s0, v14
	v_add_co_ci_u32_e32 v15, vcc_lo, s1, v15, vcc_lo
	v_add_co_u32 v16, vcc_lo, s0, v11
	s_delay_alu instid0(VALU_DEP_4)
	v_add_co_ci_u32_e32 v17, vcc_lo, s1, v12, vcc_lo
	global_store_b64 v[32:33], v[8:9], off
	s_clause 0x2
	global_load_b64 v[8:9], v[4:5], off
	global_load_b64 v[11:12], v[14:15], off
	;; [unrolled: 1-line block ×3, first 2 shown]
	s_waitcnt vmcnt(0)
	v_fma_f64 v[8:9], v[11:12], v[22:23], v[8:9]
	v_mad_u64_u32 v[11:12], null, 0xffffffd0, s2, v[10:11]
	v_mov_b32_e32 v12, v13
	s_delay_alu instid0(VALU_DEP_1) | instskip(SKIP_2) | instid1(VALU_DEP_2)
	v_mad_u64_u32 v[22:23], null, s2, 55, v[11:12]
	v_mov_b32_e32 v23, v13
	v_lshlrev_b64 v[10:11], 3, v[11:12]
	v_lshlrev_b64 v[23:24], 3, v[22:23]
	v_add_nc_u32_e32 v12, s7, v22
	s_delay_alu instid0(VALU_DEP_2) | instskip(NEXT) | instid1(VALU_DEP_3)
	v_add_co_u32 v25, vcc_lo, s0, v23
	v_add_co_ci_u32_e32 v26, vcc_lo, s1, v24, vcc_lo
	v_add_co_u32 v10, vcc_lo, s0, v10
	v_add_co_ci_u32_e32 v11, vcc_lo, s1, v11, vcc_lo
	global_store_b64 v[4:5], v[8:9], off
	s_clause 0x2
	global_load_b64 v[8:9], v[25:26], off
	global_load_b64 v[23:24], v[10:11], off
	;; [unrolled: 1-line block ×3, first 2 shown]
	s_waitcnt vmcnt(0)
	v_fma_f64 v[8:9], v[36:37], v[8:9], v[23:24]
	v_lshlrev_b64 v[22:23], 3, v[12:13]
	s_delay_alu instid0(VALU_DEP_1) | instskip(NEXT) | instid1(VALU_DEP_2)
	v_add_co_u32 v36, vcc_lo, s0, v22
	v_add_co_ci_u32_e32 v37, vcc_lo, s1, v23, vcc_lo
	global_store_b64 v[10:11], v[8:9], off
	s_clause 0x2
	global_load_b64 v[8:9], v[36:37], off
	global_load_b64 v[14:15], v[14:15], off
	;; [unrolled: 1-line block ×3, first 2 shown]
	s_waitcnt vmcnt(1)
	v_fma_f64 v[8:9], -v[14:15], v[8:9], 1.0
	s_delay_alu instid0(VALU_DEP_1) | instskip(SKIP_1) | instid1(VALU_DEP_2)
	v_div_scale_f64 v[14:15], null, v[8:9], v[8:9], 1.0
	v_div_scale_f64 v[42:43], vcc_lo, 1.0, v[8:9], 1.0
	v_rcp_f64_e32 v[38:39], v[14:15]
	s_waitcnt_depctr 0xfff
	v_fma_f64 v[40:41], -v[14:15], v[38:39], 1.0
	s_delay_alu instid0(VALU_DEP_1) | instskip(NEXT) | instid1(VALU_DEP_1)
	v_fma_f64 v[38:39], v[38:39], v[40:41], v[38:39]
	v_fma_f64 v[40:41], -v[14:15], v[38:39], 1.0
	s_delay_alu instid0(VALU_DEP_1) | instskip(NEXT) | instid1(VALU_DEP_1)
	v_fma_f64 v[38:39], v[38:39], v[40:41], v[38:39]
	v_mul_f64 v[40:41], v[42:43], v[38:39]
	s_delay_alu instid0(VALU_DEP_1) | instskip(NEXT) | instid1(VALU_DEP_1)
	v_fma_f64 v[14:15], -v[14:15], v[40:41], v[42:43]
	v_div_fmas_f64 v[14:15], v[14:15], v[38:39], v[40:41]
	v_mad_u64_u32 v[38:39], null, 0xffffffc8, s2, v[12:13]
	v_mov_b32_e32 v39, v13
	s_delay_alu instid0(VALU_DEP_2) | instskip(NEXT) | instid1(VALU_DEP_4)
	v_subrev_nc_u32_e32 v12, s2, v38
	v_div_fixup_f64 v[14:15], v[14:15], v[8:9], 1.0
	s_delay_alu instid0(VALU_DEP_3) | instskip(NEXT) | instid1(VALU_DEP_1)
	v_lshlrev_b64 v[8:9], 3, v[38:39]
	v_add_co_u32 v8, vcc_lo, s0, v8
	s_delay_alu instid0(VALU_DEP_2) | instskip(SKIP_1) | instid1(VALU_DEP_4)
	v_add_co_ci_u32_e32 v9, vcc_lo, s1, v9, vcc_lo
	s_waitcnt vmcnt(0)
	v_mul_f64 v[22:23], v[22:23], v[14:15]
	global_store_b64 v[4:5], v[22:23], off
	global_load_b64 v[22:23], v[8:9], off
	s_waitcnt vmcnt(0)
	v_mul_f64 v[22:23], v[14:15], v[22:23]
	global_store_b64 v[8:9], v[22:23], off
	global_load_b64 v[22:23], v[10:11], off
	s_waitcnt vmcnt(0)
	v_mul_f64 v[39:40], v[14:15], v[22:23]
	v_lshlrev_b64 v[22:23], 3, v[12:13]
	v_subrev_nc_u32_e32 v12, s2, v12
	s_delay_alu instid0(VALU_DEP_2) | instskip(NEXT) | instid1(VALU_DEP_3)
	v_add_co_u32 v22, vcc_lo, s0, v22
	v_add_co_ci_u32_e32 v23, vcc_lo, s1, v23, vcc_lo
	global_store_b64 v[10:11], v[39:40], off
	global_load_b64 v[38:39], v[22:23], off
	s_waitcnt vmcnt(0)
	v_mul_f64 v[40:41], v[14:15], v[38:39]
	v_lshlrev_b64 v[38:39], 3, v[12:13]
	v_add_nc_u32_e32 v12, s9, v12
	s_delay_alu instid0(VALU_DEP_1) | instskip(NEXT) | instid1(VALU_DEP_3)
	v_lshlrev_b64 v[42:43], 3, v[12:13]
	v_add_co_u32 v38, vcc_lo, s0, v38
	s_delay_alu instid0(VALU_DEP_4) | instskip(NEXT) | instid1(VALU_DEP_3)
	v_add_co_ci_u32_e32 v39, vcc_lo, s1, v39, vcc_lo
	v_add_co_u32 v48, vcc_lo, s0, v42
	s_delay_alu instid0(VALU_DEP_4)
	v_add_co_ci_u32_e32 v49, vcc_lo, s1, v43, vcc_lo
	global_store_b64 v[22:23], v[40:41], off
	global_load_b64 v[40:41], v[38:39], off
	s_waitcnt vmcnt(0)
	v_mul_f64 v[40:41], v[14:15], v[40:41]
	global_store_b64 v[38:39], v[40:41], off
	global_load_b64 v[40:41], v[48:49], off
	s_waitcnt vmcnt(0)
	v_mul_f64 v[40:41], v[14:15], v[40:41]
	v_mad_u64_u32 v[14:15], null, s2, 25, v[12:13]
	s_delay_alu instid0(VALU_DEP_1) | instskip(SKIP_2) | instid1(VALU_DEP_2)
	v_add_nc_u32_e32 v12, s6, v14
	s_mul_i32 s6, s2, -5
	v_mov_b32_e32 v15, v13
	v_lshlrev_b64 v[42:43], 3, v[12:13]
	v_add_nc_u32_e32 v12, s6, v12
	s_delay_alu instid0(VALU_DEP_3) | instskip(NEXT) | instid1(VALU_DEP_3)
	v_lshlrev_b64 v[14:15], 3, v[14:15]
	v_add_co_u32 v42, vcc_lo, s0, v42
	s_delay_alu instid0(VALU_DEP_4) | instskip(NEXT) | instid1(VALU_DEP_3)
	v_add_co_ci_u32_e32 v43, vcc_lo, s1, v43, vcc_lo
	v_add_co_u32 v14, vcc_lo, s0, v14
	s_delay_alu instid0(VALU_DEP_4)
	v_add_co_ci_u32_e32 v15, vcc_lo, s1, v15, vcc_lo
	global_store_b64 v[48:49], v[40:41], off
	s_clause 0x2
	global_load_b64 v[40:41], v[42:43], off
	global_load_b64 v[44:45], v[14:15], off
	;; [unrolled: 1-line block ×3, first 2 shown]
	s_waitcnt vmcnt(0)
	v_fma_f64 v[40:41], v[40:41], v[16:17], v[44:45]
	v_lshlrev_b64 v[16:17], 3, v[12:13]
	v_subrev_nc_u32_e32 v12, s3, v12
	s_delay_alu instid0(VALU_DEP_2) | instskip(NEXT) | instid1(VALU_DEP_3)
	v_add_co_u32 v16, vcc_lo, s0, v16
	v_add_co_ci_u32_e32 v17, vcc_lo, s1, v17, vcc_lo
	global_store_b64 v[14:15], v[40:41], off
	s_clause 0x2
	global_load_b64 v[40:41], v[16:17], off
	global_load_b64 v[44:45], v[42:43], off
	;; [unrolled: 1-line block ×3, first 2 shown]
	s_waitcnt vmcnt(0)
	v_fma_f64 v[36:37], v[44:45], v[36:37], v[40:41]
	global_store_b64 v[16:17], v[36:37], off
	s_clause 0x2
	global_load_b64 v[24:25], v[25:26], off
	global_load_b64 v[26:27], v[42:43], off
	;; [unrolled: 1-line block ×3, first 2 shown]
	s_waitcnt vmcnt(1)
	v_fma_f64 v[24:25], -v[26:27], v[24:25], 1.0
	s_delay_alu instid0(VALU_DEP_1) | instskip(SKIP_1) | instid1(VALU_DEP_2)
	v_div_scale_f64 v[26:27], null, v[24:25], v[24:25], 1.0
	v_div_scale_f64 v[44:45], vcc_lo, 1.0, v[24:25], 1.0
	v_rcp_f64_e32 v[40:41], v[26:27]
	s_waitcnt_depctr 0xfff
	v_fma_f64 v[42:43], -v[26:27], v[40:41], 1.0
	s_delay_alu instid0(VALU_DEP_1) | instskip(NEXT) | instid1(VALU_DEP_1)
	v_fma_f64 v[40:41], v[40:41], v[42:43], v[40:41]
	v_fma_f64 v[42:43], -v[26:27], v[40:41], 1.0
	s_delay_alu instid0(VALU_DEP_1) | instskip(NEXT) | instid1(VALU_DEP_1)
	v_fma_f64 v[40:41], v[40:41], v[42:43], v[40:41]
	v_mul_f64 v[42:43], v[44:45], v[40:41]
	s_delay_alu instid0(VALU_DEP_1) | instskip(NEXT) | instid1(VALU_DEP_1)
	v_fma_f64 v[26:27], -v[26:27], v[42:43], v[44:45]
	v_div_fmas_f64 v[26:27], v[26:27], v[40:41], v[42:43]
	s_delay_alu instid0(VALU_DEP_1) | instskip(SKIP_1) | instid1(VALU_DEP_1)
	v_div_fixup_f64 v[26:27], v[26:27], v[24:25], 1.0
	s_waitcnt vmcnt(0)
	v_mul_f64 v[24:25], v[36:37], v[26:27]
	global_store_b64 v[14:15], v[24:25], off
	global_load_b64 v[24:25], v[16:17], off
	s_waitcnt vmcnt(0)
	v_mul_f64 v[36:37], v[26:27], v[24:25]
	v_lshlrev_b64 v[24:25], 3, v[12:13]
	v_subrev_nc_u32_e32 v12, s2, v12
	s_delay_alu instid0(VALU_DEP_2) | instskip(NEXT) | instid1(VALU_DEP_3)
	v_add_co_u32 v24, vcc_lo, s0, v24
	v_add_co_ci_u32_e32 v25, vcc_lo, s1, v25, vcc_lo
	global_store_b64 v[16:17], v[36:37], off
	global_load_b64 v[36:37], v[24:25], off
	s_waitcnt vmcnt(0)
	v_mul_f64 v[40:41], v[26:27], v[36:37]
	v_lshlrev_b64 v[36:37], 3, v[12:13]
	v_add_nc_u32_e32 v12, s8, v12
	s_delay_alu instid0(VALU_DEP_1) | instskip(NEXT) | instid1(VALU_DEP_3)
	v_lshlrev_b64 v[42:43], 3, v[12:13]
	v_add_co_u32 v36, vcc_lo, s0, v36
	s_delay_alu instid0(VALU_DEP_4) | instskip(NEXT) | instid1(VALU_DEP_3)
	v_add_co_ci_u32_e32 v37, vcc_lo, s1, v37, vcc_lo
	v_add_co_u32 v42, vcc_lo, s0, v42
	s_delay_alu instid0(VALU_DEP_4)
	v_add_co_ci_u32_e32 v43, vcc_lo, s1, v43, vcc_lo
	global_store_b64 v[24:25], v[40:41], off
	global_load_b64 v[40:41], v[36:37], off
	s_waitcnt vmcnt(0)
	v_mul_f64 v[40:41], v[26:27], v[40:41]
	global_store_b64 v[36:37], v[40:41], off
	global_load_b64 v[40:41], v[42:43], off
	s_waitcnt vmcnt(0)
	v_mul_f64 v[26:27], v[26:27], v[40:41]
	v_mad_u64_u32 v[40:41], null, 0xffffffef, s2, v[12:13]
	v_mov_b32_e32 v41, v13
	s_delay_alu instid0(VALU_DEP_1) | instskip(SKIP_1) | instid1(VALU_DEP_1)
	v_lshlrev_b64 v[44:45], 3, v[40:41]
	v_add_nc_u32_e32 v12, s9, v40
	v_lshlrev_b64 v[40:41], 3, v[12:13]
	s_delay_alu instid0(VALU_DEP_3) | instskip(NEXT) | instid1(VALU_DEP_4)
	v_add_co_u32 v44, vcc_lo, s0, v44
	v_add_co_ci_u32_e32 v45, vcc_lo, s1, v45, vcc_lo
	global_store_b64 v[42:43], v[26:27], off
	s_clause 0x2
	global_load_b64 v[26:27], v[0:1], off
	global_load_b64 v[46:47], v[32:33], off
	;; [unrolled: 1-line block ×3, first 2 shown]
	s_waitcnt vmcnt(0)
	v_fma_f64 v[26:27], v[46:47], v[50:51], v[26:27]
	v_add_co_u32 v46, vcc_lo, s0, v40
	v_add_co_ci_u32_e32 v47, vcc_lo, s1, v41, vcc_lo
	global_store_b64 v[0:1], v[26:27], off
	s_clause 0x1
	global_load_b64 v[26:27], v[32:33], off
	global_load_b64 v[40:41], v[46:47], off
	s_waitcnt vmcnt(0)
	v_mul_f64 v[40:41], v[26:27], v[40:41]
	v_mad_u64_u32 v[26:27], null, 0xffffffdf, s2, v[12:13]
	v_mov_b32_e32 v27, v13
	s_delay_alu instid0(VALU_DEP_1) | instskip(SKIP_2) | instid1(VALU_DEP_3)
	v_mad_u64_u32 v[50:51], null, s2, 28, v[26:27]
	v_mov_b32_e32 v51, v13
	v_lshlrev_b64 v[26:27], 3, v[26:27]
	v_add_nc_u32_e32 v12, s2, v50
	s_delay_alu instid0(VALU_DEP_3) | instskip(NEXT) | instid1(VALU_DEP_3)
	v_lshlrev_b64 v[51:52], 3, v[50:51]
	v_add_co_u32 v26, vcc_lo, s0, v26
	s_delay_alu instid0(VALU_DEP_4) | instskip(NEXT) | instid1(VALU_DEP_3)
	v_add_co_ci_u32_e32 v27, vcc_lo, s1, v27, vcc_lo
	v_add_co_u32 v51, vcc_lo, s0, v51
	s_delay_alu instid0(VALU_DEP_4)
	v_add_co_ci_u32_e32 v52, vcc_lo, s1, v52, vcc_lo
	global_store_b64 v[26:27], v[40:41], off
	s_clause 0x2
	global_load_b64 v[40:41], v[6:7], off
	global_load_b64 v[53:54], v[32:33], off
	;; [unrolled: 1-line block ×3, first 2 shown]
	s_waitcnt vmcnt(0)
	v_fma_f64 v[40:41], v[53:54], v[55:56], v[40:41]
	v_lshlrev_b64 v[53:54], 3, v[12:13]
	s_delay_alu instid0(VALU_DEP_1) | instskip(NEXT) | instid1(VALU_DEP_2)
	v_add_co_u32 v53, vcc_lo, s0, v53
	v_add_co_ci_u32_e32 v54, vcc_lo, s1, v54, vcc_lo
	global_store_b64 v[6:7], v[40:41], off
	s_clause 0x2
	global_load_b64 v[40:41], v[53:54], off
	global_load_b64 v[32:33], v[32:33], off
	;; [unrolled: 1-line block ×3, first 2 shown]
	s_waitcnt vmcnt(1)
	v_fma_f64 v[32:33], -v[32:33], v[40:41], 1.0
	s_delay_alu instid0(VALU_DEP_1) | instskip(SKIP_1) | instid1(VALU_DEP_2)
	v_div_scale_f64 v[40:41], null, v[32:33], v[32:33], 1.0
	v_div_scale_f64 v[61:62], vcc_lo, 1.0, v[32:33], 1.0
	v_rcp_f64_e32 v[57:58], v[40:41]
	s_waitcnt_depctr 0xfff
	v_fma_f64 v[59:60], -v[40:41], v[57:58], 1.0
	s_delay_alu instid0(VALU_DEP_1) | instskip(NEXT) | instid1(VALU_DEP_1)
	v_fma_f64 v[57:58], v[57:58], v[59:60], v[57:58]
	v_fma_f64 v[59:60], -v[40:41], v[57:58], 1.0
	s_delay_alu instid0(VALU_DEP_1) | instskip(NEXT) | instid1(VALU_DEP_1)
	v_fma_f64 v[57:58], v[57:58], v[59:60], v[57:58]
	v_mul_f64 v[59:60], v[61:62], v[57:58]
	s_delay_alu instid0(VALU_DEP_1) | instskip(NEXT) | instid1(VALU_DEP_1)
	v_fma_f64 v[40:41], -v[40:41], v[59:60], v[61:62]
	v_div_fmas_f64 v[40:41], v[40:41], v[57:58], v[59:60]
	s_delay_alu instid0(VALU_DEP_1) | instskip(SKIP_1) | instid1(VALU_DEP_1)
	v_div_fixup_f64 v[32:33], v[40:41], v[32:33], 1.0
	s_waitcnt vmcnt(0)
	v_mul_f64 v[40:41], v[55:56], v[32:33]
	global_store_b64 v[0:1], v[40:41], off
	global_load_b64 v[40:41], v[2:3], off
	s_waitcnt vmcnt(0)
	v_mul_f64 v[40:41], v[32:33], v[40:41]
	global_store_b64 v[2:3], v[40:41], off
	global_load_b64 v[40:41], v[26:27], off
	;; [unrolled: 4-line block ×5, first 2 shown]
	s_waitcnt vmcnt(0)
	v_mul_f64 v[32:33], v[32:33], v[40:41]
	global_store_b64 v[34:35], v[32:33], off
	s_clause 0x2
	global_load_b64 v[32:33], v[14:15], off
	global_load_b64 v[40:41], v[42:43], off
	;; [unrolled: 1-line block ×3, first 2 shown]
	s_waitcnt vmcnt(0)
	v_fma_f64 v[32:33], v[40:41], v[55:56], v[32:33]
	v_mad_u64_u32 v[55:56], null, s2, 11, v[12:13]
	v_mov_b32_e32 v56, v13
	s_delay_alu instid0(VALU_DEP_2)
	v_add_nc_u32_e32 v12, s5, v55
	s_lshl_b32 s5, s2, 2
	global_store_b64 v[14:15], v[32:33], off
	s_clause 0x1
	global_load_b64 v[32:33], v[42:43], off
	global_load_b64 v[40:41], v[53:54], off
	s_waitcnt vmcnt(0)
	v_mul_f64 v[40:41], v[32:33], v[40:41]
	v_lshlrev_b64 v[32:33], 3, v[55:56]
	s_delay_alu instid0(VALU_DEP_1) | instskip(NEXT) | instid1(VALU_DEP_2)
	v_add_co_u32 v32, vcc_lo, s0, v32
	v_add_co_ci_u32_e32 v33, vcc_lo, s1, v33, vcc_lo
	global_store_b64 v[32:33], v[40:41], off
	s_clause 0x2
	global_load_b64 v[40:41], v[24:25], off
	global_load_b64 v[56:57], v[42:43], off
	;; [unrolled: 1-line block ×3, first 2 shown]
	s_waitcnt vmcnt(0)
	v_fma_f64 v[40:41], v[56:57], v[58:59], v[40:41]
	global_store_b64 v[24:25], v[40:41], off
	s_clause 0x2
	global_load_b64 v[40:41], v[46:47], off
	global_load_b64 v[42:43], v[42:43], off
	;; [unrolled: 1-line block ×3, first 2 shown]
	s_waitcnt vmcnt(1)
	v_fma_f64 v[40:41], -v[42:43], v[40:41], 1.0
	s_delay_alu instid0(VALU_DEP_1) | instskip(SKIP_1) | instid1(VALU_DEP_2)
	v_div_scale_f64 v[42:43], null, v[40:41], v[40:41], 1.0
	v_div_scale_f64 v[62:63], vcc_lo, 1.0, v[40:41], 1.0
	v_rcp_f64_e32 v[58:59], v[42:43]
	s_waitcnt_depctr 0xfff
	v_fma_f64 v[60:61], -v[42:43], v[58:59], 1.0
	s_delay_alu instid0(VALU_DEP_1) | instskip(NEXT) | instid1(VALU_DEP_1)
	v_fma_f64 v[58:59], v[58:59], v[60:61], v[58:59]
	v_fma_f64 v[60:61], -v[42:43], v[58:59], 1.0
	s_delay_alu instid0(VALU_DEP_1) | instskip(NEXT) | instid1(VALU_DEP_1)
	v_fma_f64 v[58:59], v[58:59], v[60:61], v[58:59]
	v_mul_f64 v[60:61], v[62:63], v[58:59]
	s_delay_alu instid0(VALU_DEP_1) | instskip(NEXT) | instid1(VALU_DEP_1)
	v_fma_f64 v[42:43], -v[42:43], v[60:61], v[62:63]
	v_div_fmas_f64 v[42:43], v[42:43], v[58:59], v[60:61]
	s_delay_alu instid0(VALU_DEP_1) | instskip(SKIP_1) | instid1(VALU_DEP_1)
	v_div_fixup_f64 v[40:41], v[42:43], v[40:41], 1.0
	s_waitcnt vmcnt(0)
	v_mul_f64 v[42:43], v[56:57], v[40:41]
	v_mad_u64_u32 v[55:56], null, s2, 6, v[12:13]
	v_mov_b32_e32 v56, v13
	global_store_b64 v[14:15], v[42:43], off
	global_load_b64 v[42:43], v[16:17], off
	s_waitcnt vmcnt(0)
	v_mul_f64 v[42:43], v[40:41], v[42:43]
	global_store_b64 v[16:17], v[42:43], off
	global_load_b64 v[42:43], v[32:33], off
	s_waitcnt vmcnt(0)
	v_mul_f64 v[42:43], v[40:41], v[42:43]
	;; [unrolled: 4-line block ×4, first 2 shown]
	v_lshlrev_b64 v[40:41], 3, v[55:56]
	v_lshlrev_b64 v[56:57], 3, v[12:13]
	v_add_nc_u32_e32 v12, s7, v55
	s_delay_alu instid0(VALU_DEP_3) | instskip(NEXT) | instid1(VALU_DEP_4)
	v_add_co_u32 v58, vcc_lo, s0, v40
	v_add_co_ci_u32_e32 v59, vcc_lo, s1, v41, vcc_lo
	s_delay_alu instid0(VALU_DEP_4)
	v_add_co_u32 v40, vcc_lo, s0, v56
	v_add_co_ci_u32_e32 v41, vcc_lo, s1, v57, vcc_lo
	global_store_b64 v[36:37], v[42:43], off
	s_clause 0x2
	global_load_b64 v[42:43], v[58:59], off
	global_load_b64 v[56:57], v[40:41], off
	;; [unrolled: 1-line block ×3, first 2 shown]
	s_waitcnt vmcnt(0)
	v_fma_f64 v[44:45], v[42:43], v[44:45], v[56:57]
	v_lshlrev_b64 v[42:43], 3, v[12:13]
	v_add_nc_u32_e32 v12, s5, v12
	s_delay_alu instid0(VALU_DEP_2) | instskip(NEXT) | instid1(VALU_DEP_3)
	v_add_co_u32 v42, vcc_lo, s0, v42
	v_add_co_ci_u32_e32 v43, vcc_lo, s1, v43, vcc_lo
	global_store_b64 v[40:41], v[44:45], off
	s_clause 0x2
	global_load_b64 v[44:45], v[42:43], off
	global_load_b64 v[55:56], v[58:59], off
	;; [unrolled: 1-line block ×3, first 2 shown]
	s_waitcnt vmcnt(0)
	v_fma_f64 v[53:54], v[55:56], v[53:54], v[44:45]
	v_lshlrev_b64 v[44:45], 3, v[12:13]
	v_add_nc_u32_e32 v12, s7, v12
	s_delay_alu instid0(VALU_DEP_2) | instskip(NEXT) | instid1(VALU_DEP_3)
	v_add_co_u32 v44, vcc_lo, s0, v44
	v_add_co_ci_u32_e32 v45, vcc_lo, s1, v45, vcc_lo
	global_store_b64 v[42:43], v[53:54], off
	s_clause 0x2
	global_load_b64 v[53:54], v[44:45], off
	global_load_b64 v[55:56], v[58:59], off
	;; [unrolled: 1-line block ×3, first 2 shown]
	s_waitcnt vmcnt(0)
	v_fma_f64 v[46:47], v[55:56], v[46:47], v[53:54]
	global_store_b64 v[44:45], v[46:47], off
	s_clause 0x2
	global_load_b64 v[46:47], v[51:52], off
	global_load_b64 v[50:51], v[58:59], off
	;; [unrolled: 1-line block ×3, first 2 shown]
	s_waitcnt vmcnt(1)
	v_fma_f64 v[46:47], -v[50:51], v[46:47], 1.0
	s_delay_alu instid0(VALU_DEP_1) | instskip(SKIP_1) | instid1(VALU_DEP_2)
	v_div_scale_f64 v[50:51], null, v[46:47], v[46:47], 1.0
	v_div_scale_f64 v[58:59], vcc_lo, 1.0, v[46:47], 1.0
	v_rcp_f64_e32 v[54:55], v[50:51]
	s_waitcnt_depctr 0xfff
	v_fma_f64 v[56:57], -v[50:51], v[54:55], 1.0
	s_delay_alu instid0(VALU_DEP_1) | instskip(NEXT) | instid1(VALU_DEP_1)
	v_fma_f64 v[54:55], v[54:55], v[56:57], v[54:55]
	v_fma_f64 v[56:57], -v[50:51], v[54:55], 1.0
	s_delay_alu instid0(VALU_DEP_1) | instskip(NEXT) | instid1(VALU_DEP_1)
	v_fma_f64 v[54:55], v[54:55], v[56:57], v[54:55]
	v_mul_f64 v[56:57], v[58:59], v[54:55]
	s_delay_alu instid0(VALU_DEP_1) | instskip(NEXT) | instid1(VALU_DEP_1)
	v_fma_f64 v[50:51], -v[50:51], v[56:57], v[58:59]
	v_div_fmas_f64 v[50:51], v[50:51], v[54:55], v[56:57]
	s_delay_alu instid0(VALU_DEP_1) | instskip(SKIP_2) | instid1(VALU_DEP_1)
	v_div_fixup_f64 v[50:51], v[50:51], v[46:47], 1.0
	v_lshlrev_b64 v[46:47], 3, v[12:13]
	v_add_nc_u32_e32 v12, s7, v12
	v_lshlrev_b64 v[54:55], 3, v[12:13]
	s_delay_alu instid0(VALU_DEP_3) | instskip(NEXT) | instid1(VALU_DEP_4)
	v_add_co_u32 v46, vcc_lo, s0, v46
	v_add_co_ci_u32_e32 v47, vcc_lo, s1, v47, vcc_lo
	s_delay_alu instid0(VALU_DEP_3) | instskip(NEXT) | instid1(VALU_DEP_4)
	v_add_co_u32 v54, vcc_lo, s0, v54
	v_add_co_ci_u32_e32 v55, vcc_lo, s1, v55, vcc_lo
	s_waitcnt vmcnt(0)
	v_mul_f64 v[52:53], v[52:53], v[50:51]
	global_store_b64 v[40:41], v[52:53], off
	global_load_b64 v[52:53], v[46:47], off
	s_waitcnt vmcnt(0)
	v_mul_f64 v[52:53], v[50:51], v[52:53]
	global_store_b64 v[46:47], v[52:53], off
	global_load_b64 v[52:53], v[42:43], off
	;; [unrolled: 4-line block ×4, first 2 shown]
	s_waitcnt vmcnt(0)
	v_mul_f64 v[50:51], v[50:51], v[52:53]
	global_store_b64 v[54:55], v[50:51], off
	s_clause 0x2
	global_load_b64 v[50:51], v[48:49], off
	global_load_b64 v[52:53], v[4:5], off
	global_load_b64 v[56:57], v[20:21], off
	s_waitcnt vmcnt(0)
	v_fma_f64 v[50:51], v[50:51], v[56:57], v[52:53]
	global_store_b64 v[4:5], v[50:51], off
	s_clause 0x2
	global_load_b64 v[50:51], v[48:49], off
	global_load_b64 v[52:53], v[8:9], off
	;; [unrolled: 1-line block ×3, first 2 shown]
	s_waitcnt vmcnt(0)
	v_fma_f64 v[50:51], v[50:51], v[56:57], v[52:53]
	global_store_b64 v[8:9], v[50:51], off
	s_clause 0x2
	global_load_b64 v[50:51], v[28:29], off
	global_load_b64 v[48:49], v[48:49], off
	;; [unrolled: 1-line block ×3, first 2 shown]
	s_waitcnt vmcnt(1)
	v_fma_f64 v[48:49], -v[48:49], v[50:51], 1.0
	s_delay_alu instid0(VALU_DEP_1) | instskip(SKIP_1) | instid1(VALU_DEP_2)
	v_div_scale_f64 v[50:51], null, v[48:49], v[48:49], 1.0
	v_div_scale_f64 v[60:61], vcc_lo, 1.0, v[48:49], 1.0
	v_rcp_f64_e32 v[56:57], v[50:51]
	s_waitcnt_depctr 0xfff
	v_fma_f64 v[58:59], -v[50:51], v[56:57], 1.0
	s_delay_alu instid0(VALU_DEP_1) | instskip(NEXT) | instid1(VALU_DEP_1)
	v_fma_f64 v[56:57], v[56:57], v[58:59], v[56:57]
	v_fma_f64 v[58:59], -v[50:51], v[56:57], 1.0
	s_delay_alu instid0(VALU_DEP_1) | instskip(NEXT) | instid1(VALU_DEP_1)
	v_fma_f64 v[56:57], v[56:57], v[58:59], v[56:57]
	v_mul_f64 v[58:59], v[60:61], v[56:57]
	s_delay_alu instid0(VALU_DEP_1) | instskip(NEXT) | instid1(VALU_DEP_1)
	v_fma_f64 v[50:51], -v[50:51], v[58:59], v[60:61]
	v_div_fmas_f64 v[50:51], v[50:51], v[56:57], v[58:59]
	s_delay_alu instid0(VALU_DEP_1) | instskip(SKIP_1) | instid1(VALU_DEP_1)
	v_div_fixup_f64 v[48:49], v[50:51], v[48:49], 1.0
	s_waitcnt vmcnt(0)
	v_mul_f64 v[50:51], v[52:53], v[48:49]
	global_store_b64 v[4:5], v[50:51], off
	global_load_b64 v[50:51], v[8:9], off
	s_waitcnt vmcnt(0)
	v_mul_f64 v[50:51], v[48:49], v[50:51]
	global_store_b64 v[8:9], v[50:51], off
	global_load_b64 v[50:51], v[10:11], off
	;; [unrolled: 4-line block ×4, first 2 shown]
	s_waitcnt vmcnt(0)
	v_mul_f64 v[48:49], v[48:49], v[50:51]
	global_store_b64 v[38:39], v[48:49], off
	s_clause 0x2
	global_load_b64 v[48:49], v[34:35], off
	global_load_b64 v[50:51], v[0:1], off
	;; [unrolled: 1-line block ×3, first 2 shown]
	s_waitcnt vmcnt(0)
	v_fma_f64 v[20:21], v[48:49], v[20:21], v[50:51]
	global_store_b64 v[0:1], v[20:21], off
	s_clause 0x2
	global_load_b64 v[20:21], v[34:35], off
	global_load_b64 v[48:49], v[2:3], off
	;; [unrolled: 1-line block ×3, first 2 shown]
	s_waitcnt vmcnt(0)
	v_fma_f64 v[20:21], v[20:21], v[28:29], v[48:49]
	global_store_b64 v[2:3], v[20:21], off
	s_clause 0x2
	global_load_b64 v[20:21], v[30:31], off
	global_load_b64 v[28:29], v[34:35], off
	global_load_b64 v[30:31], v[0:1], off
	s_waitcnt vmcnt(1)
	v_fma_f64 v[20:21], -v[28:29], v[20:21], 1.0
	s_delay_alu instid0(VALU_DEP_1) | instskip(SKIP_1) | instid1(VALU_DEP_2)
	v_div_scale_f64 v[28:29], null, v[20:21], v[20:21], 1.0
	v_div_scale_f64 v[50:51], vcc_lo, 1.0, v[20:21], 1.0
	v_rcp_f64_e32 v[34:35], v[28:29]
	s_waitcnt_depctr 0xfff
	v_fma_f64 v[48:49], -v[28:29], v[34:35], 1.0
	s_delay_alu instid0(VALU_DEP_1) | instskip(NEXT) | instid1(VALU_DEP_1)
	v_fma_f64 v[34:35], v[34:35], v[48:49], v[34:35]
	v_fma_f64 v[48:49], -v[28:29], v[34:35], 1.0
	s_delay_alu instid0(VALU_DEP_1) | instskip(NEXT) | instid1(VALU_DEP_1)
	v_fma_f64 v[34:35], v[34:35], v[48:49], v[34:35]
	v_mul_f64 v[48:49], v[50:51], v[34:35]
	s_delay_alu instid0(VALU_DEP_1) | instskip(NEXT) | instid1(VALU_DEP_1)
	v_fma_f64 v[28:29], -v[28:29], v[48:49], v[50:51]
	v_div_fmas_f64 v[28:29], v[28:29], v[34:35], v[48:49]
	s_delay_alu instid0(VALU_DEP_1) | instskip(SKIP_1) | instid1(VALU_DEP_1)
	v_div_fixup_f64 v[20:21], v[28:29], v[20:21], 1.0
	s_waitcnt vmcnt(0)
	v_mul_f64 v[28:29], v[30:31], v[20:21]
	global_store_b64 v[0:1], v[28:29], off
	global_load_b64 v[28:29], v[2:3], off
	s_waitcnt vmcnt(0)
	v_mul_f64 v[28:29], v[20:21], v[28:29]
	global_store_b64 v[2:3], v[28:29], off
	global_load_b64 v[28:29], v[26:27], off
	;; [unrolled: 4-line block ×4, first 2 shown]
	s_waitcnt vmcnt(0)
	v_mul_f64 v[20:21], v[20:21], v[28:29]
	v_mad_u64_u32 v[28:29], null, s2, -12, v[12:13]
	v_mov_b32_e32 v29, v13
	s_delay_alu instid0(VALU_DEP_1) | instskip(SKIP_1) | instid1(VALU_DEP_2)
	v_lshlrev_b64 v[29:30], 3, v[28:29]
	v_add_nc_u32_e32 v12, s4, v28
	v_add_co_u32 v29, vcc_lo, s0, v29
	s_delay_alu instid0(VALU_DEP_3)
	v_add_co_ci_u32_e32 v30, vcc_lo, s1, v30, vcc_lo
	global_store_b64 v[18:19], v[20:21], off
	s_clause 0x2
	global_load_b64 v[20:21], v[4:5], off
	global_load_b64 v[34:35], v[38:39], off
	;; [unrolled: 1-line block ×3, first 2 shown]
	s_waitcnt vmcnt(0)
	v_fma_f64 v[20:21], v[34:35], v[48:49], v[20:21]
	v_lshlrev_b64 v[34:35], 3, v[12:13]
	v_add_nc_u32_e32 v12, s5, v12
	s_delay_alu instid0(VALU_DEP_2) | instskip(NEXT) | instid1(VALU_DEP_3)
	v_add_co_u32 v34, vcc_lo, s0, v34
	v_add_co_ci_u32_e32 v35, vcc_lo, s1, v35, vcc_lo
	global_store_b64 v[4:5], v[20:21], off
	s_clause 0x2
	global_load_b64 v[20:21], v[8:9], off
	global_load_b64 v[48:49], v[38:39], off
	;; [unrolled: 1-line block ×3, first 2 shown]
	s_waitcnt vmcnt(0)
	v_fma_f64 v[20:21], v[48:49], v[50:51], v[20:21]
	v_lshlrev_b64 v[48:49], 3, v[12:13]
	v_add_nc_u32_e32 v12, s6, v12
	s_delay_alu instid0(VALU_DEP_2) | instskip(NEXT) | instid1(VALU_DEP_3)
	v_add_co_u32 v48, vcc_lo, s0, v48
	v_add_co_ci_u32_e32 v49, vcc_lo, s1, v49, vcc_lo
	global_store_b64 v[8:9], v[20:21], off
	s_clause 0x2
	global_load_b64 v[20:21], v[10:11], off
	global_load_b64 v[50:51], v[38:39], off
	;; [unrolled: 1-line block ×3, first 2 shown]
	s_waitcnt vmcnt(0)
	v_fma_f64 v[20:21], v[50:51], v[52:53], v[20:21]
	v_lshlrev_b64 v[50:51], 3, v[12:13]
	v_add_nc_u32_e32 v12, s3, v12
	s_delay_alu instid0(VALU_DEP_1) | instskip(NEXT) | instid1(VALU_DEP_3)
	v_lshlrev_b64 v[12:13], 3, v[12:13]
	v_add_co_u32 v50, vcc_lo, s0, v50
	s_delay_alu instid0(VALU_DEP_4) | instskip(NEXT) | instid1(VALU_DEP_3)
	v_add_co_ci_u32_e32 v51, vcc_lo, s1, v51, vcc_lo
	v_add_co_u32 v12, vcc_lo, s0, v12
	s_delay_alu instid0(VALU_DEP_4)
	v_add_co_ci_u32_e32 v13, vcc_lo, s1, v13, vcc_lo
	global_store_b64 v[10:11], v[20:21], off
	s_clause 0x2
	global_load_b64 v[20:21], v[22:23], off
	global_load_b64 v[52:53], v[38:39], off
	;; [unrolled: 1-line block ×3, first 2 shown]
	s_waitcnt vmcnt(0)
	v_fma_f64 v[20:21], v[52:53], v[56:57], v[20:21]
	global_store_b64 v[22:23], v[20:21], off
	s_clause 0x2
	global_load_b64 v[20:21], v[12:13], off
	global_load_b64 v[38:39], v[38:39], off
	;; [unrolled: 1-line block ×3, first 2 shown]
	s_waitcnt vmcnt(1)
	v_fma_f64 v[20:21], -v[38:39], v[20:21], 1.0
	s_delay_alu instid0(VALU_DEP_1) | instskip(SKIP_1) | instid1(VALU_DEP_2)
	v_div_scale_f64 v[38:39], null, v[20:21], v[20:21], 1.0
	v_div_scale_f64 v[60:61], vcc_lo, 1.0, v[20:21], 1.0
	v_rcp_f64_e32 v[56:57], v[38:39]
	s_waitcnt_depctr 0xfff
	v_fma_f64 v[58:59], -v[38:39], v[56:57], 1.0
	s_delay_alu instid0(VALU_DEP_1) | instskip(NEXT) | instid1(VALU_DEP_1)
	v_fma_f64 v[56:57], v[56:57], v[58:59], v[56:57]
	v_fma_f64 v[58:59], -v[38:39], v[56:57], 1.0
	s_delay_alu instid0(VALU_DEP_1) | instskip(NEXT) | instid1(VALU_DEP_1)
	v_fma_f64 v[56:57], v[56:57], v[58:59], v[56:57]
	v_mul_f64 v[58:59], v[60:61], v[56:57]
	s_delay_alu instid0(VALU_DEP_1) | instskip(NEXT) | instid1(VALU_DEP_1)
	v_fma_f64 v[38:39], -v[38:39], v[58:59], v[60:61]
	v_div_fmas_f64 v[38:39], v[38:39], v[56:57], v[58:59]
	s_delay_alu instid0(VALU_DEP_1) | instskip(SKIP_1) | instid1(VALU_DEP_1)
	v_div_fixup_f64 v[20:21], v[38:39], v[20:21], 1.0
	s_waitcnt vmcnt(0)
	v_mul_f64 v[38:39], v[52:53], v[20:21]
	global_store_b64 v[4:5], v[38:39], off
	global_load_b64 v[38:39], v[8:9], off
	s_waitcnt vmcnt(0)
	v_mul_f64 v[38:39], v[20:21], v[38:39]
	global_store_b64 v[8:9], v[38:39], off
	global_load_b64 v[38:39], v[10:11], off
	;; [unrolled: 4-line block ×3, first 2 shown]
	s_waitcnt vmcnt(0)
	v_mul_f64 v[20:21], v[20:21], v[38:39]
	global_store_b64 v[22:23], v[20:21], off
	s_clause 0x2
	global_load_b64 v[20:21], v[0:1], off
	global_load_b64 v[38:39], v[18:19], off
	global_load_b64 v[52:53], v[29:30], off
	s_waitcnt vmcnt(0)
	v_fma_f64 v[20:21], v[38:39], v[52:53], v[20:21]
	global_store_b64 v[0:1], v[20:21], off
	s_clause 0x2
	global_load_b64 v[20:21], v[2:3], off
	global_load_b64 v[38:39], v[18:19], off
	global_load_b64 v[52:53], v[12:13], off
	s_waitcnt vmcnt(0)
	v_fma_f64 v[20:21], v[38:39], v[52:53], v[20:21]
	;; [unrolled: 7-line block ×4, first 2 shown]
	global_store_b64 v[6:7], v[20:21], off
	s_clause 0x2
	global_load_b64 v[20:21], v[34:35], off
	global_load_b64 v[18:19], v[18:19], off
	;; [unrolled: 1-line block ×3, first 2 shown]
	s_waitcnt vmcnt(1)
	v_fma_f64 v[18:19], -v[18:19], v[20:21], 1.0
	s_delay_alu instid0(VALU_DEP_1) | instskip(SKIP_1) | instid1(VALU_DEP_2)
	v_div_scale_f64 v[20:21], null, v[18:19], v[18:19], 1.0
	v_div_scale_f64 v[58:59], vcc_lo, 1.0, v[18:19], 1.0
	v_rcp_f64_e32 v[52:53], v[20:21]
	s_waitcnt_depctr 0xfff
	v_fma_f64 v[56:57], -v[20:21], v[52:53], 1.0
	s_delay_alu instid0(VALU_DEP_1) | instskip(NEXT) | instid1(VALU_DEP_1)
	v_fma_f64 v[52:53], v[52:53], v[56:57], v[52:53]
	v_fma_f64 v[56:57], -v[20:21], v[52:53], 1.0
	s_delay_alu instid0(VALU_DEP_1) | instskip(NEXT) | instid1(VALU_DEP_1)
	v_fma_f64 v[52:53], v[52:53], v[56:57], v[52:53]
	v_mul_f64 v[56:57], v[58:59], v[52:53]
	s_delay_alu instid0(VALU_DEP_1) | instskip(NEXT) | instid1(VALU_DEP_1)
	v_fma_f64 v[20:21], -v[20:21], v[56:57], v[58:59]
	v_div_fmas_f64 v[20:21], v[20:21], v[52:53], v[56:57]
	s_delay_alu instid0(VALU_DEP_1) | instskip(SKIP_1) | instid1(VALU_DEP_1)
	v_div_fixup_f64 v[18:19], v[20:21], v[18:19], 1.0
	s_waitcnt vmcnt(0)
	v_mul_f64 v[20:21], v[38:39], v[18:19]
	global_store_b64 v[0:1], v[20:21], off
	global_load_b64 v[20:21], v[2:3], off
	s_waitcnt vmcnt(0)
	v_mul_f64 v[20:21], v[18:19], v[20:21]
	global_store_b64 v[2:3], v[20:21], off
	global_load_b64 v[20:21], v[26:27], off
	;; [unrolled: 4-line block ×3, first 2 shown]
	s_waitcnt vmcnt(0)
	v_mul_f64 v[18:19], v[18:19], v[20:21]
	global_store_b64 v[6:7], v[18:19], off
	s_clause 0x2
	global_load_b64 v[18:19], v[14:15], off
	global_load_b64 v[20:21], v[36:37], off
	global_load_b64 v[38:39], v[29:30], off
	s_waitcnt vmcnt(0)
	v_fma_f64 v[18:19], v[20:21], v[38:39], v[18:19]
	global_store_b64 v[14:15], v[18:19], off
	s_clause 0x2
	global_load_b64 v[18:19], v[16:17], off
	global_load_b64 v[20:21], v[36:37], off
	global_load_b64 v[38:39], v[12:13], off
	s_waitcnt vmcnt(0)
	v_fma_f64 v[18:19], v[20:21], v[38:39], v[18:19]
	;; [unrolled: 7-line block ×4, first 2 shown]
	global_store_b64 v[24:25], v[18:19], off
	s_clause 0x2
	global_load_b64 v[18:19], v[48:49], off
	global_load_b64 v[20:21], v[36:37], off
	;; [unrolled: 1-line block ×3, first 2 shown]
	s_waitcnt vmcnt(1)
	v_fma_f64 v[18:19], -v[20:21], v[18:19], 1.0
	s_delay_alu instid0(VALU_DEP_1) | instskip(SKIP_1) | instid1(VALU_DEP_2)
	v_div_scale_f64 v[20:21], null, v[18:19], v[18:19], 1.0
	v_div_scale_f64 v[56:57], vcc_lo, 1.0, v[18:19], 1.0
	v_rcp_f64_e32 v[38:39], v[20:21]
	s_waitcnt_depctr 0xfff
	v_fma_f64 v[52:53], -v[20:21], v[38:39], 1.0
	s_delay_alu instid0(VALU_DEP_1) | instskip(NEXT) | instid1(VALU_DEP_1)
	v_fma_f64 v[38:39], v[38:39], v[52:53], v[38:39]
	v_fma_f64 v[52:53], -v[20:21], v[38:39], 1.0
	s_delay_alu instid0(VALU_DEP_1) | instskip(NEXT) | instid1(VALU_DEP_1)
	v_fma_f64 v[38:39], v[38:39], v[52:53], v[38:39]
	v_mul_f64 v[52:53], v[56:57], v[38:39]
	s_delay_alu instid0(VALU_DEP_1) | instskip(NEXT) | instid1(VALU_DEP_1)
	v_fma_f64 v[20:21], -v[20:21], v[52:53], v[56:57]
	v_div_fmas_f64 v[20:21], v[20:21], v[38:39], v[52:53]
	s_delay_alu instid0(VALU_DEP_1) | instskip(SKIP_1) | instid1(VALU_DEP_1)
	v_div_fixup_f64 v[18:19], v[20:21], v[18:19], 1.0
	s_waitcnt vmcnt(0)
	v_mul_f64 v[20:21], v[36:37], v[18:19]
	global_store_b64 v[14:15], v[20:21], off
	global_load_b64 v[20:21], v[16:17], off
	s_waitcnt vmcnt(0)
	v_mul_f64 v[20:21], v[18:19], v[20:21]
	global_store_b64 v[16:17], v[20:21], off
	global_load_b64 v[20:21], v[32:33], off
	;; [unrolled: 4-line block ×3, first 2 shown]
	s_waitcnt vmcnt(0)
	v_mul_f64 v[18:19], v[18:19], v[20:21]
	global_store_b64 v[24:25], v[18:19], off
	s_clause 0x2
	global_load_b64 v[18:19], v[40:41], off
	global_load_b64 v[20:21], v[54:55], off
	global_load_b64 v[28:29], v[29:30], off
	s_waitcnt vmcnt(0)
	v_fma_f64 v[18:19], v[20:21], v[28:29], v[18:19]
	global_store_b64 v[40:41], v[18:19], off
	s_clause 0x2
	global_load_b64 v[18:19], v[46:47], off
	global_load_b64 v[20:21], v[54:55], off
	global_load_b64 v[12:13], v[12:13], off
	s_waitcnt vmcnt(0)
	v_fma_f64 v[12:13], v[20:21], v[12:13], v[18:19]
	;; [unrolled: 7-line block ×4, first 2 shown]
	global_store_b64 v[44:45], v[12:13], off
	s_clause 0x2
	global_load_b64 v[12:13], v[50:51], off
	global_load_b64 v[18:19], v[54:55], off
	global_load_b64 v[20:21], v[40:41], off
	s_waitcnt vmcnt(1)
	v_fma_f64 v[12:13], -v[18:19], v[12:13], 1.0
	s_delay_alu instid0(VALU_DEP_1) | instskip(SKIP_1) | instid1(VALU_DEP_2)
	v_div_scale_f64 v[18:19], null, v[12:13], v[12:13], 1.0
	v_div_scale_f64 v[34:35], vcc_lo, 1.0, v[12:13], 1.0
	v_rcp_f64_e32 v[28:29], v[18:19]
	s_waitcnt_depctr 0xfff
	v_fma_f64 v[30:31], -v[18:19], v[28:29], 1.0
	s_delay_alu instid0(VALU_DEP_1) | instskip(NEXT) | instid1(VALU_DEP_1)
	v_fma_f64 v[28:29], v[28:29], v[30:31], v[28:29]
	v_fma_f64 v[30:31], -v[18:19], v[28:29], 1.0
	s_delay_alu instid0(VALU_DEP_1) | instskip(NEXT) | instid1(VALU_DEP_1)
	v_fma_f64 v[28:29], v[28:29], v[30:31], v[28:29]
	v_mul_f64 v[30:31], v[34:35], v[28:29]
	s_delay_alu instid0(VALU_DEP_1) | instskip(NEXT) | instid1(VALU_DEP_1)
	v_fma_f64 v[18:19], -v[18:19], v[30:31], v[34:35]
	v_div_fmas_f64 v[18:19], v[18:19], v[28:29], v[30:31]
	s_delay_alu instid0(VALU_DEP_1) | instskip(SKIP_1) | instid1(VALU_DEP_1)
	v_div_fixup_f64 v[12:13], v[18:19], v[12:13], 1.0
	s_waitcnt vmcnt(0)
	v_mul_f64 v[18:19], v[20:21], v[12:13]
	global_store_b64 v[40:41], v[18:19], off
	global_load_b64 v[18:19], v[46:47], off
	s_waitcnt vmcnt(0)
	v_mul_f64 v[18:19], v[12:13], v[18:19]
	global_store_b64 v[46:47], v[18:19], off
	global_load_b64 v[18:19], v[42:43], off
	;; [unrolled: 4-line block ×3, first 2 shown]
	s_waitcnt vmcnt(0)
	v_mul_f64 v[12:13], v[12:13], v[18:19]
	global_store_b64 v[44:45], v[12:13], off
	s_clause 0x2
	global_load_b64 v[12:13], v[4:5], off
	global_load_b64 v[18:19], v[22:23], off
	global_load_b64 v[20:21], v[40:41], off
	s_waitcnt vmcnt(0)
	v_fma_f64 v[12:13], v[18:19], v[20:21], v[12:13]
	global_store_b64 v[4:5], v[12:13], off
	s_clause 0x2
	global_load_b64 v[12:13], v[8:9], off
	global_load_b64 v[18:19], v[22:23], off
	global_load_b64 v[20:21], v[42:43], off
	s_waitcnt vmcnt(0)
	v_fma_f64 v[12:13], v[18:19], v[20:21], v[12:13]
	global_store_b64 v[8:9], v[12:13], off
	s_clause 0x2
	global_load_b64 v[12:13], v[10:11], off
	global_load_b64 v[18:19], v[22:23], off
	global_load_b64 v[20:21], v[44:45], off
	s_waitcnt vmcnt(0)
	v_fma_f64 v[12:13], v[18:19], v[20:21], v[12:13]
	global_store_b64 v[10:11], v[12:13], off
	s_clause 0x2
	global_load_b64 v[12:13], v[46:47], off
	global_load_b64 v[18:19], v[22:23], off
	global_load_b64 v[20:21], v[4:5], off
	s_waitcnt vmcnt(1)
	v_fma_f64 v[12:13], -v[18:19], v[12:13], 1.0
	s_delay_alu instid0(VALU_DEP_1) | instskip(SKIP_1) | instid1(VALU_DEP_2)
	v_div_scale_f64 v[18:19], null, v[12:13], v[12:13], 1.0
	v_div_scale_f64 v[30:31], vcc_lo, 1.0, v[12:13], 1.0
	v_rcp_f64_e32 v[22:23], v[18:19]
	s_waitcnt_depctr 0xfff
	v_fma_f64 v[28:29], -v[18:19], v[22:23], 1.0
	s_delay_alu instid0(VALU_DEP_1) | instskip(NEXT) | instid1(VALU_DEP_1)
	v_fma_f64 v[22:23], v[22:23], v[28:29], v[22:23]
	v_fma_f64 v[28:29], -v[18:19], v[22:23], 1.0
	s_delay_alu instid0(VALU_DEP_1) | instskip(NEXT) | instid1(VALU_DEP_1)
	v_fma_f64 v[22:23], v[22:23], v[28:29], v[22:23]
	v_mul_f64 v[28:29], v[30:31], v[22:23]
	s_delay_alu instid0(VALU_DEP_1) | instskip(NEXT) | instid1(VALU_DEP_1)
	v_fma_f64 v[18:19], -v[18:19], v[28:29], v[30:31]
	v_div_fmas_f64 v[18:19], v[18:19], v[22:23], v[28:29]
	s_delay_alu instid0(VALU_DEP_1) | instskip(SKIP_1) | instid1(VALU_DEP_1)
	v_div_fixup_f64 v[12:13], v[18:19], v[12:13], 1.0
	s_waitcnt vmcnt(0)
	v_mul_f64 v[18:19], v[20:21], v[12:13]
	global_store_b64 v[4:5], v[18:19], off
	global_load_b64 v[18:19], v[8:9], off
	s_waitcnt vmcnt(0)
	v_mul_f64 v[18:19], v[12:13], v[18:19]
	global_store_b64 v[8:9], v[18:19], off
	global_load_b64 v[18:19], v[10:11], off
	s_waitcnt vmcnt(0)
	v_mul_f64 v[12:13], v[12:13], v[18:19]
	global_store_b64 v[10:11], v[12:13], off
	s_clause 0x2
	global_load_b64 v[12:13], v[0:1], off
	global_load_b64 v[18:19], v[6:7], off
	global_load_b64 v[20:21], v[40:41], off
	s_waitcnt vmcnt(0)
	v_fma_f64 v[12:13], v[18:19], v[20:21], v[12:13]
	global_store_b64 v[0:1], v[12:13], off
	s_clause 0x2
	global_load_b64 v[12:13], v[2:3], off
	global_load_b64 v[18:19], v[6:7], off
	global_load_b64 v[20:21], v[46:47], off
	s_waitcnt vmcnt(0)
	v_fma_f64 v[12:13], v[18:19], v[20:21], v[12:13]
	global_store_b64 v[2:3], v[12:13], off
	s_clause 0x2
	global_load_b64 v[12:13], v[44:45], off
	global_load_b64 v[18:19], v[26:27], off
	global_load_b64 v[20:21], v[6:7], off
	s_waitcnt vmcnt(0)
	v_fma_f64 v[12:13], v[20:21], v[12:13], v[18:19]
	global_store_b64 v[26:27], v[12:13], off
	s_clause 0x2
	global_load_b64 v[12:13], v[42:43], off
	global_load_b64 v[6:7], v[6:7], off
	global_load_b64 v[18:19], v[0:1], off
	s_waitcnt vmcnt(1)
	v_fma_f64 v[6:7], -v[6:7], v[12:13], 1.0
	s_delay_alu instid0(VALU_DEP_1) | instskip(SKIP_1) | instid1(VALU_DEP_2)
	v_div_scale_f64 v[12:13], null, v[6:7], v[6:7], 1.0
	v_div_scale_f64 v[28:29], vcc_lo, 1.0, v[6:7], 1.0
	v_rcp_f64_e32 v[20:21], v[12:13]
	s_waitcnt_depctr 0xfff
	v_fma_f64 v[22:23], -v[12:13], v[20:21], 1.0
	s_delay_alu instid0(VALU_DEP_1) | instskip(NEXT) | instid1(VALU_DEP_1)
	v_fma_f64 v[20:21], v[20:21], v[22:23], v[20:21]
	v_fma_f64 v[22:23], -v[12:13], v[20:21], 1.0
	s_delay_alu instid0(VALU_DEP_1) | instskip(NEXT) | instid1(VALU_DEP_1)
	v_fma_f64 v[20:21], v[20:21], v[22:23], v[20:21]
	v_mul_f64 v[22:23], v[28:29], v[20:21]
	s_delay_alu instid0(VALU_DEP_1) | instskip(NEXT) | instid1(VALU_DEP_1)
	v_fma_f64 v[12:13], -v[12:13], v[22:23], v[28:29]
	v_div_fmas_f64 v[12:13], v[12:13], v[20:21], v[22:23]
	s_delay_alu instid0(VALU_DEP_1) | instskip(SKIP_1) | instid1(VALU_DEP_1)
	v_div_fixup_f64 v[6:7], v[12:13], v[6:7], 1.0
	s_waitcnt vmcnt(0)
	v_mul_f64 v[12:13], v[18:19], v[6:7]
	global_store_b64 v[0:1], v[12:13], off
	global_load_b64 v[12:13], v[2:3], off
	s_waitcnt vmcnt(0)
	v_mul_f64 v[12:13], v[6:7], v[12:13]
	global_store_b64 v[2:3], v[12:13], off
	global_load_b64 v[12:13], v[26:27], off
	;; [unrolled: 55-line block ×3, first 2 shown]
	s_waitcnt vmcnt(0)
	v_mul_f64 v[6:7], v[6:7], v[12:13]
	global_store_b64 v[32:33], v[6:7], off
	s_clause 0x2
	global_load_b64 v[6:7], v[4:5], off
	global_load_b64 v[12:13], v[10:11], off
	;; [unrolled: 1-line block ×3, first 2 shown]
	s_waitcnt vmcnt(0)
	v_fma_f64 v[6:7], v[12:13], v[18:19], v[6:7]
	global_store_b64 v[4:5], v[6:7], off
	s_clause 0x2
	global_load_b64 v[6:7], v[32:33], off
	global_load_b64 v[12:13], v[8:9], off
	;; [unrolled: 1-line block ×3, first 2 shown]
	s_waitcnt vmcnt(0)
	v_fma_f64 v[6:7], v[18:19], v[6:7], v[12:13]
	global_store_b64 v[8:9], v[6:7], off
	s_clause 0x2
	global_load_b64 v[6:7], v[16:17], off
	global_load_b64 v[10:11], v[10:11], off
	;; [unrolled: 1-line block ×3, first 2 shown]
	s_waitcnt vmcnt(1)
	v_fma_f64 v[6:7], -v[10:11], v[6:7], 1.0
	s_delay_alu instid0(VALU_DEP_1) | instskip(SKIP_1) | instid1(VALU_DEP_2)
	v_div_scale_f64 v[10:11], null, v[6:7], v[6:7], 1.0
	v_div_scale_f64 v[22:23], vcc_lo, 1.0, v[6:7], 1.0
	v_rcp_f64_e32 v[18:19], v[10:11]
	s_waitcnt_depctr 0xfff
	v_fma_f64 v[20:21], -v[10:11], v[18:19], 1.0
	s_delay_alu instid0(VALU_DEP_1) | instskip(NEXT) | instid1(VALU_DEP_1)
	v_fma_f64 v[18:19], v[18:19], v[20:21], v[18:19]
	v_fma_f64 v[20:21], -v[10:11], v[18:19], 1.0
	s_delay_alu instid0(VALU_DEP_1) | instskip(NEXT) | instid1(VALU_DEP_1)
	v_fma_f64 v[18:19], v[18:19], v[20:21], v[18:19]
	v_mul_f64 v[20:21], v[22:23], v[18:19]
	s_delay_alu instid0(VALU_DEP_1) | instskip(NEXT) | instid1(VALU_DEP_1)
	v_fma_f64 v[10:11], -v[10:11], v[20:21], v[22:23]
	v_div_fmas_f64 v[10:11], v[10:11], v[18:19], v[20:21]
	s_delay_alu instid0(VALU_DEP_1) | instskip(SKIP_1) | instid1(VALU_DEP_1)
	v_div_fixup_f64 v[6:7], v[10:11], v[6:7], 1.0
	s_waitcnt vmcnt(0)
	v_mul_f64 v[10:11], v[12:13], v[6:7]
	global_store_b64 v[4:5], v[10:11], off
	global_load_b64 v[10:11], v[8:9], off
	s_waitcnt vmcnt(0)
	v_mul_f64 v[6:7], v[6:7], v[10:11]
	global_store_b64 v[8:9], v[6:7], off
	s_clause 0x2
	global_load_b64 v[6:7], v[0:1], off
	global_load_b64 v[10:11], v[26:27], off
	;; [unrolled: 1-line block ×3, first 2 shown]
	s_waitcnt vmcnt(0)
	v_fma_f64 v[6:7], v[10:11], v[12:13], v[6:7]
	global_store_b64 v[0:1], v[6:7], off
	s_clause 0x2
	global_load_b64 v[6:7], v[2:3], off
	global_load_b64 v[10:11], v[26:27], off
	;; [unrolled: 1-line block ×3, first 2 shown]
	s_waitcnt vmcnt(0)
	v_fma_f64 v[6:7], v[10:11], v[12:13], v[6:7]
	global_store_b64 v[2:3], v[6:7], off
	s_clause 0x2
	global_load_b64 v[6:7], v[32:33], off
	global_load_b64 v[10:11], v[26:27], off
	;; [unrolled: 1-line block ×3, first 2 shown]
	s_waitcnt vmcnt(1)
	v_fma_f64 v[6:7], -v[10:11], v[6:7], 1.0
	s_delay_alu instid0(VALU_DEP_1) | instskip(SKIP_1) | instid1(VALU_DEP_2)
	v_div_scale_f64 v[10:11], null, v[6:7], v[6:7], 1.0
	v_div_scale_f64 v[18:19], vcc_lo, 1.0, v[6:7], 1.0
	v_rcp_f64_e32 v[14:15], v[10:11]
	s_waitcnt_depctr 0xfff
	v_fma_f64 v[16:17], -v[10:11], v[14:15], 1.0
	s_delay_alu instid0(VALU_DEP_1) | instskip(NEXT) | instid1(VALU_DEP_1)
	v_fma_f64 v[14:15], v[14:15], v[16:17], v[14:15]
	v_fma_f64 v[16:17], -v[10:11], v[14:15], 1.0
	s_delay_alu instid0(VALU_DEP_1) | instskip(NEXT) | instid1(VALU_DEP_1)
	v_fma_f64 v[14:15], v[14:15], v[16:17], v[14:15]
	v_mul_f64 v[16:17], v[18:19], v[14:15]
	s_delay_alu instid0(VALU_DEP_1) | instskip(NEXT) | instid1(VALU_DEP_1)
	v_fma_f64 v[10:11], -v[10:11], v[16:17], v[18:19]
	v_div_fmas_f64 v[10:11], v[10:11], v[14:15], v[16:17]
	s_delay_alu instid0(VALU_DEP_1) | instskip(SKIP_1) | instid1(VALU_DEP_1)
	v_div_fixup_f64 v[6:7], v[10:11], v[6:7], 1.0
	s_waitcnt vmcnt(0)
	v_mul_f64 v[10:11], v[12:13], v[6:7]
	global_store_b64 v[0:1], v[10:11], off
	global_load_b64 v[10:11], v[2:3], off
	s_waitcnt vmcnt(0)
	v_mul_f64 v[6:7], v[6:7], v[10:11]
	global_store_b64 v[2:3], v[6:7], off
	s_clause 0x2
	global_load_b64 v[6:7], v[8:9], off
	global_load_b64 v[10:11], v[4:5], off
	;; [unrolled: 1-line block ×3, first 2 shown]
	s_waitcnt vmcnt(0)
	v_fma_f64 v[0:1], v[6:7], v[0:1], v[10:11]
	global_store_b64 v[4:5], v[0:1], off
	s_clause 0x1
	global_load_b64 v[6:7], v[8:9], off
	global_load_b64 v[2:3], v[2:3], off
	s_waitcnt vmcnt(0)
	v_fma_f64 v[2:3], -v[6:7], v[2:3], 1.0
	s_delay_alu instid0(VALU_DEP_1) | instskip(NEXT) | instid1(VALU_DEP_1)
	v_div_scale_f64 v[6:7], null, v[2:3], v[2:3], 1.0
	v_rcp_f64_e32 v[8:9], v[6:7]
	s_waitcnt_depctr 0xfff
	v_fma_f64 v[10:11], -v[6:7], v[8:9], 1.0
	s_delay_alu instid0(VALU_DEP_1) | instskip(NEXT) | instid1(VALU_DEP_1)
	v_fma_f64 v[8:9], v[8:9], v[10:11], v[8:9]
	v_fma_f64 v[10:11], -v[6:7], v[8:9], 1.0
	s_delay_alu instid0(VALU_DEP_1) | instskip(SKIP_1) | instid1(VALU_DEP_1)
	v_fma_f64 v[8:9], v[8:9], v[10:11], v[8:9]
	v_div_scale_f64 v[10:11], vcc_lo, 1.0, v[2:3], 1.0
	v_mul_f64 v[12:13], v[10:11], v[8:9]
	s_delay_alu instid0(VALU_DEP_1) | instskip(NEXT) | instid1(VALU_DEP_1)
	v_fma_f64 v[6:7], -v[6:7], v[12:13], v[10:11]
	v_div_fmas_f64 v[6:7], v[6:7], v[8:9], v[12:13]
	s_delay_alu instid0(VALU_DEP_1) | instskip(NEXT) | instid1(VALU_DEP_1)
	v_div_fixup_f64 v[2:3], v[6:7], v[2:3], 1.0
	v_mul_f64 v[0:1], v[0:1], v[2:3]
	global_store_b64 v[4:5], v[0:1], off
	s_nop 0
	s_sendmsg sendmsg(MSG_DEALLOC_VGPRS)
	s_endpgm
	.section	.rodata,"a",@progbits
	.p2align	6, 0x0
	.amdhsa_kernel _Z12qssab_kernelIdEvPT_S1_S1_
		.amdhsa_group_segment_fixed_size 0
		.amdhsa_private_segment_fixed_size 0
		.amdhsa_kernarg_size 280
		.amdhsa_user_sgpr_count 15
		.amdhsa_user_sgpr_dispatch_ptr 0
		.amdhsa_user_sgpr_queue_ptr 0
		.amdhsa_user_sgpr_kernarg_segment_ptr 1
		.amdhsa_user_sgpr_dispatch_id 0
		.amdhsa_user_sgpr_private_segment_size 0
		.amdhsa_wavefront_size32 1
		.amdhsa_uses_dynamic_stack 0
		.amdhsa_enable_private_segment 0
		.amdhsa_system_sgpr_workgroup_id_x 1
		.amdhsa_system_sgpr_workgroup_id_y 0
		.amdhsa_system_sgpr_workgroup_id_z 0
		.amdhsa_system_sgpr_workgroup_info 0
		.amdhsa_system_vgpr_workitem_id 0
		.amdhsa_next_free_vgpr 64
		.amdhsa_next_free_sgpr 16
		.amdhsa_reserve_vcc 1
		.amdhsa_float_round_mode_32 0
		.amdhsa_float_round_mode_16_64 0
		.amdhsa_float_denorm_mode_32 3
		.amdhsa_float_denorm_mode_16_64 3
		.amdhsa_dx10_clamp 1
		.amdhsa_ieee_mode 1
		.amdhsa_fp16_overflow 0
		.amdhsa_workgroup_processor_mode 1
		.amdhsa_memory_ordered 1
		.amdhsa_forward_progress 0
		.amdhsa_shared_vgpr_count 0
		.amdhsa_exception_fp_ieee_invalid_op 0
		.amdhsa_exception_fp_denorm_src 0
		.amdhsa_exception_fp_ieee_div_zero 0
		.amdhsa_exception_fp_ieee_overflow 0
		.amdhsa_exception_fp_ieee_underflow 0
		.amdhsa_exception_fp_ieee_inexact 0
		.amdhsa_exception_int_div_zero 0
	.end_amdhsa_kernel
	.section	.text._Z12qssab_kernelIdEvPT_S1_S1_,"axG",@progbits,_Z12qssab_kernelIdEvPT_S1_S1_,comdat
.Lfunc_end44:
	.size	_Z12qssab_kernelIdEvPT_S1_S1_, .Lfunc_end44-_Z12qssab_kernelIdEvPT_S1_S1_
                                        ; -- End function
	.section	.AMDGPU.csdata,"",@progbits
; Kernel info:
; codeLenInByte = 8752
; NumSgprs: 18
; NumVgprs: 64
; ScratchSize: 0
; MemoryBound: 1
; FloatMode: 240
; IeeeMode: 1
; LDSByteSize: 0 bytes/workgroup (compile time only)
; SGPRBlocks: 2
; VGPRBlocks: 7
; NumSGPRsForWavesPerEU: 18
; NumVGPRsForWavesPerEU: 64
; Occupancy: 16
; WaveLimiterHint : 1
; COMPUTE_PGM_RSRC2:SCRATCH_EN: 0
; COMPUTE_PGM_RSRC2:USER_SGPR: 15
; COMPUTE_PGM_RSRC2:TRAP_HANDLER: 0
; COMPUTE_PGM_RSRC2:TGID_X_EN: 1
; COMPUTE_PGM_RSRC2:TGID_Y_EN: 0
; COMPUTE_PGM_RSRC2:TGID_Z_EN: 0
; COMPUTE_PGM_RSRC2:TIDIG_COMP_CNT: 0
	.section	.text._Z12qssa2_kernelIdEvPT_S1_PKS0_,"axG",@progbits,_Z12qssa2_kernelIdEvPT_S1_PKS0_,comdat
	.protected	_Z12qssa2_kernelIdEvPT_S1_PKS0_ ; -- Begin function _Z12qssa2_kernelIdEvPT_S1_PKS0_
	.globl	_Z12qssa2_kernelIdEvPT_S1_PKS0_
	.p2align	8
	.type	_Z12qssa2_kernelIdEvPT_S1_PKS0_,@function
_Z12qssa2_kernelIdEvPT_S1_PKS0_:        ; @_Z12qssa2_kernelIdEvPT_S1_PKS0_
; %bb.0:
	s_clause 0x2
	s_load_b32 s2, s[0:1], 0x24
	s_load_b32 s6, s[0:1], 0x18
	s_load_b64 s[4:5], s[0:1], 0x10
	s_waitcnt lgkmcnt(0)
	s_and_b32 s2, s2, 0xffff
	s_delay_alu instid0(SALU_CYCLE_1)
	s_mul_i32 s6, s6, s2
	s_mul_i32 s15, s15, s2
	;; [unrolled: 1-line block ×3, first 2 shown]
	s_lshl_b32 s8, s6, 2
	v_mov_b32_e32 v1, 0
	v_add3_u32 v0, s2, s15, v0
	s_mul_i32 s2, s6, -5
	s_mul_i32 s9, s6, 3
	s_lshl_b32 s7, s6, 1
	s_delay_alu instid0(VALU_DEP_1) | instskip(SKIP_1) | instid1(VALU_DEP_2)
	v_mad_u64_u32 v[2:3], null, s6, -11, v[0:1]
	v_lshlrev_b64 v[52:53], 3, v[0:1]
	v_add_nc_u32_e32 v0, s8, v2
	s_delay_alu instid0(VALU_DEP_2) | instskip(NEXT) | instid1(VALU_DEP_3)
	v_add_co_u32 v6, vcc_lo, s4, v52
	v_add_co_ci_u32_e32 v7, vcc_lo, s5, v53, vcc_lo
	s_delay_alu instid0(VALU_DEP_3) | instskip(SKIP_2) | instid1(VALU_DEP_3)
	v_mad_u64_u32 v[4:5], null, s6, 40, v[0:1]
	v_mov_b32_e32 v3, v1
	v_lshlrev_b64 v[44:45], 3, v[0:1]
	v_add_nc_u32_e32 v0, s8, v4
	s_delay_alu instid0(VALU_DEP_3) | instskip(NEXT) | instid1(VALU_DEP_2)
	v_lshlrev_b64 v[2:3], 3, v[2:3]
	v_lshlrev_b64 v[14:15], 3, v[0:1]
	v_subrev_nc_u32_e32 v0, s6, v0
	s_delay_alu instid0(VALU_DEP_3) | instskip(NEXT) | instid1(VALU_DEP_4)
	v_add_co_u32 v10, vcc_lo, s4, v2
	v_add_co_ci_u32_e32 v11, vcc_lo, s5, v3, vcc_lo
	s_delay_alu instid0(VALU_DEP_3) | instskip(SKIP_2) | instid1(VALU_DEP_3)
	v_mad_u64_u32 v[8:9], null, 0xffffffc6, s6, v[0:1]
	v_mov_b32_e32 v5, v1
	v_lshlrev_b64 v[16:17], 3, v[0:1]
	v_add_nc_u32_e32 v0, s8, v8
	s_delay_alu instid0(VALU_DEP_3) | instskip(SKIP_2) | instid1(VALU_DEP_4)
	v_lshlrev_b64 v[24:25], 3, v[4:5]
	v_add_co_u32 v4, vcc_lo, s4, v44
	v_add_co_ci_u32_e32 v5, vcc_lo, s5, v45, vcc_lo
	v_lshlrev_b64 v[12:13], 3, v[0:1]
	v_subrev_nc_u32_e32 v0, s6, v0
	v_mov_b32_e32 v9, v1
	v_add_co_u32 v18, vcc_lo, s4, v24
	v_add_co_ci_u32_e32 v19, vcc_lo, s5, v25, vcc_lo
	s_delay_alu instid0(VALU_DEP_4)
	v_lshlrev_b64 v[20:21], 3, v[0:1]
	v_add_nc_u32_e32 v0, s8, v0
	s_clause 0x3
	global_load_b64 v[2:3], v[6:7], off
	global_load_b64 v[6:7], v[10:11], off
	;; [unrolled: 1-line block ×4, first 2 shown]
	v_lshlrev_b64 v[8:9], 3, v[8:9]
	v_add_co_u32 v22, vcc_lo, s4, v14
	v_mad_u64_u32 v[18:19], null, 0xffffffee, s6, v[0:1]
	v_mov_b32_e32 v19, v1
	v_lshlrev_b64 v[26:27], 3, v[0:1]
	v_add_co_ci_u32_e32 v23, vcc_lo, s5, v15, vcc_lo
	v_add_co_u32 v8, vcc_lo, s4, v8
	v_add_nc_u32_e32 v0, s8, v18
	v_lshlrev_b64 v[28:29], 3, v[18:19]
	v_add_co_ci_u32_e32 v9, vcc_lo, s5, v9, vcc_lo
	v_add_co_u32 v12, vcc_lo, s4, v12
	s_delay_alu instid0(VALU_DEP_4) | instskip(SKIP_3) | instid1(VALU_DEP_4)
	v_lshlrev_b64 v[18:19], 3, v[0:1]
	v_add_co_ci_u32_e32 v13, vcc_lo, s5, v13, vcc_lo
	v_add_co_u32 v28, vcc_lo, s4, v28
	v_add_co_ci_u32_e32 v29, vcc_lo, s5, v29, vcc_lo
	v_add_co_u32 v18, vcc_lo, s4, v18
	v_add_co_ci_u32_e32 v19, vcc_lo, s5, v19, vcc_lo
	s_clause 0x4
	global_load_b64 v[22:23], v[22:23], off
	global_load_b64 v[8:9], v[8:9], off
	;; [unrolled: 1-line block ×5, first 2 shown]
	v_subrev_nc_u32_e32 v0, s6, v0
	v_add_co_u32 v12, vcc_lo, s4, v16
	v_add_co_ci_u32_e32 v13, vcc_lo, s5, v17, vcc_lo
	s_delay_alu instid0(VALU_DEP_3) | instskip(SKIP_3) | instid1(VALU_DEP_4)
	v_lshlrev_b64 v[18:19], 3, v[0:1]
	v_add_co_u32 v20, vcc_lo, s4, v20
	v_add_co_ci_u32_e32 v21, vcc_lo, s5, v21, vcc_lo
	v_add_nc_u32_e32 v0, s8, v0
	v_add_co_u32 v18, vcc_lo, s4, v18
	v_add_co_ci_u32_e32 v19, vcc_lo, s5, v19, vcc_lo
	s_clause 0x2
	global_load_b64 v[46:47], v[12:13], off
	global_load_b64 v[48:49], v[20:21], off
	;; [unrolled: 1-line block ×3, first 2 shown]
	v_lshlrev_b64 v[28:29], 3, v[0:1]
	v_add_nc_u32_e32 v0, s2, v0
	v_add_co_u32 v26, vcc_lo, s4, v26
	v_add_co_ci_u32_e32 v27, vcc_lo, s5, v27, vcc_lo
	s_delay_alu instid0(VALU_DEP_3)
	v_mad_u64_u32 v[56:57], null, 0x4b, s6, v[0:1]
	v_lshlrev_b64 v[12:13], 3, v[0:1]
	v_add_co_u32 v28, vcc_lo, s4, v28
	v_add_co_ci_u32_e32 v29, vcc_lo, s5, v29, vcc_lo
	global_load_b64 v[58:59], v[26:27], off
	v_dual_mov_b32 v57, v1 :: v_dual_add_nc_u32 v0, s8, v56
	global_load_b64 v[60:61], v[28:29], off
	v_lshlrev_b64 v[18:19], 3, v[0:1]
	v_subrev_nc_u32_e32 v0, s6, v0
	s_delay_alu instid0(VALU_DEP_1) | instskip(SKIP_1) | instid1(VALU_DEP_2)
	v_mad_u64_u32 v[50:51], null, 0xffffffe7, s6, v[0:1]
	v_lshlrev_b64 v[20:21], 3, v[0:1]
	v_add_nc_u32_e32 v0, s9, v50
	s_delay_alu instid0(VALU_DEP_1) | instskip(SKIP_1) | instid1(VALU_DEP_1)
	v_lshlrev_b64 v[26:27], 3, v[0:1]
	v_add_nc_u32_e32 v0, s8, v0
	v_lshlrev_b64 v[30:31], 3, v[0:1]
	v_add_nc_u32_e32 v0, s2, v0
	s_load_b128 s[0:3], s[0:1], 0x0
	s_delay_alu instid0(VALU_DEP_1) | instskip(SKIP_3) | instid1(VALU_DEP_4)
	v_mad_u64_u32 v[36:37], null, s6, 31, v[0:1]
	v_lshlrev_b64 v[32:33], 3, v[0:1]
	v_add_co_u32 v37, vcc_lo, s4, v12
	v_add_co_ci_u32_e32 v38, vcc_lo, s5, v13, vcc_lo
	v_add_nc_u32_e32 v0, s8, v36
	global_load_b64 v[62:63], v[37:38], off
	v_lshlrev_b64 v[28:29], 3, v[0:1]
	v_add_nc_u32_e32 v0, s9, v0
	s_delay_alu instid0(VALU_DEP_1) | instskip(SKIP_1) | instid1(VALU_DEP_2)
	v_mad_u64_u32 v[64:65], null, 0xffffffcd, s6, v[0:1]
	v_lshlrev_b64 v[12:13], 3, v[0:1]
	v_add_nc_u32_e32 v0, s9, v64
	s_delay_alu instid0(VALU_DEP_1) | instskip(SKIP_1) | instid1(VALU_DEP_2)
	v_mad_u64_u32 v[37:38], null, s6, 52, v[0:1]
	v_lshlrev_b64 v[38:39], 3, v[0:1]
	v_lshl_add_u32 v0, s6, 3, v37
	s_delay_alu instid0(VALU_DEP_1) | instskip(SKIP_1) | instid1(VALU_DEP_1)
	v_mad_u64_u32 v[65:66], null, 0xffffffac, s6, v[0:1]
	v_mov_b32_e32 v66, v1
	v_lshlrev_b64 v[66:67], 3, v[65:66]
	s_waitcnt lgkmcnt(0)
	s_delay_alu instid0(VALU_DEP_1) | instskip(NEXT) | instid1(VALU_DEP_2)
	v_add_co_u32 v66, vcc_lo, s0, v66
	v_add_co_ci_u32_e32 v67, vcc_lo, s1, v67, vcc_lo
	global_load_b64 v[68:69], v[66:67], off
	s_waitcnt vmcnt(13)
	v_fma_f64 v[6:7], v[2:3], v[4:5], v[6:7]
	s_waitcnt vmcnt(11)
	v_fma_f64 v[4:5], v[2:3], v[22:23], v[10:11]
	;; [unrolled: 2-line block ×4, first 2 shown]
	v_lshlrev_b64 v[40:41], 3, v[56:57]
	s_delay_alu instid0(VALU_DEP_1) | instskip(NEXT) | instid1(VALU_DEP_2)
	v_add_co_u32 v22, vcc_lo, s4, v40
	v_add_co_ci_u32_e32 v23, vcc_lo, s5, v41, vcc_lo
	global_load_b64 v[22:23], v[22:23], off
	s_waitcnt vmcnt(7)
	v_fma_f64 v[4:5], v[6:7], v[46:47], v[4:5]
	s_waitcnt vmcnt(6)
	v_fma_f64 v[8:9], v[6:7], v[48:49], v[8:9]
	;; [unrolled: 2-line block ×3, first 2 shown]
	s_waitcnt vmcnt(4)
	s_delay_alu instid0(VALU_DEP_2) | instskip(SKIP_1) | instid1(VALU_DEP_2)
	v_fma_f64 v[10:11], v[4:5], v[58:59], v[8:9]
	s_waitcnt vmcnt(3)
	v_fma_f64 v[8:9], v[4:5], v[60:61], v[34:35]
	s_waitcnt vmcnt(2)
	s_delay_alu instid0(VALU_DEP_1) | instskip(SKIP_2) | instid1(VALU_DEP_1)
	v_fma_f64 v[34:35], v[10:11], v[62:63], v[8:9]
	v_lshlrev_b64 v[8:9], 3, v[0:1]
	v_dual_mov_b32 v65, v1 :: v_dual_add_nc_u32 v0, s6, v65
	v_lshlrev_b64 v[42:43], 3, v[0:1]
	v_add_nc_u32_e32 v0, s6, v0
	s_delay_alu instid0(VALU_DEP_3) | instskip(NEXT) | instid1(VALU_DEP_3)
	v_lshlrev_b64 v[78:79], 3, v[64:65]
	v_add_co_u32 v48, vcc_lo, s0, v42
	s_delay_alu instid0(VALU_DEP_4)
	v_add_co_ci_u32_e32 v49, vcc_lo, s1, v43, vcc_lo
	s_waitcnt vmcnt(1)
	v_mul_f64 v[46:47], v[34:35], v[68:69]
	global_store_b64 v[66:67], v[46:47], off
	global_load_b64 v[46:47], v[48:49], off
	s_waitcnt vmcnt(0)
	v_mul_f64 v[54:55], v[34:35], v[46:47]
	v_lshlrev_b64 v[46:47], 3, v[0:1]
	v_add_nc_u32_e32 v0, s7, v0
	s_delay_alu instid0(VALU_DEP_2) | instskip(NEXT) | instid1(VALU_DEP_3)
	v_add_co_u32 v56, vcc_lo, s0, v46
	v_add_co_ci_u32_e32 v57, vcc_lo, s1, v47, vcc_lo
	v_add_co_u32 v44, vcc_lo, s0, v44
	v_add_co_ci_u32_e32 v45, vcc_lo, s1, v45, vcc_lo
	global_store_b64 v[48:49], v[54:55], off
	global_load_b64 v[48:49], v[56:57], off
	s_waitcnt vmcnt(0)
	v_mul_f64 v[48:49], v[34:35], v[48:49]
	global_store_b64 v[56:57], v[48:49], off
	global_load_b64 v[48:49], v[44:45], off
	s_waitcnt vmcnt(0)
	v_mul_f64 v[54:55], v[34:35], v[48:49]
	v_lshlrev_b64 v[48:49], 3, v[0:1]
	v_add_nc_u32_e32 v0, s6, v0
	s_delay_alu instid0(VALU_DEP_2) | instskip(NEXT) | instid1(VALU_DEP_3)
	v_add_co_u32 v56, vcc_lo, s0, v48
	v_add_co_ci_u32_e32 v57, vcc_lo, s1, v49, vcc_lo
	global_store_b64 v[44:45], v[54:55], off
	global_load_b64 v[44:45], v[56:57], off
	v_lshlrev_b64 v[54:55], 3, v[0:1]
	v_add_nc_u32_e32 v0, s6, v0
	s_delay_alu instid0(VALU_DEP_2) | instskip(NEXT) | instid1(VALU_DEP_3)
	v_add_co_u32 v54, vcc_lo, s0, v54
	v_add_co_ci_u32_e32 v55, vcc_lo, s1, v55, vcc_lo
	s_waitcnt vmcnt(0)
	v_mul_f64 v[44:45], v[34:35], v[44:45]
	global_store_b64 v[56:57], v[44:45], off
	global_load_b64 v[44:45], v[54:55], off
	s_waitcnt vmcnt(0)
	v_mul_f64 v[56:57], v[34:35], v[44:45]
	v_lshlrev_b64 v[44:45], 3, v[0:1]
	v_add_nc_u32_e32 v0, s6, v0
	s_delay_alu instid0(VALU_DEP_2) | instskip(NEXT) | instid1(VALU_DEP_3)
	v_add_co_u32 v58, vcc_lo, s0, v44
	v_add_co_ci_u32_e32 v59, vcc_lo, s1, v45, vcc_lo
	global_store_b64 v[54:55], v[56:57], off
	global_load_b64 v[54:55], v[58:59], off
	v_lshlrev_b64 v[56:57], 3, v[0:1]
	v_add_nc_u32_e32 v0, s6, v0
	s_delay_alu instid0(VALU_DEP_2) | instskip(NEXT) | instid1(VALU_DEP_3)
	v_add_co_u32 v56, vcc_lo, s0, v56
	v_add_co_ci_u32_e32 v57, vcc_lo, s1, v57, vcc_lo
	s_waitcnt vmcnt(0)
	v_mul_f64 v[54:55], v[34:35], v[54:55]
	global_store_b64 v[58:59], v[54:55], off
	global_load_b64 v[54:55], v[56:57], off
	v_lshlrev_b64 v[58:59], 3, v[0:1]
	v_add_nc_u32_e32 v0, s6, v0
	s_delay_alu instid0(VALU_DEP_2) | instskip(NEXT) | instid1(VALU_DEP_3)
	v_add_co_u32 v58, vcc_lo, s0, v58
	v_add_co_ci_u32_e32 v59, vcc_lo, s1, v59, vcc_lo
	s_waitcnt vmcnt(0)
	v_mul_f64 v[54:55], v[2:3], v[54:55]
	global_store_b64 v[56:57], v[54:55], off
	global_load_b64 v[54:55], v[58:59], off
	v_lshlrev_b64 v[56:57], 3, v[0:1]
	v_add_nc_u32_e32 v0, s7, v0
	s_delay_alu instid0(VALU_DEP_2) | instskip(NEXT) | instid1(VALU_DEP_3)
	v_add_co_u32 v56, vcc_lo, s0, v56
	v_add_co_ci_u32_e32 v57, vcc_lo, s1, v57, vcc_lo
	v_add_co_u32 v51, vcc_lo, s0, v52
	v_add_co_ci_u32_e32 v52, vcc_lo, s1, v53, vcc_lo
	s_waitcnt vmcnt(0)
	v_mul_f64 v[54:55], v[2:3], v[54:55]
	global_store_b64 v[58:59], v[54:55], off
	global_load_b64 v[54:55], v[56:57], off
	s_waitcnt vmcnt(0)
	v_mul_f64 v[54:55], v[2:3], v[54:55]
	global_store_b64 v[56:57], v[54:55], off
	global_load_b64 v[53:54], v[51:52], off
	v_lshlrev_b64 v[55:56], 3, v[0:1]
	v_add_nc_u32_e32 v0, s6, v0
	s_delay_alu instid0(VALU_DEP_2) | instskip(NEXT) | instid1(VALU_DEP_3)
	v_add_co_u32 v55, vcc_lo, s0, v55
	v_add_co_ci_u32_e32 v56, vcc_lo, s1, v56, vcc_lo
	s_waitcnt vmcnt(0)
	v_mul_f64 v[53:54], v[2:3], v[53:54]
	global_store_b64 v[51:52], v[53:54], off
	global_load_b64 v[51:52], v[55:56], off
	v_lshlrev_b64 v[53:54], 3, v[0:1]
	v_add_nc_u32_e32 v0, s6, v0
	s_delay_alu instid0(VALU_DEP_2) | instskip(NEXT) | instid1(VALU_DEP_3)
	v_add_co_u32 v53, vcc_lo, s0, v53
	v_add_co_ci_u32_e32 v54, vcc_lo, s1, v54, vcc_lo
	;; [unrolled: 9-line block ×5, first 2 shown]
	s_delay_alu instid0(VALU_DEP_3) | instskip(SKIP_1) | instid1(VALU_DEP_1)
	v_lshlrev_b64 v[58:59], 3, v[0:1]
	v_add_nc_u32_e32 v0, s6, v0
	v_lshlrev_b64 v[60:61], 3, v[0:1]
	v_add_nc_u32_e32 v0, s6, v0
	s_waitcnt vmcnt(0)
	v_mul_f64 v[51:52], v[10:11], v[51:52]
	global_store_b64 v[53:54], v[51:52], off
	global_load_b64 v[51:52], v[55:56], off
	v_add_co_u32 v53, vcc_lo, s0, v58
	v_add_co_ci_u32_e32 v54, vcc_lo, s1, v59, vcc_lo
	s_waitcnt vmcnt(0)
	v_mul_f64 v[51:52], v[10:11], v[51:52]
	global_store_b64 v[55:56], v[51:52], off
	global_load_b64 v[51:52], v[53:54], off
	v_add_co_u32 v55, vcc_lo, s0, v60
	v_add_co_ci_u32_e32 v56, vcc_lo, s1, v61, vcc_lo
	s_waitcnt vmcnt(0)
	v_mul_f64 v[51:52], v[10:11], v[51:52]
	global_store_b64 v[53:54], v[51:52], off
	global_load_b64 v[51:52], v[55:56], off
	v_lshlrev_b64 v[53:54], 3, v[0:1]
	v_add_nc_u32_e32 v0, s6, v0
	s_delay_alu instid0(VALU_DEP_2) | instskip(NEXT) | instid1(VALU_DEP_3)
	v_add_co_u32 v53, vcc_lo, s0, v53
	v_add_co_ci_u32_e32 v54, vcc_lo, s1, v54, vcc_lo
	s_waitcnt vmcnt(0)
	v_mul_f64 v[51:52], v[10:11], v[51:52]
	global_store_b64 v[55:56], v[51:52], off
	global_load_b64 v[51:52], v[53:54], off
	v_lshlrev_b64 v[55:56], 3, v[0:1]
	v_add_nc_u32_e32 v0, s6, v0
	s_delay_alu instid0(VALU_DEP_2) | instskip(NEXT) | instid1(VALU_DEP_3)
	v_add_co_u32 v55, vcc_lo, s0, v55
	v_add_co_ci_u32_e32 v56, vcc_lo, s1, v56, vcc_lo
	s_delay_alu instid0(VALU_DEP_3)
	v_lshlrev_b64 v[62:63], 3, v[0:1]
	v_add_nc_u32_e32 v0, s7, v0
	s_waitcnt vmcnt(0)
	v_mul_f64 v[51:52], v[10:11], v[51:52]
	global_store_b64 v[53:54], v[51:52], off
	global_load_b64 v[51:52], v[55:56], off
	v_add_co_u32 v53, vcc_lo, s0, v62
	v_add_co_ci_u32_e32 v54, vcc_lo, s1, v63, vcc_lo
	s_waitcnt vmcnt(0)
	v_mul_f64 v[51:52], v[10:11], v[51:52]
	global_store_b64 v[55:56], v[51:52], off
	global_load_b64 v[51:52], v[53:54], off
	v_add_co_u32 v55, vcc_lo, s0, v78
	v_add_co_ci_u32_e32 v56, vcc_lo, s1, v79, vcc_lo
	s_waitcnt vmcnt(0)
	v_mul_f64 v[51:52], v[10:11], v[51:52]
	global_store_b64 v[53:54], v[51:52], off
	global_load_b64 v[51:52], v[55:56], off
	v_lshlrev_b64 v[53:54], 3, v[0:1]
	v_add_nc_u32_e32 v0, s9, v0
	s_delay_alu instid0(VALU_DEP_2) | instskip(NEXT) | instid1(VALU_DEP_3)
	v_add_co_u32 v53, vcc_lo, s0, v53
	v_add_co_ci_u32_e32 v54, vcc_lo, s1, v54, vcc_lo
	s_delay_alu instid0(VALU_DEP_3) | instskip(SKIP_1) | instid1(VALU_DEP_1)
	v_lshlrev_b64 v[64:65], 3, v[0:1]
	v_add_nc_u32_e32 v0, s6, v0
	v_lshlrev_b64 v[66:67], 3, v[0:1]
	v_add_nc_u32_e32 v0, s6, v0
	s_waitcnt vmcnt(0)
	v_mul_f64 v[51:52], v[10:11], v[51:52]
	global_store_b64 v[55:56], v[51:52], off
	global_load_b64 v[51:52], v[53:54], off
	v_add_co_u32 v55, vcc_lo, s0, v64
	v_add_co_ci_u32_e32 v56, vcc_lo, s1, v65, vcc_lo
	s_waitcnt vmcnt(0)
	v_mul_f64 v[51:52], v[10:11], v[51:52]
	global_store_b64 v[53:54], v[51:52], off
	global_load_b64 v[51:52], v[55:56], off
	v_add_co_u32 v53, vcc_lo, s0, v66
	v_add_co_ci_u32_e32 v54, vcc_lo, s1, v67, vcc_lo
	s_waitcnt vmcnt(0)
	v_mul_f64 v[51:52], v[6:7], v[51:52]
	global_store_b64 v[55:56], v[51:52], off
	global_load_b64 v[51:52], v[53:54], off
	v_lshlrev_b64 v[55:56], 3, v[0:1]
	v_add_nc_u32_e32 v0, s6, v0
	s_delay_alu instid0(VALU_DEP_2) | instskip(NEXT) | instid1(VALU_DEP_3)
	v_add_co_u32 v55, vcc_lo, s0, v55
	v_add_co_ci_u32_e32 v56, vcc_lo, s1, v56, vcc_lo
	s_delay_alu instid0(VALU_DEP_3)
	v_lshlrev_b64 v[72:73], 3, v[0:1]
	v_add_nc_u32_e32 v0, s6, v0
	s_waitcnt vmcnt(0)
	v_mul_f64 v[51:52], v[6:7], v[51:52]
	global_store_b64 v[53:54], v[51:52], off
	global_load_b64 v[51:52], v[55:56], off
	v_add_co_u32 v53, vcc_lo, s0, v72
	v_add_co_ci_u32_e32 v54, vcc_lo, s1, v73, vcc_lo
	s_waitcnt vmcnt(0)
	v_mul_f64 v[51:52], v[6:7], v[51:52]
	global_store_b64 v[55:56], v[51:52], off
	global_load_b64 v[51:52], v[53:54], off
	v_lshlrev_b64 v[55:56], 3, v[0:1]
	v_add_nc_u32_e32 v0, s6, v0
	s_delay_alu instid0(VALU_DEP_2) | instskip(NEXT) | instid1(VALU_DEP_3)
	v_add_co_u32 v55, vcc_lo, s0, v55
	v_add_co_ci_u32_e32 v56, vcc_lo, s1, v56, vcc_lo
	s_waitcnt vmcnt(0)
	v_mul_f64 v[51:52], v[6:7], v[51:52]
	global_store_b64 v[53:54], v[51:52], off
	global_load_b64 v[51:52], v[55:56], off
	v_lshlrev_b64 v[53:54], 3, v[0:1]
	v_add_nc_u32_e32 v0, s6, v0
	s_delay_alu instid0(VALU_DEP_2) | instskip(NEXT) | instid1(VALU_DEP_3)
	;; [unrolled: 9-line block ×3, first 2 shown]
	v_add_co_u32 v55, vcc_lo, s0, v55
	v_add_co_ci_u32_e32 v56, vcc_lo, s1, v56, vcc_lo
	s_delay_alu instid0(VALU_DEP_3)
	v_lshlrev_b64 v[76:77], 3, v[0:1]
	v_add_nc_u32_e32 v0, s9, v0
	s_waitcnt vmcnt(0)
	v_mul_f64 v[51:52], v[6:7], v[51:52]
	global_store_b64 v[53:54], v[51:52], off
	global_load_b64 v[51:52], v[55:56], off
	s_waitcnt vmcnt(0)
	v_mul_f64 v[68:69], v[6:7], v[51:52]
	v_mov_b32_e32 v51, v1
	s_delay_alu instid0(VALU_DEP_1) | instskip(NEXT) | instid1(VALU_DEP_1)
	v_lshlrev_b64 v[52:53], 3, v[50:51]
	v_add_co_u32 v50, vcc_lo, s0, v52
	s_delay_alu instid0(VALU_DEP_2)
	v_add_co_ci_u32_e32 v51, vcc_lo, s1, v53, vcc_lo
	global_store_b64 v[55:56], v[68:69], off
	global_load_b64 v[54:55], v[50:51], off
	v_add_co_u32 v56, vcc_lo, s0, v76
	v_add_co_ci_u32_e32 v57, vcc_lo, s1, v77, vcc_lo
	s_waitcnt vmcnt(0)
	v_mul_f64 v[54:55], v[6:7], v[54:55]
	global_store_b64 v[50:51], v[54:55], off
	global_load_b64 v[50:51], v[56:57], off
	v_add_co_u32 v54, vcc_lo, s0, v32
	v_add_co_ci_u32_e32 v55, vcc_lo, s1, v33, vcc_lo
	s_waitcnt vmcnt(0)
	v_mul_f64 v[50:51], v[6:7], v[50:51]
	;; [unrolled: 6-line block ×3, first 2 shown]
	global_store_b64 v[54:55], v[50:51], off
	global_load_b64 v[50:51], v[56:57], off
	v_lshlrev_b64 v[54:55], 3, v[0:1]
	v_add_nc_u32_e32 v0, s6, v0
	s_delay_alu instid0(VALU_DEP_2) | instskip(NEXT) | instid1(VALU_DEP_3)
	v_add_co_u32 v54, vcc_lo, s0, v54
	v_add_co_ci_u32_e32 v55, vcc_lo, s1, v55, vcc_lo
	v_add_co_u32 v24, vcc_lo, s0, v24
	v_add_co_ci_u32_e32 v25, vcc_lo, s1, v25, vcc_lo
	v_lshlrev_b64 v[80:81], 3, v[0:1]
	v_add_nc_u32_e32 v0, s6, v0
	s_delay_alu instid0(VALU_DEP_1) | instskip(SKIP_1) | instid1(VALU_DEP_1)
	v_lshlrev_b64 v[82:83], 3, v[0:1]
	v_add_nc_u32_e32 v0, s7, v0
	v_lshlrev_b64 v[74:75], 3, v[0:1]
	v_add_nc_u32_e32 v0, s6, v0
	s_delay_alu instid0(VALU_DEP_1) | instskip(SKIP_1) | instid1(VALU_DEP_1)
	v_lshlrev_b64 v[70:71], 3, v[0:1]
	v_add_nc_u32_e32 v0, s6, v0
	v_lshlrev_b64 v[68:69], 3, v[0:1]
	s_waitcnt vmcnt(0)
	v_mul_f64 v[50:51], v[6:7], v[50:51]
	global_store_b64 v[56:57], v[50:51], off
	global_load_b64 v[50:51], v[54:55], off
	v_mad_u64_u32 v[56:57], null, s6, 6, v[0:1]
	s_delay_alu instid0(VALU_DEP_1)
	v_add_nc_u32_e32 v0, s9, v56
	s_waitcnt vmcnt(0)
	v_mul_f64 v[50:51], v[6:7], v[50:51]
	global_store_b64 v[54:55], v[50:51], off
	global_load_b64 v[50:51], v[24:25], off
	v_lshlrev_b64 v[54:55], 3, v[0:1]
	v_add_nc_u32_e32 v0, s7, v0
	s_waitcnt vmcnt(0)
	v_mul_f64 v[84:85], v[34:35], v[50:51]
	s_delay_alu instid0(VALU_DEP_2) | instskip(SKIP_1) | instid1(VALU_DEP_2)
	v_lshlrev_b64 v[50:51], 3, v[0:1]
	v_add_nc_u32_e32 v0, s7, v0
	v_add_co_u32 v86, vcc_lo, s0, v50
	s_delay_alu instid0(VALU_DEP_3)
	v_add_co_ci_u32_e32 v87, vcc_lo, s1, v51, vcc_lo
	v_add_co_u32 v40, vcc_lo, s0, v40
	v_add_co_ci_u32_e32 v41, vcc_lo, s1, v41, vcc_lo
	v_add_co_u32 v42, vcc_lo, s2, v42
	v_add_co_ci_u32_e32 v43, vcc_lo, s3, v43, vcc_lo
	global_store_b64 v[24:25], v[84:85], off
	global_load_b64 v[24:25], v[86:87], off
	v_lshlrev_b64 v[84:85], 3, v[0:1]
	v_add_nc_u32_e32 v0, s6, v0
	s_delay_alu instid0(VALU_DEP_2) | instskip(NEXT) | instid1(VALU_DEP_3)
	v_add_co_u32 v84, vcc_lo, s0, v84
	v_add_co_ci_u32_e32 v85, vcc_lo, s1, v85, vcc_lo
	v_add_co_u32 v46, vcc_lo, s2, v46
	v_add_co_ci_u32_e32 v47, vcc_lo, s3, v47, vcc_lo
	s_waitcnt vmcnt(0)
	v_mul_f64 v[24:25], v[34:35], v[24:25]
	global_store_b64 v[86:87], v[24:25], off
	global_load_b64 v[24:25], v[40:41], off
	global_load_b64 v[86:87], v[42:43], off
	s_waitcnt vmcnt(1)
	v_mul_f64 v[24:25], v[2:3], v[24:25]
	global_store_b64 v[40:41], v[24:25], off
	global_load_b64 v[24:25], v[84:85], off
	s_waitcnt vmcnt(1)
	v_mul_f64 v[40:41], v[2:3], v[86:87]
	v_add_co_u32 v86, vcc_lo, s0, v20
	v_add_co_ci_u32_e32 v87, vcc_lo, s1, v21, vcc_lo
	v_add_co_u32 v48, vcc_lo, s2, v48
	v_add_co_ci_u32_e32 v49, vcc_lo, s3, v49, vcc_lo
	global_store_b64 v[42:43], v[40:41], off
	global_load_b64 v[40:41], v[46:47], off
	s_waitcnt vmcnt(1)
	v_mul_f64 v[24:25], v[2:3], v[24:25]
	global_store_b64 v[84:85], v[24:25], off
	global_load_b64 v[24:25], v[86:87], off
	s_waitcnt vmcnt(1)
	v_mul_f64 v[40:41], v[10:11], v[40:41]
	v_add_co_u32 v84, vcc_lo, s0, v18
	v_add_co_ci_u32_e32 v85, vcc_lo, s1, v19, vcc_lo
	v_add_co_u32 v42, vcc_lo, s4, v78
	v_add_co_ci_u32_e32 v43, vcc_lo, s5, v79, vcc_lo
	;; [unrolled: 2-line block ×3, first 2 shown]
	global_store_b64 v[46:47], v[40:41], off
	global_load_b64 v[40:41], v[48:49], off
	s_waitcnt vmcnt(1)
	v_mul_f64 v[24:25], v[10:11], v[24:25]
	global_store_b64 v[86:87], v[24:25], off
	global_load_b64 v[24:25], v[84:85], off
	s_waitcnt vmcnt(1)
	v_mul_f64 v[46:47], v[2:3], v[40:41]
	s_clause 0x1
	global_load_b64 v[78:79], v[42:43], off
	global_load_b64 v[86:87], v[38:39], off
	v_lshlrev_b64 v[41:42], 3, v[0:1]
	v_add_nc_u32_e32 v0, s8, v0
	v_add_co_u32 v43, vcc_lo, s2, v44
	v_add_co_ci_u32_e32 v44, vcc_lo, s3, v45, vcc_lo
	s_delay_alu instid0(VALU_DEP_3) | instskip(SKIP_2) | instid1(VALU_DEP_2)
	v_lshlrev_b64 v[39:40], 3, v[0:1]
	v_add_nc_u32_e32 v0, s7, v0
	v_mov_b32_e32 v38, v1
	v_lshlrev_b64 v[88:89], 3, v[0:1]
	v_add_nc_u32_e32 v0, s6, v0
	s_delay_alu instid0(VALU_DEP_2) | instskip(NEXT) | instid1(VALU_DEP_3)
	v_add_co_u32 v88, vcc_lo, s0, v88
	v_add_co_ci_u32_e32 v89, vcc_lo, s1, v89, vcc_lo
	global_store_b64 v[48:49], v[46:47], off
	global_load_b64 v[47:48], v[43:44], off
	s_waitcnt vmcnt(3)
	v_mul_f64 v[24:25], v[6:7], v[24:25]
	s_waitcnt vmcnt(1)
	v_fma_f64 v[45:46], v[6:7], v[86:87], v[78:79]
	v_lshlrev_b64 v[78:79], 3, v[0:1]
	v_add_nc_u32_e32 v0, s6, v0
	global_store_b64 v[84:85], v[24:25], off
	global_load_b64 v[84:85], v[88:89], off
	v_lshlrev_b64 v[24:25], 3, v[37:38]
	s_waitcnt vmcnt(1)
	v_mul_f64 v[37:38], v[2:3], v[47:48]
	s_delay_alu instid0(VALU_DEP_2) | instskip(NEXT) | instid1(VALU_DEP_3)
	v_add_co_u32 v24, vcc_lo, s4, v24
	v_add_co_ci_u32_e32 v25, vcc_lo, s5, v25, vcc_lo
	v_add_co_u32 v57, vcc_lo, s2, v58
	v_add_co_ci_u32_e32 v58, vcc_lo, s3, v59, vcc_lo
	;; [unrolled: 2-line block ×4, first 2 shown]
	global_load_b64 v[24:25], v[24:25], off
	global_store_b64 v[43:44], v[37:38], off
	global_load_b64 v[37:38], v[57:58], off
	s_waitcnt vmcnt(2)
	v_mul_f64 v[47:48], v[45:46], v[84:85]
	global_store_b64 v[88:89], v[47:48], off
	global_load_b64 v[43:44], v[78:79], off
	s_waitcnt vmcnt(1)
	v_mul_f64 v[37:38], v[2:3], v[37:38]
	;; [unrolled: 4-line block ×3, first 2 shown]
	v_lshlrev_b64 v[43:44], 3, v[0:1]
	v_add_nc_u32_e32 v0, s7, v0
	s_delay_alu instid0(VALU_DEP_2) | instskip(NEXT) | instid1(VALU_DEP_3)
	v_add_co_u32 v84, vcc_lo, s0, v43
	v_add_co_ci_u32_e32 v85, vcc_lo, s1, v44, vcc_lo
	v_add_co_u32 v61, vcc_lo, s2, v62
	v_add_co_ci_u32_e32 v62, vcc_lo, s3, v63, vcc_lo
	global_store_b64 v[78:79], v[47:48], off
	global_load_b64 v[47:48], v[84:85], off
	s_waitcnt vmcnt(1)
	v_mul_f64 v[57:58], v[2:3], v[37:38]
	v_mov_b32_e32 v37, v1
	s_delay_alu instid0(VALU_DEP_1) | instskip(NEXT) | instid1(VALU_DEP_1)
	v_lshlrev_b64 v[36:37], 3, v[36:37]
	v_add_co_u32 v78, vcc_lo, s0, v36
	s_delay_alu instid0(VALU_DEP_2)
	v_add_co_ci_u32_e32 v79, vcc_lo, s1, v37, vcc_lo
	v_add_co_u32 v63, vcc_lo, s2, v64
	v_add_co_ci_u32_e32 v64, vcc_lo, s3, v65, vcc_lo
	global_store_b64 v[59:60], v[57:58], off
	global_load_b64 v[57:58], v[61:62], off
	v_lshlrev_b64 v[59:60], 3, v[0:1]
	v_add_nc_u32_e32 v0, s6, v0
	s_delay_alu instid0(VALU_DEP_2) | instskip(NEXT) | instid1(VALU_DEP_3)
	v_add_co_u32 v59, vcc_lo, s0, v59
	v_add_co_ci_u32_e32 v60, vcc_lo, s1, v60, vcc_lo
	v_add_co_u32 v65, vcc_lo, s2, v66
	v_add_co_ci_u32_e32 v66, vcc_lo, s3, v67, vcc_lo
	s_waitcnt vmcnt(1)
	v_mul_f64 v[47:48], v[45:46], v[47:48]
	global_store_b64 v[84:85], v[47:48], off
	global_load_b64 v[47:48], v[78:79], off
	s_waitcnt vmcnt(1)
	v_mul_f64 v[57:58], v[34:35], v[57:58]
	global_store_b64 v[61:62], v[57:58], off
	global_load_b64 v[57:58], v[63:64], off
	v_lshlrev_b64 v[61:62], 3, v[0:1]
	v_add_nc_u32_e32 v0, s8, v0
	s_delay_alu instid0(VALU_DEP_2) | instskip(NEXT) | instid1(VALU_DEP_3)
	v_add_co_u32 v61, vcc_lo, s0, v61
	v_add_co_ci_u32_e32 v62, vcc_lo, s1, v62, vcc_lo
	s_waitcnt vmcnt(1)
	v_mul_f64 v[47:48], v[45:46], v[47:48]
	global_store_b64 v[78:79], v[47:48], off
	global_load_b64 v[47:48], v[59:60], off
	s_waitcnt vmcnt(1)
	v_mul_f64 v[57:58], v[10:11], v[57:58]
	global_store_b64 v[63:64], v[57:58], off
	global_load_b64 v[57:58], v[65:66], off
	v_add_co_u32 v63, vcc_lo, s2, v72
	v_add_co_ci_u32_e32 v64, vcc_lo, s3, v73, vcc_lo
	s_waitcnt vmcnt(1)
	v_mul_f64 v[47:48], v[45:46], v[47:48]
	global_store_b64 v[59:60], v[47:48], off
	global_load_b64 v[47:48], v[61:62], off
	v_lshlrev_b64 v[59:60], 3, v[0:1]
	s_waitcnt vmcnt(1)
	v_mul_f64 v[57:58], v[34:35], v[57:58]
	v_add_nc_u32_e32 v0, s7, v0
	s_delay_alu instid0(VALU_DEP_3) | instskip(NEXT) | instid1(VALU_DEP_4)
	v_add_co_u32 v59, vcc_lo, s0, v59
	v_add_co_ci_u32_e32 v60, vcc_lo, s1, v60, vcc_lo
	global_store_b64 v[65:66], v[57:58], off
	global_load_b64 v[57:58], v[63:64], off
	s_waitcnt vmcnt(1)
	v_mul_f64 v[47:48], v[45:46], v[47:48]
	global_store_b64 v[61:62], v[47:48], off
	global_load_b64 v[47:48], v[59:60], off
	v_add_co_u32 v61, vcc_lo, s2, v76
	s_waitcnt vmcnt(1)
	v_mul_f64 v[57:58], v[2:3], v[57:58]
	v_add_co_ci_u32_e32 v62, vcc_lo, s3, v77, vcc_lo
	v_add_co_u32 v65, vcc_lo, s0, v12
	v_add_co_ci_u32_e32 v66, vcc_lo, s1, v13, vcc_lo
	global_store_b64 v[63:64], v[57:58], off
	global_load_b64 v[57:58], v[61:62], off
	v_add_co_u32 v63, vcc_lo, s2, v32
	v_add_co_ci_u32_e32 v64, vcc_lo, s3, v33, vcc_lo
	s_waitcnt vmcnt(1)
	v_mul_f64 v[47:48], v[34:35], v[47:48]
	global_store_b64 v[59:60], v[47:48], off
	global_load_b64 v[47:48], v[65:66], off
	v_lshlrev_b64 v[59:60], 3, v[0:1]
	v_add_nc_u32_e32 v0, s6, v0
	s_waitcnt vmcnt(1)
	v_mul_f64 v[57:58], v[10:11], v[57:58]
	s_delay_alu instid0(VALU_DEP_3) | instskip(NEXT) | instid1(VALU_DEP_4)
	v_add_co_u32 v59, vcc_lo, s0, v59
	v_add_co_ci_u32_e32 v60, vcc_lo, s1, v60, vcc_lo
	v_add_co_u32 v72, vcc_lo, s2, v26
	v_add_co_ci_u32_e32 v73, vcc_lo, s3, v27, vcc_lo
	global_store_b64 v[61:62], v[57:58], off
	global_load_b64 v[57:58], v[63:64], off
	v_lshlrev_b64 v[61:62], 3, v[0:1]
	v_add_nc_u32_e32 v0, s9, v0
	s_waitcnt vmcnt(1)
	v_mul_f64 v[47:48], v[10:11], v[47:48]
	global_store_b64 v[65:66], v[47:48], off
	global_load_b64 v[47:48], v[59:60], off
	v_lshlrev_b64 v[65:66], 3, v[0:1]
	v_add_nc_u32_e32 v0, s6, v0
	s_waitcnt vmcnt(1)
	v_mul_f64 v[57:58], v[10:11], v[57:58]
	s_delay_alu instid0(VALU_DEP_3) | instskip(NEXT) | instid1(VALU_DEP_4)
	v_add_co_u32 v65, vcc_lo, s0, v65
	v_add_co_ci_u32_e32 v66, vcc_lo, s1, v66, vcc_lo
	global_store_b64 v[63:64], v[57:58], off
	global_load_b64 v[57:58], v[72:73], off
	s_waitcnt vmcnt(1)
	v_mul_f64 v[47:48], v[6:7], v[47:48]
	global_store_b64 v[59:60], v[47:48], off
	global_load_b64 v[47:48], v[65:66], off
	v_add_co_u32 v59, vcc_lo, s2, v80
	s_waitcnt vmcnt(1)
	v_mul_f64 v[57:58], v[10:11], v[57:58]
	v_add_co_ci_u32_e32 v60, vcc_lo, s3, v81, vcc_lo
	global_store_b64 v[72:73], v[57:58], off
	global_load_b64 v[57:58], v[59:60], off
	s_waitcnt vmcnt(1)
	v_mul_f64 v[34:35], v[34:35], v[47:48]
	v_lshlrev_b64 v[47:48], 3, v[0:1]
	v_add_nc_u32_e32 v0, s7, v0
	s_delay_alu instid0(VALU_DEP_2) | instskip(NEXT) | instid1(VALU_DEP_3)
	v_add_co_u32 v63, vcc_lo, s0, v47
	v_add_co_ci_u32_e32 v64, vcc_lo, s1, v48, vcc_lo
	v_add_co_u32 v76, vcc_lo, s2, v82
	v_add_co_ci_u32_e32 v77, vcc_lo, s3, v83, vcc_lo
	global_store_b64 v[65:66], v[34:35], off
	global_load_b64 v[34:35], v[63:64], off
	v_lshlrev_b64 v[65:66], 3, v[0:1]
	v_add_nc_u32_e32 v0, s6, v0
	s_waitcnt vmcnt(1)
	v_mul_f64 v[57:58], v[45:46], v[57:58]
	s_delay_alu instid0(VALU_DEP_2) | instskip(SKIP_1) | instid1(VALU_DEP_2)
	v_lshlrev_b64 v[72:73], 3, v[0:1]
	v_add_nc_u32_e32 v0, s7, v0
	v_add_co_u32 v72, vcc_lo, s0, v72
	s_delay_alu instid0(VALU_DEP_3)
	v_add_co_ci_u32_e32 v73, vcc_lo, s1, v73, vcc_lo
	v_add_co_u32 v78, vcc_lo, s2, v30
	v_add_co_ci_u32_e32 v79, vcc_lo, s3, v31, vcc_lo
	global_store_b64 v[59:60], v[57:58], off
	global_load_b64 v[57:58], v[76:77], off
	v_lshlrev_b64 v[59:60], 3, v[0:1]
	v_add_nc_u32_e32 v0, s9, v0
	s_waitcnt vmcnt(1)
	v_mul_f64 v[34:35], v[10:11], v[34:35]
	global_store_b64 v[63:64], v[34:35], off
	global_load_b64 v[34:35], v[72:73], off
	v_lshlrev_b64 v[63:64], 3, v[0:1]
	v_add_nc_u32_e32 v0, s7, v0
	s_waitcnt vmcnt(1)
	v_mul_f64 v[57:58], v[2:3], v[57:58]
	s_delay_alu instid0(VALU_DEP_3) | instskip(NEXT) | instid1(VALU_DEP_4)
	v_add_co_u32 v80, vcc_lo, s0, v63
	v_add_co_ci_u32_e32 v81, vcc_lo, s1, v64, vcc_lo
	v_add_co_u32 v52, vcc_lo, s4, v52
	v_add_co_ci_u32_e32 v53, vcc_lo, s5, v53, vcc_lo
	;; [unrolled: 2-line block ×4, first 2 shown]
	global_store_b64 v[76:77], v[57:58], off
	global_load_b64 v[57:58], v[78:79], off
	s_waitcnt vmcnt(1)
	v_mul_f64 v[34:35], v[4:5], v[34:35]
	global_store_b64 v[72:73], v[34:35], off
	global_load_b64 v[34:35], v[80:81], off
	s_clause 0x2
	global_load_b64 v[52:53], v[52:53], off
	global_load_b64 v[26:27], v[26:27], off
	global_load_b64 v[72:73], v[30:31], off
	v_add_co_u32 v30, vcc_lo, s4, v32
	v_add_co_ci_u32_e32 v31, vcc_lo, s5, v33, vcc_lo
	s_waitcnt vmcnt(4)
	v_mul_f64 v[32:33], v[2:3], v[57:58]
	v_add_co_u32 v74, vcc_lo, s2, v74
	global_load_b64 v[57:58], v[30:31], off
	v_lshlrev_b64 v[30:31], 3, v[0:1]
	v_add_co_ci_u32_e32 v75, vcc_lo, s3, v75, vcc_lo
	v_add_nc_u32_e32 v0, s6, v0
	s_delay_alu instid0(VALU_DEP_3) | instskip(NEXT) | instid1(VALU_DEP_4)
	v_add_co_u32 v76, vcc_lo, s0, v30
	v_add_co_ci_u32_e32 v77, vcc_lo, s1, v31, vcc_lo
	v_add_co_u32 v30, vcc_lo, s4, v36
	v_add_co_ci_u32_e32 v31, vcc_lo, s5, v37, vcc_lo
	;; [unrolled: 2-line block ×3, first 2 shown]
	global_store_b64 v[78:79], v[32:33], off
	global_load_b64 v[32:33], v[74:75], off
	s_waitcnt vmcnt(5)
	v_mul_f64 v[34:35], v[2:3], v[34:35]
	s_waitcnt vmcnt(3)
	v_fma_f64 v[26:27], v[6:7], v[26:27], v[52:53]
	v_add_co_u32 v52, vcc_lo, s2, v70
	v_add_co_ci_u32_e32 v53, vcc_lo, s3, v71, vcc_lo
	global_store_b64 v[80:81], v[34:35], off
	global_load_b64 v[34:35], v[76:77], off
	s_waitcnt vmcnt(3)
	v_fma_f64 v[26:27], v[4:5], v[72:73], v[26:27]
	s_clause 0x1
	global_load_b64 v[28:29], v[30:31], off
	global_load_b64 v[30:31], v[36:37], off
	v_lshlrev_b64 v[36:37], 3, v[0:1]
	v_add_nc_u32_e32 v0, s6, v0
	s_waitcnt vmcnt(3)
	v_mul_f64 v[32:33], v[2:3], v[32:33]
	s_delay_alu instid0(VALU_DEP_2)
	v_lshlrev_b64 v[70:71], 3, v[0:1]
	v_add_nc_u32_e32 v0, s6, v0
	v_fma_f64 v[26:27], v[10:11], v[57:58], v[26:27]
	v_add_co_u32 v57, vcc_lo, s0, v36
	v_add_co_ci_u32_e32 v58, vcc_lo, s1, v37, vcc_lo
	v_add_co_u32 v67, vcc_lo, s2, v68
	global_store_b64 v[74:75], v[32:33], off
	global_load_b64 v[32:33], v[52:53], off
	v_add_co_ci_u32_e32 v68, vcc_lo, s3, v69, vcc_lo
	v_add_co_u32 v69, vcc_lo, s0, v70
	v_add_co_ci_u32_e32 v70, vcc_lo, s1, v71, vcc_lo
	v_add_co_u32 v16, vcc_lo, s2, v16
	v_add_co_ci_u32_e32 v17, vcc_lo, s3, v17, vcc_lo
	s_waitcnt vmcnt(3)
	v_mul_f64 v[34:35], v[26:27], v[34:35]
	s_waitcnt vmcnt(1)
	v_fma_f64 v[28:29], v[2:3], v[30:31], v[28:29]
	global_store_b64 v[76:77], v[34:35], off
	global_load_b64 v[34:35], v[57:58], off
	s_waitcnt vmcnt(1)
	v_mul_f64 v[32:33], v[2:3], v[32:33]
	global_store_b64 v[52:53], v[32:33], off
	global_load_b64 v[32:33], v[67:68], off
	v_lshlrev_b64 v[52:53], 3, v[0:1]
	v_add_nc_u32_e32 v0, s6, v0
	s_waitcnt vmcnt(1)
	v_mul_f64 v[34:35], v[26:27], v[34:35]
	global_store_b64 v[57:58], v[34:35], off
	global_load_b64 v[34:35], v[69:70], off
	v_add_co_u32 v57, vcc_lo, s0, v52
	v_add_co_ci_u32_e32 v58, vcc_lo, s1, v53, vcc_lo
	v_add_co_u32 v14, vcc_lo, s2, v14
	v_add_co_ci_u32_e32 v15, vcc_lo, s3, v15, vcc_lo
	s_waitcnt vmcnt(1)
	v_mul_f64 v[32:33], v[2:3], v[32:33]
	global_store_b64 v[67:68], v[32:33], off
	global_load_b64 v[32:33], v[16:17], off
	v_lshlrev_b64 v[67:68], 3, v[0:1]
	v_add_nc_u32_e32 v0, s8, v0
	s_waitcnt vmcnt(1)
	v_mul_f64 v[34:35], v[26:27], v[34:35]
	global_store_b64 v[69:70], v[34:35], off
	global_load_b64 v[34:35], v[57:58], off
	v_lshlrev_b64 v[69:70], 3, v[0:1]
	v_add_nc_u32_e32 v0, s7, v0
	s_delay_alu instid0(VALU_DEP_1) | instskip(SKIP_3) | instid1(VALU_DEP_3)
	v_lshlrev_b64 v[71:72], 3, v[0:1]
	v_add_nc_u32_e32 v0, s6, v0
	s_waitcnt vmcnt(1)
	v_mul_f64 v[32:33], v[10:11], v[32:33]
	v_add_co_u32 v71, vcc_lo, s0, v71
	s_delay_alu instid0(VALU_DEP_4)
	v_add_co_ci_u32_e32 v72, vcc_lo, s1, v72, vcc_lo
	global_store_b64 v[16:17], v[32:33], off
	global_load_b64 v[16:17], v[14:15], off
	s_waitcnt vmcnt(1)
	v_mul_f64 v[34:35], v[26:27], v[34:35]
	global_store_b64 v[57:58], v[34:35], off
	global_load_b64 v[32:33], v[71:72], off
	v_mov_b32_e32 v57, v1
	s_delay_alu instid0(VALU_DEP_1) | instskip(SKIP_4) | instid1(VALU_DEP_4)
	v_lshlrev_b64 v[34:35], 3, v[56:57]
	v_lshlrev_b64 v[56:57], 3, v[0:1]
	v_add_nc_u32_e32 v0, s6, v0
	s_waitcnt vmcnt(1)
	v_mul_f64 v[16:17], v[6:7], v[16:17]
	v_add_co_u32 v34, vcc_lo, s2, v34
	v_add_co_ci_u32_e32 v35, vcc_lo, s3, v35, vcc_lo
	v_add_co_u32 v56, vcc_lo, s0, v56
	v_add_co_ci_u32_e32 v57, vcc_lo, s1, v57, vcc_lo
	;; [unrolled: 2-line block ×3, first 2 shown]
	global_store_b64 v[14:15], v[16:17], off
	global_load_b64 v[14:15], v[34:35], off
	s_waitcnt vmcnt(1)
	v_mul_f64 v[32:33], v[4:5], v[32:33]
	global_store_b64 v[71:72], v[32:33], off
	global_load_b64 v[16:17], v[56:57], off
	v_lshlrev_b64 v[32:33], 3, v[0:1]
	v_add_nc_u32_e32 v0, s6, v0
	s_delay_alu instid0(VALU_DEP_2) | instskip(SKIP_2) | instid1(VALU_DEP_4)
	v_add_co_u32 v71, vcc_lo, s0, v32
	s_waitcnt vmcnt(1)
	v_mul_f64 v[14:15], v[45:46], v[14:15]
	v_add_co_ci_u32_e32 v72, vcc_lo, s1, v33, vcc_lo
	global_store_b64 v[34:35], v[14:15], off
	global_load_b64 v[14:15], v[54:55], off
	v_lshlrev_b64 v[34:35], 3, v[0:1]
	v_add_nc_u32_e32 v0, s6, v0
	s_waitcnt vmcnt(1)
	v_mul_f64 v[16:17], v[4:5], v[16:17]
	global_store_b64 v[56:57], v[16:17], off
	global_load_b64 v[16:17], v[71:72], off
	s_waitcnt vmcnt(1)
	v_mul_f64 v[14:15], v[45:46], v[14:15]
	v_add_co_u32 v45, vcc_lo, s2, v50
	v_add_co_ci_u32_e32 v46, vcc_lo, s3, v51, vcc_lo
	v_add_co_u32 v34, vcc_lo, s0, v34
	v_add_co_ci_u32_e32 v35, vcc_lo, s1, v35, vcc_lo
	v_lshlrev_b64 v[49:50], 3, v[0:1]
	v_add_co_u32 v41, vcc_lo, s2, v41
	v_add_co_ci_u32_e32 v42, vcc_lo, s3, v42, vcc_lo
	v_add_nc_u32_e32 v0, s6, v0
	s_delay_alu instid0(VALU_DEP_4)
	v_add_co_u32 v49, vcc_lo, s0, v49
	v_add_co_ci_u32_e32 v50, vcc_lo, s1, v50, vcc_lo
	v_add_co_u32 v18, vcc_lo, s4, v18
	v_add_co_ci_u32_e32 v19, vcc_lo, s5, v19, vcc_lo
	;; [unrolled: 2-line block ×3, first 2 shown]
	global_load_b64 v[18:19], v[18:19], off
	v_add_co_u32 v38, vcc_lo, s2, v39
	global_load_b64 v[20:21], v[20:21], off
	v_add_co_ci_u32_e32 v39, vcc_lo, s3, v40, vcc_lo
	global_store_b64 v[54:55], v[14:15], off
	global_load_b64 v[14:15], v[45:46], off
	s_waitcnt vmcnt(3)
	v_mul_f64 v[16:17], v[4:5], v[16:17]
	global_store_b64 v[71:72], v[16:17], off
	global_load_b64 v[16:17], v[34:35], off
	s_waitcnt vmcnt(1)
	v_mul_f64 v[14:15], v[4:5], v[14:15]
	global_store_b64 v[45:46], v[14:15], off
	global_load_b64 v[14:15], v[41:42], off
	s_waitcnt vmcnt(1)
	v_mul_f64 v[16:17], v[4:5], v[16:17]
	global_store_b64 v[34:35], v[16:17], off
	global_load_b64 v[16:17], v[49:50], off
	v_lshlrev_b64 v[34:35], 3, v[0:1]
	v_add_nc_u32_e32 v0, s6, v0
	s_delay_alu instid0(VALU_DEP_2) | instskip(SKIP_2) | instid1(VALU_DEP_4)
	v_add_co_u32 v34, vcc_lo, s0, v34
	s_waitcnt vmcnt(1)
	v_mul_f64 v[14:15], v[2:3], v[14:15]
	v_add_co_ci_u32_e32 v35, vcc_lo, s1, v35, vcc_lo
	global_store_b64 v[41:42], v[14:15], off
	global_load_b64 v[40:41], v[38:39], off
	v_fma_f64 v[14:15], v[2:3], v[18:19], v[22:23]
	v_add_co_u32 v22, vcc_lo, s2, v43
	v_add_co_ci_u32_e32 v23, vcc_lo, s3, v44, vcc_lo
	s_delay_alu instid0(VALU_DEP_3) | instskip(SKIP_2) | instid1(VALU_DEP_2)
	v_fma_f64 v[14:15], v[6:7], v[20:21], v[14:15]
	v_lshlrev_b64 v[20:21], 3, v[0:1]
	v_add_nc_u32_e32 v0, s6, v0
	v_add_co_u32 v20, vcc_lo, s0, v20
	s_delay_alu instid0(VALU_DEP_3)
	v_add_co_ci_u32_e32 v21, vcc_lo, s1, v21, vcc_lo
	s_waitcnt vmcnt(1)
	v_mul_f64 v[16:17], v[4:5], v[16:17]
	global_store_b64 v[49:50], v[16:17], off
	global_load_b64 v[16:17], v[34:35], off
	s_waitcnt vmcnt(1)
	v_mul_f64 v[18:19], v[14:15], v[40:41]
	global_store_b64 v[38:39], v[18:19], off
	global_load_b64 v[18:19], v[22:23], off
	v_add_co_u32 v38, vcc_lo, s2, v61
	v_add_co_ci_u32_e32 v39, vcc_lo, s3, v62, vcc_lo
	s_waitcnt vmcnt(1)
	v_mul_f64 v[16:17], v[4:5], v[16:17]
	global_store_b64 v[34:35], v[16:17], off
	global_load_b64 v[16:17], v[20:21], off
	v_lshlrev_b64 v[34:35], 3, v[0:1]
	v_add_nc_u32_e32 v0, s6, v0
	s_delay_alu instid0(VALU_DEP_2) | instskip(SKIP_2) | instid1(VALU_DEP_4)
	v_add_co_u32 v40, vcc_lo, s0, v34
	s_waitcnt vmcnt(1)
	v_mul_f64 v[18:19], v[6:7], v[18:19]
	v_add_co_ci_u32_e32 v41, vcc_lo, s1, v35, vcc_lo
	global_store_b64 v[22:23], v[18:19], off
	global_load_b64 v[18:19], v[38:39], off
	v_add_co_u32 v22, vcc_lo, s2, v47
	v_add_co_ci_u32_e32 v23, vcc_lo, s3, v48, vcc_lo
	s_waitcnt vmcnt(1)
	v_mul_f64 v[16:17], v[4:5], v[16:17]
	global_store_b64 v[20:21], v[16:17], off
	global_load_b64 v[16:17], v[40:41], off
	v_lshlrev_b64 v[20:21], 3, v[0:1]
	v_add_nc_u32_e32 v0, s6, v0
	s_delay_alu instid0(VALU_DEP_2) | instskip(SKIP_2) | instid1(VALU_DEP_4)
	v_add_co_u32 v42, vcc_lo, s0, v20
	s_waitcnt vmcnt(1)
	v_mul_f64 v[18:19], v[6:7], v[18:19]
	v_add_co_ci_u32_e32 v43, vcc_lo, s1, v21, vcc_lo
	global_store_b64 v[38:39], v[18:19], off
	global_load_b64 v[18:19], v[22:23], off
	v_lshlrev_b64 v[38:39], 3, v[0:1]
	v_add_nc_u32_e32 v0, s6, v0
	s_waitcnt vmcnt(1)
	v_mul_f64 v[16:17], v[4:5], v[16:17]
	global_store_b64 v[40:41], v[16:17], off
	global_load_b64 v[16:17], v[42:43], off
	v_add_co_u32 v40, vcc_lo, s2, v65
	v_add_co_ci_u32_e32 v41, vcc_lo, s3, v66, vcc_lo
	v_add_co_u32 v44, vcc_lo, s0, v38
	v_add_co_ci_u32_e32 v45, vcc_lo, s1, v39, vcc_lo
	s_waitcnt vmcnt(1)
	v_mul_f64 v[18:19], v[4:5], v[18:19]
	global_store_b64 v[22:23], v[18:19], off
	global_load_b64 v[18:19], v[40:41], off
	v_lshlrev_b64 v[22:23], 3, v[0:1]
	v_add_nc_u32_e32 v0, s7, v0
	s_waitcnt vmcnt(1)
	v_mul_f64 v[16:17], v[4:5], v[16:17]
	global_store_b64 v[42:43], v[16:17], off
	global_load_b64 v[16:17], v[44:45], off
	v_add_co_u32 v42, vcc_lo, s2, v59
	v_add_co_ci_u32_e32 v43, vcc_lo, s3, v60, vcc_lo
	v_add_co_u32 v22, vcc_lo, s0, v22
	v_add_co_ci_u32_e32 v23, vcc_lo, s1, v23, vcc_lo
	s_waitcnt vmcnt(1)
	v_mul_f64 v[18:19], v[26:27], v[18:19]
	;; [unrolled: 14-line block ×3, first 2 shown]
	v_add_co_u32 v36, vcc_lo, s2, v36
	v_add_co_ci_u32_e32 v37, vcc_lo, s3, v37, vcc_lo
	global_store_b64 v[42:43], v[18:19], off
	global_load_b64 v[18:19], v[44:45], off
	s_waitcnt vmcnt(1)
	v_mul_f64 v[16:17], v[4:5], v[16:17]
	global_store_b64 v[22:23], v[16:17], off
	global_load_b64 v[16:17], v[40:41], off
	v_lshlrev_b64 v[22:23], 3, v[0:1]
	v_add_nc_u32_e32 v0, s6, v0
	s_delay_alu instid0(VALU_DEP_2) | instskip(SKIP_2) | instid1(VALU_DEP_4)
	v_add_co_u32 v22, vcc_lo, s0, v22
	s_waitcnt vmcnt(1)
	v_mul_f64 v[18:19], v[4:5], v[18:19]
	v_add_co_ci_u32_e32 v23, vcc_lo, s1, v23, vcc_lo
	v_add_co_u32 v42, vcc_lo, s2, v52
	v_add_co_ci_u32_e32 v43, vcc_lo, s3, v53, vcc_lo
	global_store_b64 v[44:45], v[18:19], off
	global_load_b64 v[18:19], v[36:37], off
	s_waitcnt vmcnt(1)
	v_mul_f64 v[16:17], v[4:5], v[16:17]
	global_store_b64 v[40:41], v[16:17], off
	global_load_b64 v[16:17], v[22:23], off
	v_lshlrev_b64 v[40:41], 3, v[0:1]
	v_add_nc_u32_e32 v0, s6, v0
	s_delay_alu instid0(VALU_DEP_2) | instskip(SKIP_2) | instid1(VALU_DEP_4)
	v_add_co_u32 v40, vcc_lo, s0, v40
	s_waitcnt vmcnt(1)
	v_mul_f64 v[18:19], v[10:11], v[18:19]
	v_add_co_ci_u32_e32 v41, vcc_lo, s1, v41, vcc_lo
	v_add_co_u32 v12, vcc_lo, s4, v12
	v_add_co_ci_u32_e32 v13, vcc_lo, s5, v13, vcc_lo
	global_load_b64 v[12:13], v[12:13], off
	global_store_b64 v[36:37], v[18:19], off
	global_load_b64 v[18:19], v[42:43], off
	v_add_co_u32 v36, vcc_lo, s2, v67
	v_add_co_ci_u32_e32 v37, vcc_lo, s3, v68, vcc_lo
	s_waitcnt vmcnt(2)
	v_mul_f64 v[16:17], v[4:5], v[16:17]
	s_waitcnt vmcnt(1)
	v_fma_f64 v[12:13], v[4:5], v[12:13], v[28:29]
	global_store_b64 v[22:23], v[16:17], off
	global_load_b64 v[16:17], v[40:41], off
	v_lshlrev_b64 v[22:23], 3, v[0:1]
	v_add_nc_u32_e32 v0, s6, v0
	s_delay_alu instid0(VALU_DEP_2) | instskip(SKIP_2) | instid1(VALU_DEP_4)
	v_add_co_u32 v22, vcc_lo, s0, v22
	s_waitcnt vmcnt(1)
	v_mul_f64 v[18:19], v[10:11], v[18:19]
	v_add_co_ci_u32_e32 v23, vcc_lo, s1, v23, vcc_lo
	v_lshlrev_b64 v[28:29], 3, v[0:1]
	v_add_co_u32 v30, vcc_lo, s2, v69
	v_add_co_ci_u32_e32 v31, vcc_lo, s3, v70, vcc_lo
	v_add_nc_u32_e32 v0, s6, v0
	s_delay_alu instid0(VALU_DEP_4)
	v_add_co_u32 v28, vcc_lo, s0, v28
	v_add_co_ci_u32_e32 v29, vcc_lo, s1, v29, vcc_lo
	v_add_co_u32 v32, vcc_lo, s2, v32
	v_add_co_ci_u32_e32 v33, vcc_lo, s3, v33, vcc_lo
	global_store_b64 v[42:43], v[18:19], off
	global_load_b64 v[18:19], v[36:37], off
	s_waitcnt vmcnt(1)
	v_mul_f64 v[16:17], v[4:5], v[16:17]
	global_store_b64 v[40:41], v[16:17], off
	global_load_b64 v[16:17], v[22:23], off
	s_waitcnt vmcnt(1)
	v_mul_f64 v[18:19], v[12:13], v[18:19]
	;; [unrolled: 4-line block ×3, first 2 shown]
	global_store_b64 v[22:23], v[16:17], off
	global_load_b64 v[16:17], v[28:29], off
	v_lshlrev_b64 v[22:23], 3, v[0:1]
	v_add_nc_u32_e32 v0, s6, v0
	s_delay_alu instid0(VALU_DEP_2) | instskip(SKIP_2) | instid1(VALU_DEP_4)
	v_add_co_u32 v36, vcc_lo, s0, v22
	s_waitcnt vmcnt(1)
	v_mul_f64 v[18:19], v[10:11], v[18:19]
	v_add_co_ci_u32_e32 v37, vcc_lo, s1, v23, vcc_lo
	global_store_b64 v[30:31], v[18:19], off
	global_load_b64 v[18:19], v[32:33], off
	v_add_co_u32 v30, vcc_lo, s2, v34
	v_add_co_ci_u32_e32 v31, vcc_lo, s3, v35, vcc_lo
	s_waitcnt vmcnt(1)
	v_mul_f64 v[16:17], v[12:13], v[16:17]
	global_store_b64 v[28:29], v[16:17], off
	global_load_b64 v[16:17], v[36:37], off
	v_lshlrev_b64 v[28:29], 3, v[0:1]
	v_add_nc_u32_e32 v0, s6, v0
	s_delay_alu instid0(VALU_DEP_2) | instskip(SKIP_2) | instid1(VALU_DEP_4)
	v_add_co_u32 v28, vcc_lo, s0, v28
	s_waitcnt vmcnt(1)
	v_mul_f64 v[18:19], v[26:27], v[18:19]
	v_add_co_ci_u32_e32 v29, vcc_lo, s1, v29, vcc_lo
	v_add_co_u32 v20, vcc_lo, s2, v20
	v_add_co_ci_u32_e32 v21, vcc_lo, s3, v21, vcc_lo
	global_store_b64 v[32:33], v[18:19], off
	global_load_b64 v[18:19], v[30:31], off
	v_lshlrev_b64 v[32:33], 3, v[0:1]
	v_add_nc_u32_e32 v0, s6, v0
	s_delay_alu instid0(VALU_DEP_2) | instskip(NEXT) | instid1(VALU_DEP_3)
	v_add_co_u32 v32, vcc_lo, s0, v32
	v_add_co_ci_u32_e32 v33, vcc_lo, s1, v33, vcc_lo
	s_waitcnt vmcnt(1)
	v_mul_f64 v[16:17], v[12:13], v[16:17]
	global_store_b64 v[36:37], v[16:17], off
	global_load_b64 v[16:17], v[28:29], off
	s_waitcnt vmcnt(1)
	v_mul_f64 v[18:19], v[12:13], v[18:19]
	global_store_b64 v[30:31], v[18:19], off
	global_load_b64 v[18:19], v[20:21], off
	v_add_co_u32 v30, vcc_lo, s2, v38
	v_add_co_ci_u32_e32 v31, vcc_lo, s3, v39, vcc_lo
	s_waitcnt vmcnt(1)
	v_mul_f64 v[16:17], v[12:13], v[16:17]
	global_store_b64 v[28:29], v[16:17], off
	global_load_b64 v[16:17], v[32:33], off
	v_lshlrev_b64 v[28:29], 3, v[0:1]
	v_add_nc_u32_e32 v0, s6, v0
	s_delay_alu instid0(VALU_DEP_2) | instskip(SKIP_2) | instid1(VALU_DEP_4)
	v_add_co_u32 v28, vcc_lo, s0, v28
	s_waitcnt vmcnt(1)
	v_mul_f64 v[18:19], v[2:3], v[18:19]
	v_add_co_ci_u32_e32 v29, vcc_lo, s1, v29, vcc_lo
	v_add_co_u32 v22, vcc_lo, s2, v22
	v_add_co_ci_u32_e32 v23, vcc_lo, s3, v23, vcc_lo
	global_store_b64 v[20:21], v[18:19], off
	global_load_b64 v[18:19], v[30:31], off
	v_lshlrev_b64 v[20:21], 3, v[0:1]
	v_add_nc_u32_e32 v0, s6, v0
	s_delay_alu instid0(VALU_DEP_2) | instskip(NEXT) | instid1(VALU_DEP_3)
	v_add_co_u32 v20, vcc_lo, s0, v20
	v_add_co_ci_u32_e32 v21, vcc_lo, s1, v21, vcc_lo
	s_waitcnt vmcnt(1)
	v_mul_f64 v[16:17], v[12:13], v[16:17]
	global_store_b64 v[32:33], v[16:17], off
	global_load_b64 v[16:17], v[28:29], off
	s_waitcnt vmcnt(1)
	v_mul_f64 v[18:19], v[12:13], v[18:19]
	global_store_b64 v[30:31], v[18:19], off
	global_load_b64 v[18:19], v[22:23], off
	;; [unrolled: 4-line block ×3, first 2 shown]
	v_lshlrev_b64 v[28:29], 3, v[0:1]
	v_add_nc_u32_e32 v0, s6, v0
	s_delay_alu instid0(VALU_DEP_1) | instskip(SKIP_3) | instid1(VALU_DEP_3)
	v_lshlrev_b64 v[30:31], 3, v[0:1]
	v_add_nc_u32_e32 v0, s6, v0
	s_waitcnt vmcnt(1)
	v_mul_f64 v[18:19], v[2:3], v[18:19]
	v_add_co_u32 v30, vcc_lo, s2, v30
	s_delay_alu instid0(VALU_DEP_4)
	v_add_co_ci_u32_e32 v31, vcc_lo, s3, v31, vcc_lo
	v_add_co_u32 v28, vcc_lo, s0, v28
	v_add_co_ci_u32_e32 v29, vcc_lo, s1, v29, vcc_lo
	global_store_b64 v[22:23], v[18:19], off
	global_load_b64 v[18:19], v[30:31], off
	s_waitcnt vmcnt(1)
	v_mul_f64 v[16:17], v[12:13], v[16:17]
	global_store_b64 v[20:21], v[16:17], off
	global_load_b64 v[16:17], v[28:29], off
	v_lshlrev_b64 v[20:21], 3, v[0:1]
	v_add_nc_u32_e32 v0, s6, v0
	s_delay_alu instid0(VALU_DEP_1)
	v_lshlrev_b64 v[22:23], 3, v[0:1]
	v_add_nc_u32_e32 v0, s6, v0
	s_waitcnt vmcnt(1)
	v_mul_f64 v[18:19], v[26:27], v[18:19]
	v_add_co_u32 v20, vcc_lo, s2, v20
	v_add_co_ci_u32_e32 v21, vcc_lo, s3, v21, vcc_lo
	v_lshlrev_b64 v[32:33], 3, v[0:1]
	v_add_nc_u32_e32 v0, s6, v0
	global_store_b64 v[30:31], v[18:19], off
	global_load_b64 v[18:19], v[20:21], off
	s_waitcnt vmcnt(1)
	v_mul_f64 v[12:13], v[12:13], v[16:17]
	v_lshlrev_b64 v[16:17], 3, v[0:1]
	v_add_nc_u32_e32 v0, s6, v0
	s_delay_alu instid0(VALU_DEP_1) | instskip(SKIP_1) | instid1(VALU_DEP_1)
	v_lshlrev_b64 v[34:35], 3, v[0:1]
	v_add_nc_u32_e32 v0, s6, v0
	v_lshlrev_b64 v[36:37], 3, v[0:1]
	v_add_nc_u32_e32 v0, s6, v0
	s_delay_alu instid0(VALU_DEP_1) | instskip(SKIP_1) | instid1(VALU_DEP_1)
	v_lshlrev_b64 v[38:39], 3, v[0:1]
	v_add_nc_u32_e32 v0, s7, v0
	v_lshlrev_b64 v[40:41], 3, v[0:1]
	v_add_nc_u32_e32 v0, s6, v0
	s_delay_alu instid0(VALU_DEP_2) | instskip(NEXT) | instid1(VALU_DEP_3)
	v_add_co_u32 v42, vcc_lo, s0, v40
	v_add_co_ci_u32_e32 v43, vcc_lo, s1, v41, vcc_lo
	v_add_co_u32 v22, vcc_lo, s2, v22
	v_add_co_ci_u32_e32 v23, vcc_lo, s3, v23, vcc_lo
	global_store_b64 v[28:29], v[12:13], off
	global_load_b64 v[12:13], v[42:43], off
	v_lshlrev_b64 v[28:29], 3, v[0:1]
	v_add_nc_u32_e32 v0, s6, v0
	s_delay_alu instid0(VALU_DEP_2) | instskip(SKIP_2) | instid1(VALU_DEP_4)
	v_add_co_u32 v28, vcc_lo, s0, v28
	s_waitcnt vmcnt(1)
	v_mul_f64 v[18:19], v[14:15], v[18:19]
	v_add_co_ci_u32_e32 v29, vcc_lo, s1, v29, vcc_lo
	v_add_co_u32 v30, vcc_lo, s2, v32
	v_add_co_ci_u32_e32 v31, vcc_lo, s3, v33, vcc_lo
	global_store_b64 v[20:21], v[18:19], off
	global_load_b64 v[18:19], v[22:23], off
	v_lshlrev_b64 v[20:21], 3, v[0:1]
	v_add_nc_u32_e32 v0, s6, v0
	s_delay_alu instid0(VALU_DEP_2) | instskip(NEXT) | instid1(VALU_DEP_3)
	v_add_co_u32 v32, vcc_lo, s0, v20
	v_add_co_ci_u32_e32 v33, vcc_lo, s1, v21, vcc_lo
	v_add_co_u32 v16, vcc_lo, s2, v16
	v_add_co_ci_u32_e32 v17, vcc_lo, s3, v17, vcc_lo
	s_waitcnt vmcnt(1)
	v_mul_f64 v[12:13], v[2:3], v[12:13]
	global_store_b64 v[42:43], v[12:13], off
	global_load_b64 v[12:13], v[28:29], off
	s_waitcnt vmcnt(1)
	v_mul_f64 v[18:19], v[4:5], v[18:19]
	global_store_b64 v[22:23], v[18:19], off
	global_load_b64 v[18:19], v[30:31], off
	v_lshlrev_b64 v[22:23], 3, v[0:1]
	v_add_nc_u32_e32 v0, s6, v0
	s_delay_alu instid0(VALU_DEP_2) | instskip(NEXT) | instid1(VALU_DEP_3)
	v_add_co_u32 v22, vcc_lo, s0, v22
	v_add_co_ci_u32_e32 v23, vcc_lo, s1, v23, vcc_lo
	v_add_co_u32 v34, vcc_lo, s2, v34
	v_add_co_ci_u32_e32 v35, vcc_lo, s3, v35, vcc_lo
	s_waitcnt vmcnt(1)
	v_mul_f64 v[12:13], v[10:11], v[12:13]
	global_store_b64 v[28:29], v[12:13], off
	global_load_b64 v[12:13], v[32:33], off
	v_lshlrev_b64 v[28:29], 3, v[0:1]
	v_add_nc_u32_e32 v0, s6, v0
	s_waitcnt vmcnt(1)
	v_mul_f64 v[18:19], v[4:5], v[18:19]
	global_store_b64 v[30:31], v[18:19], off
	global_load_b64 v[18:19], v[16:17], off
	v_lshlrev_b64 v[30:31], 3, v[0:1]
	v_add_nc_u32_e32 v0, s6, v0
	;; [unrolled: 6-line block ×3, first 2 shown]
	s_delay_alu instid0(VALU_DEP_2) | instskip(SKIP_2) | instid1(VALU_DEP_4)
	v_add_co_u32 v32, vcc_lo, s0, v32
	s_waitcnt vmcnt(1)
	v_mul_f64 v[18:19], v[2:3], v[18:19]
	v_add_co_ci_u32_e32 v33, vcc_lo, s1, v33, vcc_lo
	global_store_b64 v[16:17], v[18:19], off
	global_load_b64 v[16:17], v[34:35], off
	v_add_co_u32 v18, vcc_lo, s2, v36
	v_add_co_ci_u32_e32 v19, vcc_lo, s3, v37, vcc_lo
	s_waitcnt vmcnt(1)
	v_mul_f64 v[12:13], v[6:7], v[12:13]
	global_store_b64 v[22:23], v[12:13], off
	global_load_b64 v[12:13], v[32:33], off
	s_waitcnt vmcnt(1)
	v_mul_f64 v[10:11], v[10:11], v[16:17]
	v_lshlrev_b64 v[16:17], 3, v[0:1]
	v_add_nc_u32_e32 v0, s6, v0
	s_delay_alu instid0(VALU_DEP_2) | instskip(NEXT) | instid1(VALU_DEP_3)
	v_add_co_u32 v16, vcc_lo, s0, v16
	v_add_co_ci_u32_e32 v17, vcc_lo, s1, v17, vcc_lo
	s_delay_alu instid0(VALU_DEP_3)
	v_lshlrev_b64 v[22:23], 3, v[0:1]
	v_add_nc_u32_e32 v0, s6, v0
	global_store_b64 v[34:35], v[10:11], off
	global_load_b64 v[10:11], v[18:19], off
	s_waitcnt vmcnt(1)
	v_mul_f64 v[12:13], v[14:15], v[12:13]
	global_store_b64 v[32:33], v[12:13], off
	global_load_b64 v[12:13], v[16:17], off
	v_add_co_u32 v32, vcc_lo, s2, v38
	v_add_co_ci_u32_e32 v33, vcc_lo, s3, v39, vcc_lo
	v_add_co_u32 v22, vcc_lo, s0, v22
	v_add_co_ci_u32_e32 v23, vcc_lo, s1, v23, vcc_lo
	s_waitcnt vmcnt(1)
	v_mul_f64 v[10:11], v[4:5], v[10:11]
	global_store_b64 v[18:19], v[10:11], off
	global_load_b64 v[10:11], v[32:33], off
	v_add_co_u32 v18, vcc_lo, s2, v40
	v_add_co_ci_u32_e32 v19, vcc_lo, s3, v41, vcc_lo
	s_waitcnt vmcnt(1)
	v_mul_f64 v[12:13], v[14:15], v[12:13]
	global_store_b64 v[16:17], v[12:13], off
	global_load_b64 v[12:13], v[22:23], off
	v_lshlrev_b64 v[16:17], 3, v[0:1]
	v_add_nc_u32_e32 v0, s6, v0
	s_delay_alu instid0(VALU_DEP_2) | instskip(SKIP_2) | instid1(VALU_DEP_4)
	v_add_co_u32 v16, vcc_lo, s0, v16
	s_waitcnt vmcnt(1)
	v_mul_f64 v[10:11], v[4:5], v[10:11]
	v_add_co_ci_u32_e32 v17, vcc_lo, s1, v17, vcc_lo
	v_add_co_u32 v20, vcc_lo, s2, v20
	v_add_co_ci_u32_e32 v21, vcc_lo, s3, v21, vcc_lo
	global_store_b64 v[32:33], v[10:11], off
	global_load_b64 v[10:11], v[18:19], off
	s_waitcnt vmcnt(1)
	v_mul_f64 v[12:13], v[14:15], v[12:13]
	global_store_b64 v[22:23], v[12:13], off
	global_load_b64 v[12:13], v[16:17], off
	v_lshlrev_b64 v[22:23], 3, v[0:1]
	v_add_nc_u32_e32 v0, s6, v0
	s_delay_alu instid0(VALU_DEP_2) | instskip(SKIP_2) | instid1(VALU_DEP_4)
	v_add_co_u32 v22, vcc_lo, s0, v22
	s_waitcnt vmcnt(1)
	v_mul_f64 v[10:11], v[14:15], v[10:11]
	v_add_co_ci_u32_e32 v23, vcc_lo, s1, v23, vcc_lo
	global_store_b64 v[18:19], v[10:11], off
	global_load_b64 v[10:11], v[20:21], off
	v_add_co_u32 v18, vcc_lo, s2, v28
	v_add_co_ci_u32_e32 v19, vcc_lo, s3, v29, vcc_lo
	s_waitcnt vmcnt(1)
	v_mul_f64 v[12:13], v[14:15], v[12:13]
	global_store_b64 v[16:17], v[12:13], off
	global_load_b64 v[12:13], v[22:23], off
	v_lshlrev_b64 v[16:17], 3, v[0:1]
	v_add_nc_u32_e32 v0, s6, v0
	s_delay_alu instid0(VALU_DEP_2) | instskip(SKIP_2) | instid1(VALU_DEP_4)
	v_add_co_u32 v16, vcc_lo, s0, v16
	s_waitcnt vmcnt(1)
	v_mul_f64 v[10:11], v[26:27], v[10:11]
	v_add_co_ci_u32_e32 v17, vcc_lo, s1, v17, vcc_lo
	v_add_co_u32 v8, vcc_lo, s4, v8
	v_add_co_ci_u32_e32 v9, vcc_lo, s5, v9, vcc_lo
	global_load_b64 v[8:9], v[8:9], off
	global_store_b64 v[20:21], v[10:11], off
	global_load_b64 v[10:11], v[18:19], off
	v_lshlrev_b64 v[20:21], 3, v[0:1]
	v_add_nc_u32_e32 v0, s6, v0
	s_waitcnt vmcnt(2)
	v_mul_f64 v[12:13], v[14:15], v[12:13]
	s_waitcnt vmcnt(1)
	v_fma_f64 v[8:9], v[14:15], v[8:9], v[24:25]
	global_store_b64 v[22:23], v[12:13], off
	global_load_b64 v[12:13], v[16:17], off
	v_add_co_u32 v22, vcc_lo, s2, v30
	v_add_co_ci_u32_e32 v23, vcc_lo, s3, v31, vcc_lo
	v_add_co_u32 v20, vcc_lo, s0, v20
	v_add_co_ci_u32_e32 v21, vcc_lo, s1, v21, vcc_lo
	s_waitcnt vmcnt(1)
	v_mul_f64 v[10:11], v[4:5], v[10:11]
	global_store_b64 v[18:19], v[10:11], off
	global_load_b64 v[10:11], v[22:23], off
	s_waitcnt vmcnt(1)
	v_mul_f64 v[12:13], v[14:15], v[12:13]
	global_store_b64 v[16:17], v[12:13], off
	global_load_b64 v[12:13], v[20:21], off
	v_lshlrev_b64 v[16:17], 3, v[0:1]
	v_add_nc_u32_e32 v0, s6, v0
	s_delay_alu instid0(VALU_DEP_1) | instskip(SKIP_3) | instid1(VALU_DEP_2)
	v_lshlrev_b64 v[18:19], 3, v[0:1]
	v_add_nc_u32_e32 v0, s7, v0
	s_waitcnt vmcnt(1)
	v_mul_f64 v[10:11], v[8:9], v[10:11]
	v_lshlrev_b64 v[24:25], 3, v[0:1]
	v_add_nc_u32_e32 v0, s6, v0
	s_delay_alu instid0(VALU_DEP_2) | instskip(NEXT) | instid1(VALU_DEP_3)
	v_add_co_u32 v24, vcc_lo, s2, v24
	v_add_co_ci_u32_e32 v25, vcc_lo, s3, v25, vcc_lo
	v_add_co_u32 v16, vcc_lo, s0, v16
	v_add_co_ci_u32_e32 v17, vcc_lo, s1, v17, vcc_lo
	global_store_b64 v[22:23], v[10:11], off
	global_load_b64 v[10:11], v[24:25], off
	s_waitcnt vmcnt(1)
	v_mul_f64 v[12:13], v[14:15], v[12:13]
	global_store_b64 v[20:21], v[12:13], off
	global_load_b64 v[12:13], v[16:17], off
	v_lshlrev_b64 v[20:21], 3, v[0:1]
	v_add_nc_u32_e32 v0, s6, v0
	s_delay_alu instid0(VALU_DEP_2) | instskip(SKIP_2) | instid1(VALU_DEP_4)
	v_add_co_u32 v20, vcc_lo, s2, v20
	s_waitcnt vmcnt(1)
	v_mul_f64 v[10:11], v[14:15], v[10:11]
	v_add_co_ci_u32_e32 v21, vcc_lo, s3, v21, vcc_lo
	v_add_co_u32 v18, vcc_lo, s0, v18
	v_add_co_ci_u32_e32 v19, vcc_lo, s1, v19, vcc_lo
	global_store_b64 v[24:25], v[10:11], off
	global_load_b64 v[10:11], v[20:21], off
	s_waitcnt vmcnt(1)
	v_mul_f64 v[12:13], v[14:15], v[12:13]
	global_store_b64 v[16:17], v[12:13], off
	global_load_b64 v[12:13], v[18:19], off
	v_lshlrev_b64 v[16:17], 3, v[0:1]
	v_add_nc_u32_e32 v0, s6, v0
	s_delay_alu instid0(VALU_DEP_1) | instskip(NEXT) | instid1(VALU_DEP_3)
	v_lshlrev_b64 v[22:23], 3, v[0:1]
	v_add_co_u32 v16, vcc_lo, s2, v16
	s_waitcnt vmcnt(1)
	v_mul_f64 v[10:11], v[14:15], v[10:11]
	v_add_co_ci_u32_e32 v17, vcc_lo, s3, v17, vcc_lo
	s_delay_alu instid0(VALU_DEP_4)
	v_add_co_u32 v24, vcc_lo, s0, v22
	v_add_co_ci_u32_e32 v25, vcc_lo, s1, v23, vcc_lo
	v_add_nc_u32_e32 v0, s6, v0
	v_add_co_u32 v22, vcc_lo, s2, v22
	v_add_co_ci_u32_e32 v23, vcc_lo, s3, v23, vcc_lo
	global_store_b64 v[20:21], v[10:11], off
	global_load_b64 v[10:11], v[16:17], off
	s_waitcnt vmcnt(1)
	v_mul_f64 v[12:13], v[14:15], v[12:13]
	global_store_b64 v[18:19], v[12:13], off
	global_load_b64 v[12:13], v[24:25], off
	s_waitcnt vmcnt(1)
	v_mul_f64 v[10:11], v[14:15], v[10:11]
	global_store_b64 v[16:17], v[10:11], off
	global_load_b64 v[10:11], v[22:23], off
	s_waitcnt vmcnt(1)
	v_mul_f64 v[6:7], v[6:7], v[12:13]
	v_lshlrev_b64 v[12:13], 3, v[0:1]
	v_add_nc_u32_e32 v0, s7, v0
	s_delay_alu instid0(VALU_DEP_1) | instskip(SKIP_1) | instid1(VALU_DEP_1)
	v_lshlrev_b64 v[18:19], 3, v[0:1]
	v_add_nc_u32_e32 v0, s7, v0
	v_lshlrev_b64 v[20:21], 3, v[0:1]
	v_add_nc_u32_e32 v0, s6, v0
	s_delay_alu instid0(VALU_DEP_1) | instskip(SKIP_1) | instid1(VALU_DEP_2)
	v_lshlrev_b64 v[28:29], 3, v[0:1]
	v_add_nc_u32_e32 v0, s6, v0
	v_add_co_u32 v28, vcc_lo, s0, v28
	s_delay_alu instid0(VALU_DEP_3)
	v_add_co_ci_u32_e32 v29, vcc_lo, s1, v29, vcc_lo
	v_add_co_u32 v12, vcc_lo, s2, v12
	v_add_co_ci_u32_e32 v13, vcc_lo, s3, v13, vcc_lo
	global_store_b64 v[24:25], v[6:7], off
	global_load_b64 v[6:7], v[28:29], off
	s_waitcnt vmcnt(1)
	v_mul_f64 v[10:11], v[14:15], v[10:11]
	global_store_b64 v[22:23], v[10:11], off
	global_load_b64 v[10:11], v[12:13], off
	v_lshlrev_b64 v[22:23], 3, v[0:1]
	s_waitcnt vmcnt(1)
	v_mul_f64 v[2:3], v[2:3], v[6:7]
	v_mad_u64_u32 v[6:7], null, s6, 9, v[0:1]
	v_mov_b32_e32 v7, v1
	s_delay_alu instid0(VALU_DEP_1) | instskip(SKIP_1) | instid1(VALU_DEP_2)
	v_lshlrev_b64 v[16:17], 3, v[6:7]
	v_add_nc_u32_e32 v0, s6, v6
	v_add_co_u32 v24, vcc_lo, s0, v16
	s_delay_alu instid0(VALU_DEP_3) | instskip(NEXT) | instid1(VALU_DEP_3)
	v_add_co_ci_u32_e32 v25, vcc_lo, s1, v17, vcc_lo
	v_lshlrev_b64 v[6:7], 3, v[0:1]
	v_add_co_u32 v18, vcc_lo, s2, v18
	v_add_co_ci_u32_e32 v19, vcc_lo, s3, v19, vcc_lo
	v_add_nc_u32_e32 v0, s6, v0
	s_delay_alu instid0(VALU_DEP_4)
	v_add_co_u32 v6, vcc_lo, s0, v6
	v_add_co_ci_u32_e32 v7, vcc_lo, s1, v7, vcc_lo
	v_add_co_u32 v20, vcc_lo, s2, v20
	v_add_co_ci_u32_e32 v21, vcc_lo, s3, v21, vcc_lo
	global_store_b64 v[28:29], v[2:3], off
	global_load_b64 v[2:3], v[24:25], off
	s_waitcnt vmcnt(1)
	v_mul_f64 v[10:11], v[14:15], v[10:11]
	global_store_b64 v[12:13], v[10:11], off
	global_load_b64 v[10:11], v[18:19], off
	v_lshlrev_b64 v[12:13], 3, v[0:1]
	v_add_nc_u32_e32 v0, s6, v0
	s_waitcnt vmcnt(1)
	v_mul_f64 v[2:3], v[8:9], v[2:3]
	global_store_b64 v[24:25], v[2:3], off
	global_load_b64 v[2:3], v[6:7], off
	v_add_co_u32 v24, vcc_lo, s0, v12
	v_add_co_ci_u32_e32 v25, vcc_lo, s1, v13, vcc_lo
	s_waitcnt vmcnt(1)
	v_mul_f64 v[10:11], v[26:27], v[10:11]
	global_store_b64 v[18:19], v[10:11], off
	global_load_b64 v[10:11], v[20:21], off
	s_waitcnt vmcnt(1)
	v_mul_f64 v[2:3], v[8:9], v[2:3]
	global_store_b64 v[6:7], v[2:3], off
	global_load_b64 v[2:3], v[24:25], off
	v_lshlrev_b64 v[6:7], 3, v[0:1]
	v_add_nc_u32_e32 v0, s6, v0
	s_delay_alu instid0(VALU_DEP_1)
	v_lshlrev_b64 v[18:19], 3, v[0:1]
	v_add_nc_u32_e32 v0, s6, v0
	s_waitcnt vmcnt(1)
	v_mul_f64 v[4:5], v[4:5], v[10:11]
	v_add_co_u32 v10, vcc_lo, s2, v22
	v_add_co_ci_u32_e32 v11, vcc_lo, s3, v23, vcc_lo
	v_add_co_u32 v6, vcc_lo, s0, v6
	v_add_co_ci_u32_e32 v7, vcc_lo, s1, v7, vcc_lo
	;; [unrolled: 2-line block ×4, first 2 shown]
	global_store_b64 v[20:21], v[4:5], off
	global_load_b64 v[4:5], v[10:11], off
	s_waitcnt vmcnt(1)
	v_mul_f64 v[2:3], v[8:9], v[2:3]
	global_store_b64 v[24:25], v[2:3], off
	global_load_b64 v[2:3], v[6:7], off
	s_waitcnt vmcnt(1)
	v_mul_f64 v[4:5], v[8:9], v[4:5]
	global_store_b64 v[10:11], v[4:5], off
	global_load_b64 v[4:5], v[16:17], off
	v_add_co_u32 v10, vcc_lo, s2, v12
	v_add_co_ci_u32_e32 v11, vcc_lo, s3, v13, vcc_lo
	s_waitcnt vmcnt(1)
	v_mul_f64 v[2:3], v[8:9], v[2:3]
	global_store_b64 v[6:7], v[2:3], off
	global_load_b64 v[2:3], v[18:19], off
	v_lshlrev_b64 v[6:7], 3, v[0:1]
	v_add_nc_u32_e32 v0, s6, v0
	s_delay_alu instid0(VALU_DEP_2) | instskip(NEXT) | instid1(VALU_DEP_3)
	v_add_co_u32 v12, vcc_lo, s0, v6
	v_add_co_ci_u32_e32 v13, vcc_lo, s1, v7, vcc_lo
	s_waitcnt vmcnt(1)
	v_mul_f64 v[4:5], v[14:15], v[4:5]
	v_lshlrev_b64 v[0:1], 3, v[0:1]
	v_add_co_u32 v6, vcc_lo, s2, v6
	v_add_co_ci_u32_e32 v7, vcc_lo, s3, v7, vcc_lo
	s_delay_alu instid0(VALU_DEP_3) | instskip(NEXT) | instid1(VALU_DEP_4)
	v_add_co_u32 v0, vcc_lo, s0, v0
	v_add_co_ci_u32_e32 v1, vcc_lo, s1, v1, vcc_lo
	global_store_b64 v[16:17], v[4:5], off
	global_load_b64 v[4:5], v[10:11], off
	s_waitcnt vmcnt(1)
	v_mul_f64 v[2:3], v[8:9], v[2:3]
	global_store_b64 v[18:19], v[2:3], off
	global_load_b64 v[2:3], v[12:13], off
	s_waitcnt vmcnt(1)
	v_mul_f64 v[4:5], v[14:15], v[4:5]
	s_waitcnt vmcnt(0)
	v_mul_f64 v[2:3], v[8:9], v[2:3]
	global_store_b64 v[10:11], v[4:5], off
	global_store_b64 v[12:13], v[2:3], off
	global_load_b64 v[2:3], v[6:7], off
	global_load_b64 v[4:5], v[0:1], off
	s_waitcnt vmcnt(1)
	v_mul_f64 v[2:3], v[14:15], v[2:3]
	s_waitcnt vmcnt(0)
	v_mul_f64 v[4:5], v[8:9], v[4:5]
	global_store_b64 v[6:7], v[2:3], off
	global_store_b64 v[0:1], v[4:5], off
	s_nop 0
	s_sendmsg sendmsg(MSG_DEALLOC_VGPRS)
	s_endpgm
	.section	.rodata,"a",@progbits
	.p2align	6, 0x0
	.amdhsa_kernel _Z12qssa2_kernelIdEvPT_S1_PKS0_
		.amdhsa_group_segment_fixed_size 0
		.amdhsa_private_segment_fixed_size 0
		.amdhsa_kernarg_size 280
		.amdhsa_user_sgpr_count 15
		.amdhsa_user_sgpr_dispatch_ptr 0
		.amdhsa_user_sgpr_queue_ptr 0
		.amdhsa_user_sgpr_kernarg_segment_ptr 1
		.amdhsa_user_sgpr_dispatch_id 0
		.amdhsa_user_sgpr_private_segment_size 0
		.amdhsa_wavefront_size32 1
		.amdhsa_uses_dynamic_stack 0
		.amdhsa_enable_private_segment 0
		.amdhsa_system_sgpr_workgroup_id_x 1
		.amdhsa_system_sgpr_workgroup_id_y 0
		.amdhsa_system_sgpr_workgroup_id_z 0
		.amdhsa_system_sgpr_workgroup_info 0
		.amdhsa_system_vgpr_workitem_id 0
		.amdhsa_next_free_vgpr 90
		.amdhsa_next_free_sgpr 16
		.amdhsa_reserve_vcc 1
		.amdhsa_float_round_mode_32 0
		.amdhsa_float_round_mode_16_64 0
		.amdhsa_float_denorm_mode_32 3
		.amdhsa_float_denorm_mode_16_64 3
		.amdhsa_dx10_clamp 1
		.amdhsa_ieee_mode 1
		.amdhsa_fp16_overflow 0
		.amdhsa_workgroup_processor_mode 1
		.amdhsa_memory_ordered 1
		.amdhsa_forward_progress 0
		.amdhsa_shared_vgpr_count 0
		.amdhsa_exception_fp_ieee_invalid_op 0
		.amdhsa_exception_fp_denorm_src 0
		.amdhsa_exception_fp_ieee_div_zero 0
		.amdhsa_exception_fp_ieee_overflow 0
		.amdhsa_exception_fp_ieee_underflow 0
		.amdhsa_exception_fp_ieee_inexact 0
		.amdhsa_exception_int_div_zero 0
	.end_amdhsa_kernel
	.section	.text._Z12qssa2_kernelIdEvPT_S1_PKS0_,"axG",@progbits,_Z12qssa2_kernelIdEvPT_S1_PKS0_,comdat
.Lfunc_end45:
	.size	_Z12qssa2_kernelIdEvPT_S1_PKS0_, .Lfunc_end45-_Z12qssa2_kernelIdEvPT_S1_PKS0_
                                        ; -- End function
	.section	.AMDGPU.csdata,"",@progbits
; Kernel info:
; codeLenInByte = 9972
; NumSgprs: 18
; NumVgprs: 90
; ScratchSize: 0
; MemoryBound: 1
; FloatMode: 240
; IeeeMode: 1
; LDSByteSize: 0 bytes/workgroup (compile time only)
; SGPRBlocks: 2
; VGPRBlocks: 11
; NumSGPRsForWavesPerEU: 18
; NumVGPRsForWavesPerEU: 90
; Occupancy: 16
; WaveLimiterHint : 1
; COMPUTE_PGM_RSRC2:SCRATCH_EN: 0
; COMPUTE_PGM_RSRC2:USER_SGPR: 15
; COMPUTE_PGM_RSRC2:TRAP_HANDLER: 0
; COMPUTE_PGM_RSRC2:TGID_X_EN: 1
; COMPUTE_PGM_RSRC2:TGID_Y_EN: 0
; COMPUTE_PGM_RSRC2:TGID_Z_EN: 0
; COMPUTE_PGM_RSRC2:TIDIG_COMP_CNT: 0
	.section	.text._Z13rdwdot_kernelIdEvPKT_S2_PS0_S0_S2_,"axG",@progbits,_Z13rdwdot_kernelIdEvPKT_S2_PS0_S0_S2_,comdat
	.protected	_Z13rdwdot_kernelIdEvPKT_S2_PS0_S0_S2_ ; -- Begin function _Z13rdwdot_kernelIdEvPKT_S2_PS0_S0_S2_
	.globl	_Z13rdwdot_kernelIdEvPKT_S2_PS0_S0_S2_
	.p2align	8
	.type	_Z13rdwdot_kernelIdEvPKT_S2_PS0_S0_S2_,@function
_Z13rdwdot_kernelIdEvPKT_S2_PS0_S0_S2_: ; @_Z13rdwdot_kernelIdEvPKT_S2_PS0_S0_S2_
; %bb.0:
	s_clause 0x3
	s_load_b32 s2, s[0:1], 0x34
	s_load_b32 s3, s[0:1], 0x28
	s_load_b256 s[4:11], s[0:1], 0x0
	s_load_b64 s[0:1], s[0:1], 0x20
	s_waitcnt lgkmcnt(0)
	s_and_b32 s2, s2, 0xffff
	s_delay_alu instid0(SALU_CYCLE_1) | instskip(SKIP_1) | instid1(SALU_CYCLE_1)
	v_mad_u64_u32 v[2:3], null, s15, s2, v[0:1]
	s_mul_i32 s2, s3, s2
	s_lshl_b32 s3, s2, 2
	v_mov_b32_e32 v1, 0
	s_mul_i32 s12, s2, 6
	s_mul_i32 s13, s2, 7
	s_delay_alu instid0(VALU_DEP_2)
	v_add_nc_u32_e32 v0, s3, v2
	s_mul_i32 s14, s2, 5
	v_mov_b32_e32 v3, v1
	s_lshl_b32 s15, s2, 1
	s_mul_i32 s16, s2, 3
	v_lshlrev_b64 v[4:5], 3, v[0:1]
	v_add_nc_u32_e32 v0, s2, v0
	v_lshlrev_b64 v[6:7], 3, v[2:3]
	s_lshl_b32 s17, s2, 3
	s_delay_alu instid0(VALU_DEP_2) | instskip(NEXT) | instid1(VALU_DEP_4)
	v_lshlrev_b64 v[8:9], 3, v[0:1]
	v_add_co_u32 v10, vcc_lo, s4, v4
	v_add_co_ci_u32_e32 v11, vcc_lo, s5, v5, vcc_lo
	v_add_co_u32 v3, vcc_lo, s6, v4
	v_add_nc_u32_e32 v0, s2, v0
	v_add_co_ci_u32_e32 v4, vcc_lo, s7, v5, vcc_lo
	v_add_co_u32 v14, vcc_lo, s4, v8
	v_add_co_ci_u32_e32 v15, vcc_lo, s5, v9, vcc_lo
	s_delay_alu instid0(VALU_DEP_4)
	v_lshlrev_b64 v[12:13], 3, v[0:1]
	v_add_nc_u32_e32 v0, s2, v0
	v_add_co_u32 v8, vcc_lo, s6, v8
	v_add_co_ci_u32_e32 v9, vcc_lo, s7, v9, vcc_lo
	global_load_b64 v[10:11], v[10:11], off
	global_load_b64 v[4:5], v[3:4], off
	;; [unrolled: 1-line block ×4, first 2 shown]
	v_lshlrev_b64 v[16:17], 3, v[0:1]
	v_add_nc_u32_e32 v0, s3, v0
	v_add_co_u32 v22, vcc_lo, s4, v6
	v_add_co_ci_u32_e32 v23, vcc_lo, s5, v7, vcc_lo
	s_delay_alu instid0(VALU_DEP_3) | instskip(SKIP_3) | instid1(VALU_DEP_3)
	v_lshlrev_b64 v[18:19], 3, v[0:1]
	v_add_nc_u32_e32 v0, s2, v0
	v_add_co_u32 v6, vcc_lo, s6, v6
	v_add_co_ci_u32_e32 v7, vcc_lo, s7, v7, vcc_lo
	v_lshlrev_b64 v[20:21], 3, v[0:1]
	v_add_nc_u32_e32 v0, s2, v0
	v_add_co_u32 v28, vcc_lo, s4, v12
	v_add_co_ci_u32_e32 v29, vcc_lo, s5, v13, vcc_lo
	s_delay_alu instid0(VALU_DEP_3) | instskip(SKIP_3) | instid1(VALU_DEP_3)
	v_lshlrev_b64 v[24:25], 3, v[0:1]
	v_add_nc_u32_e32 v0, s2, v0
	v_add_co_u32 v12, vcc_lo, s6, v12
	v_add_co_ci_u32_e32 v13, vcc_lo, s7, v13, vcc_lo
	v_lshlrev_b64 v[26:27], 3, v[0:1]
	v_add_nc_u32_e32 v0, s2, v2
	global_load_b64 v[22:23], v[22:23], off
	v_lshlrev_b64 v[2:3], 3, v[0:1]
	v_add_nc_u32_e32 v0, s2, v0
	s_delay_alu instid0(VALU_DEP_2) | instskip(NEXT) | instid1(VALU_DEP_3)
	v_add_co_u32 v30, vcc_lo, s4, v2
	v_add_co_ci_u32_e32 v31, vcc_lo, s5, v3, vcc_lo
	v_add_co_u32 v32, vcc_lo, s6, v2
	v_add_co_ci_u32_e32 v33, vcc_lo, s7, v3, vcc_lo
	global_load_b64 v[6:7], v[6:7], off
	global_load_b64 v[28:29], v[28:29], off
	;; [unrolled: 1-line block ×5, first 2 shown]
	v_add_co_u32 v34, vcc_lo, s4, v16
	v_lshlrev_b64 v[36:37], 3, v[0:1]
	v_add_co_ci_u32_e32 v35, vcc_lo, s5, v17, vcc_lo
	v_add_co_u32 v16, vcc_lo, s6, v16
	v_add_co_ci_u32_e32 v17, vcc_lo, s7, v17, vcc_lo
	s_delay_alu instid0(VALU_DEP_4)
	v_add_co_u32 v38, vcc_lo, s4, v36
	v_add_co_ci_u32_e32 v39, vcc_lo, s5, v37, vcc_lo
	v_add_co_u32 v36, vcc_lo, s6, v36
	v_add_co_ci_u32_e32 v37, vcc_lo, s7, v37, vcc_lo
	global_load_b64 v[34:35], v[34:35], off
	global_load_b64 v[16:17], v[16:17], off
	global_load_b64 v[38:39], v[38:39], off
	global_load_b64 v[36:37], v[36:37], off
	v_add_co_u32 v40, vcc_lo, s4, v18
	v_add_co_ci_u32_e32 v41, vcc_lo, s5, v19, vcc_lo
	v_add_co_u32 v18, vcc_lo, s6, v18
	v_add_co_ci_u32_e32 v19, vcc_lo, s7, v19, vcc_lo
	;; [unrolled: 2-line block ×4, first 2 shown]
	global_load_b64 v[40:41], v[40:41], off
	global_load_b64 v[18:19], v[18:19], off
	;; [unrolled: 1-line block ×4, first 2 shown]
	v_add_nc_u32_e32 v0, s12, v0
	v_add_co_u32 v44, vcc_lo, s4, v24
	v_add_co_ci_u32_e32 v45, vcc_lo, s5, v25, vcc_lo
	s_delay_alu instid0(VALU_DEP_3) | instskip(SKIP_3) | instid1(VALU_DEP_4)
	v_lshlrev_b64 v[46:47], 3, v[0:1]
	v_add_co_u32 v24, vcc_lo, s6, v24
	v_add_co_ci_u32_e32 v25, vcc_lo, s7, v25, vcc_lo
	v_add_nc_u32_e32 v0, s2, v0
	v_add_co_u32 v48, vcc_lo, s4, v46
	v_add_co_ci_u32_e32 v49, vcc_lo, s5, v47, vcc_lo
	v_add_co_u32 v46, vcc_lo, s6, v46
	v_add_co_ci_u32_e32 v47, vcc_lo, s7, v47, vcc_lo
	global_load_b64 v[44:45], v[44:45], off
	global_load_b64 v[24:25], v[24:25], off
	;; [unrolled: 1-line block ×4, first 2 shown]
	v_add_co_u32 v50, vcc_lo, s4, v26
	v_lshlrev_b64 v[52:53], 3, v[0:1]
	v_add_co_ci_u32_e32 v51, vcc_lo, s5, v27, vcc_lo
	v_add_co_u32 v26, vcc_lo, s6, v26
	v_add_co_ci_u32_e32 v27, vcc_lo, s7, v27, vcc_lo
	s_delay_alu instid0(VALU_DEP_4)
	v_add_co_u32 v54, vcc_lo, s4, v52
	v_add_co_ci_u32_e32 v55, vcc_lo, s5, v53, vcc_lo
	v_add_co_u32 v52, vcc_lo, s6, v52
	v_add_co_ci_u32_e32 v53, vcc_lo, s7, v53, vcc_lo
	global_load_b64 v[50:51], v[50:51], off
	global_load_b64 v[26:27], v[26:27], off
	;; [unrolled: 1-line block ×4, first 2 shown]
	v_add_nc_u32_e32 v0, s13, v0
	s_delay_alu instid0(VALU_DEP_1) | instskip(SKIP_1) | instid1(VALU_DEP_2)
	v_lshlrev_b64 v[56:57], 3, v[0:1]
	v_add_nc_u32_e32 v0, s2, v0
	v_add_co_u32 v58, vcc_lo, s4, v56
	s_delay_alu instid0(VALU_DEP_3)
	v_add_co_ci_u32_e32 v59, vcc_lo, s5, v57, vcc_lo
	v_add_co_u32 v56, vcc_lo, s6, v56
	v_add_co_ci_u32_e32 v57, vcc_lo, s7, v57, vcc_lo
	global_load_b64 v[58:59], v[58:59], off
	global_load_b64 v[56:57], v[56:57], off
	s_waitcnt vmcnt(26)
	v_add_f64 v[4:5], v[10:11], -v[4:5]
	v_lshlrev_b64 v[10:11], 3, v[0:1]
	s_waitcnt vmcnt(24)
	v_add_f64 v[8:9], v[14:15], -v[8:9]
	v_add_nc_u32_e32 v0, s2, v0
	s_delay_alu instid0(VALU_DEP_3) | instskip(NEXT) | instid1(VALU_DEP_4)
	v_add_co_u32 v14, vcc_lo, s4, v10
	v_add_co_ci_u32_e32 v15, vcc_lo, s5, v11, vcc_lo
	v_add_co_u32 v10, vcc_lo, s6, v10
	v_add_co_ci_u32_e32 v11, vcc_lo, s7, v11, vcc_lo
	global_load_b64 v[14:15], v[14:15], off
	global_load_b64 v[10:11], v[10:11], off
	v_add_f64 v[4:5], v[4:5], v[8:9]
	v_lshlrev_b64 v[8:9], 3, v[0:1]
	v_add_nc_u32_e32 v0, s14, v0
	s_waitcnt vmcnt(24)
	v_add_f64 v[6:7], v[22:23], -v[6:7]
	s_waitcnt vmcnt(22)
	v_add_f64 v[12:13], v[28:29], -v[12:13]
	;; [unrolled: 2-line block ×3, first 2 shown]
	v_add_co_u32 v28, vcc_lo, s4, v8
	v_add_co_ci_u32_e32 v29, vcc_lo, s5, v9, vcc_lo
	v_add_co_u32 v8, vcc_lo, s6, v8
	v_add_co_ci_u32_e32 v9, vcc_lo, s7, v9, vcc_lo
	global_load_b64 v[28:29], v[28:29], off
	global_load_b64 v[8:9], v[8:9], off
	s_waitcnt vmcnt(20)
	v_add_f64 v[16:17], v[34:35], -v[16:17]
	s_waitcnt vmcnt(18)
	v_add_f64 v[30:31], v[38:39], -v[36:37]
	;; [unrolled: 2-line block ×4, first 2 shown]
	v_add_f64 v[4:5], v[4:5], v[12:13]
	v_lshlrev_b64 v[12:13], 3, v[0:1]
	v_add_f64 v[6:7], v[22:23], -v[6:7]
	v_add_nc_u32_e32 v0, s2, v0
	s_delay_alu instid0(VALU_DEP_3) | instskip(NEXT) | instid1(VALU_DEP_4)
	v_add_co_u32 v22, vcc_lo, s4, v12
	v_add_co_ci_u32_e32 v23, vcc_lo, s5, v13, vcc_lo
	v_add_co_u32 v12, vcc_lo, s6, v12
	v_add_co_ci_u32_e32 v13, vcc_lo, s7, v13, vcc_lo
	global_load_b64 v[22:23], v[22:23], off
	global_load_b64 v[12:13], v[12:13], off
	s_waitcnt vmcnt(14)
	v_add_f64 v[24:25], v[44:45], -v[24:25]
	s_waitcnt vmcnt(12)
	v_add_f64 v[36:37], v[48:49], -v[46:47]
	;; [unrolled: 2-line block ×3, first 2 shown]
	v_add_f64 v[18:19], v[18:19], v[20:21]
	v_add_f64 v[4:5], v[4:5], v[16:17]
	v_lshlrev_b64 v[16:17], 3, v[0:1]
	v_add_f64 v[6:7], v[6:7], v[30:31]
	v_add_nc_u32_e32 v0, s14, v0
	s_waitcnt vmcnt(8)
	v_add_f64 v[38:39], v[54:55], -v[52:53]
	s_delay_alu instid0(VALU_DEP_4)
	v_add_co_u32 v30, vcc_lo, s4, v16
	v_add_co_ci_u32_e32 v31, vcc_lo, s5, v17, vcc_lo
	v_add_co_u32 v16, vcc_lo, s6, v16
	v_add_co_ci_u32_e32 v17, vcc_lo, s7, v17, vcc_lo
	global_load_b64 v[30:31], v[30:31], off
	global_load_b64 v[16:17], v[16:17], off
	v_lshlrev_b64 v[32:33], 3, v[0:1]
	v_add_nc_u32_e32 v0, s3, v0
	s_waitcnt vmcnt(8)
	v_add_f64 v[40:41], v[58:59], -v[56:57]
	s_delay_alu instid0(VALU_DEP_3) | instskip(NEXT) | instid1(VALU_DEP_4)
	v_add_co_u32 v34, vcc_lo, s4, v32
	v_add_co_ci_u32_e32 v35, vcc_lo, s5, v33, vcc_lo
	v_add_co_u32 v32, vcc_lo, s6, v32
	v_add_co_ci_u32_e32 v33, vcc_lo, s7, v33, vcc_lo
	global_load_b64 v[34:35], v[34:35], off
	global_load_b64 v[32:33], v[32:33], off
	v_add_f64 v[18:19], v[18:19], v[24:25]
	v_add_f64 v[6:7], v[6:7], -v[4:5]
	s_delay_alu instid0(VALU_DEP_2) | instskip(NEXT) | instid1(VALU_DEP_2)
	v_add_f64 v[18:19], v[18:19], v[26:27]
	v_add_f64 v[4:5], v[6:7], -v[4:5]
	v_lshlrev_b64 v[6:7], 3, v[0:1]
	v_add_nc_u32_e32 v0, s2, v0
	s_delay_alu instid0(VALU_DEP_2) | instskip(NEXT) | instid1(VALU_DEP_3)
	v_add_co_u32 v20, vcc_lo, s4, v6
	v_add_co_ci_u32_e32 v21, vcc_lo, s5, v7, vcc_lo
	v_add_co_u32 v6, vcc_lo, s6, v6
	v_add_co_ci_u32_e32 v7, vcc_lo, s7, v7, vcc_lo
	global_load_b64 v[20:21], v[20:21], off
	global_load_b64 v[6:7], v[6:7], off
	v_lshlrev_b64 v[24:25], 3, v[0:1]
	v_add_nc_u32_e32 v0, s2, v0
	s_delay_alu instid0(VALU_DEP_1)
	v_lshlrev_b64 v[26:27], 3, v[0:1]
	v_add_nc_u32_e32 v0, s2, v0
	v_add_f64 v[4:5], v[4:5], -v[36:37]
	v_add_co_u32 v36, vcc_lo, s4, v24
	v_add_co_ci_u32_e32 v37, vcc_lo, s5, v25, vcc_lo
	v_add_co_u32 v24, vcc_lo, s6, v24
	v_add_co_ci_u32_e32 v25, vcc_lo, s7, v25, vcc_lo
	global_load_b64 v[36:37], v[36:37], off
	global_load_b64 v[24:25], v[24:25], off
	v_add_f64 v[4:5], v[4:5], -v[38:39]
	v_add_co_u32 v38, vcc_lo, s4, v26
	v_add_co_ci_u32_e32 v39, vcc_lo, s5, v27, vcc_lo
	v_add_co_u32 v26, vcc_lo, s6, v26
	v_add_co_ci_u32_e32 v27, vcc_lo, s7, v27, vcc_lo
	global_load_b64 v[38:39], v[38:39], off
	global_load_b64 v[26:27], v[26:27], off
	v_add_f64 v[4:5], v[4:5], -v[18:19]
	v_lshlrev_b64 v[18:19], 3, v[0:1]
	v_add_nc_u32_e32 v0, s3, v0
	s_delay_alu instid0(VALU_DEP_2) | instskip(NEXT) | instid1(VALU_DEP_3)
	v_add_co_u32 v42, vcc_lo, s4, v18
	v_add_co_ci_u32_e32 v43, vcc_lo, s5, v19, vcc_lo
	v_add_co_u32 v18, vcc_lo, s6, v18
	v_add_co_ci_u32_e32 v19, vcc_lo, s7, v19, vcc_lo
	global_load_b64 v[42:43], v[42:43], off
	global_load_b64 v[18:19], v[18:19], off
	s_waitcnt vmcnt(16)
	v_add_f64 v[10:11], v[14:15], -v[10:11]
	v_lshlrev_b64 v[14:15], 3, v[0:1]
	v_add_nc_u32_e32 v0, s2, v0
	v_add_f64 v[4:5], v[4:5], -v[40:41]
	s_delay_alu instid0(VALU_DEP_3) | instskip(NEXT) | instid1(VALU_DEP_4)
	v_add_co_u32 v40, vcc_lo, s4, v14
	v_add_co_ci_u32_e32 v41, vcc_lo, s5, v15, vcc_lo
	v_add_co_u32 v14, vcc_lo, s6, v14
	v_add_co_ci_u32_e32 v15, vcc_lo, s7, v15, vcc_lo
	global_load_b64 v[40:41], v[40:41], off
	global_load_b64 v[14:15], v[14:15], off
	s_waitcnt vmcnt(16)
	v_add_f64 v[8:9], v[28:29], -v[8:9]
	v_add_f64 v[4:5], v[4:5], -v[10:11]
	v_lshlrev_b64 v[10:11], 3, v[0:1]
	v_add_nc_u32_e32 v0, s15, v0
	s_delay_alu instid0(VALU_DEP_2) | instskip(NEXT) | instid1(VALU_DEP_3)
	v_add_co_u32 v28, vcc_lo, s4, v10
	v_add_co_ci_u32_e32 v29, vcc_lo, s5, v11, vcc_lo
	v_add_co_u32 v10, vcc_lo, s6, v10
	v_add_co_ci_u32_e32 v11, vcc_lo, s7, v11, vcc_lo
	global_load_b64 v[28:29], v[28:29], off
	global_load_b64 v[10:11], v[10:11], off
	s_waitcnt vmcnt(16)
	v_add_f64 v[12:13], v[22:23], -v[12:13]
	v_add_f64 v[4:5], v[4:5], -v[8:9]
	v_lshlrev_b64 v[8:9], 3, v[0:1]
	v_add_nc_u32_e32 v0, s15, v0
	s_delay_alu instid0(VALU_DEP_2) | instskip(NEXT) | instid1(VALU_DEP_3)
	;; [unrolled: 12-line block ×4, first 2 shown]
	v_add_co_u32 v34, vcc_lo, s4, v16
	v_add_co_ci_u32_e32 v35, vcc_lo, s5, v17, vcc_lo
	v_add_co_u32 v16, vcc_lo, s6, v16
	v_add_co_ci_u32_e32 v17, vcc_lo, s7, v17, vcc_lo
	global_load_b64 v[34:35], v[34:35], off
	global_load_b64 v[16:17], v[16:17], off
	s_waitcnt vmcnt(16)
	v_add_f64 v[6:7], v[20:21], -v[6:7]
	v_lshlrev_b64 v[20:21], 3, v[0:1]
	v_add_nc_u32_e32 v0, s2, v0
	v_add_f64 v[4:5], v[4:5], v[32:33]
	s_delay_alu instid0(VALU_DEP_3) | instskip(NEXT) | instid1(VALU_DEP_4)
	v_add_co_u32 v32, vcc_lo, s4, v20
	v_add_co_ci_u32_e32 v33, vcc_lo, s5, v21, vcc_lo
	v_add_co_u32 v20, vcc_lo, s6, v20
	v_add_co_ci_u32_e32 v21, vcc_lo, s7, v21, vcc_lo
	global_load_b64 v[32:33], v[32:33], off
	global_load_b64 v[20:21], v[20:21], off
	s_waitcnt vmcnt(16)
	v_add_f64 v[24:25], v[36:37], -v[24:25]
	v_add_f64 v[4:5], v[4:5], v[6:7]
	v_lshlrev_b64 v[6:7], 3, v[0:1]
	v_add_nc_u32_e32 v0, s15, v0
	s_delay_alu instid0(VALU_DEP_2) | instskip(NEXT) | instid1(VALU_DEP_3)
	v_add_co_u32 v36, vcc_lo, s4, v6
	v_add_co_ci_u32_e32 v37, vcc_lo, s5, v7, vcc_lo
	v_add_co_u32 v6, vcc_lo, s6, v6
	v_add_co_ci_u32_e32 v7, vcc_lo, s7, v7, vcc_lo
	global_load_b64 v[36:37], v[36:37], off
	global_load_b64 v[6:7], v[6:7], off
	s_waitcnt vmcnt(16)
	v_add_f64 v[26:27], v[38:39], -v[26:27]
	v_add_f64 v[4:5], v[4:5], v[24:25]
	v_lshlrev_b64 v[24:25], 3, v[0:1]
	v_add_nc_u32_e32 v0, s2, v0
	s_delay_alu instid0(VALU_DEP_2) | instskip(NEXT) | instid1(VALU_DEP_3)
	v_add_co_u32 v38, vcc_lo, s4, v24
	v_add_co_ci_u32_e32 v39, vcc_lo, s5, v25, vcc_lo
	v_add_co_u32 v24, vcc_lo, s6, v24
	v_add_co_ci_u32_e32 v25, vcc_lo, s7, v25, vcc_lo
	global_load_b64 v[38:39], v[38:39], off
	global_load_b64 v[24:25], v[24:25], off
	s_waitcnt vmcnt(16)
	v_add_f64 v[18:19], v[42:43], -v[18:19]
	v_add_f64 v[4:5], v[4:5], v[26:27]
	s_waitcnt vmcnt(14)
	v_add_f64 v[14:15], v[40:41], -v[14:15]
	s_delay_alu instid0(VALU_DEP_2) | instskip(SKIP_2) | instid1(VALU_DEP_2)
	v_add_f64 v[4:5], v[4:5], v[18:19]
	v_lshlrev_b64 v[18:19], 3, v[0:1]
	v_add_nc_u32_e32 v0, s3, v0
	v_add_co_u32 v26, vcc_lo, s4, v18
	s_delay_alu instid0(VALU_DEP_3)
	v_add_co_ci_u32_e32 v27, vcc_lo, s5, v19, vcc_lo
	v_add_co_u32 v18, vcc_lo, s6, v18
	v_add_co_ci_u32_e32 v19, vcc_lo, s7, v19, vcc_lo
	global_load_b64 v[26:27], v[26:27], off
	global_load_b64 v[18:19], v[18:19], off
	s_waitcnt vmcnt(14)
	v_add_f64 v[10:11], v[28:29], -v[10:11]
	v_add_f64 v[4:5], v[4:5], -v[14:15]
	v_lshlrev_b64 v[14:15], 3, v[0:1]
	v_add_nc_u32_e32 v0, s16, v0
	s_delay_alu instid0(VALU_DEP_2) | instskip(NEXT) | instid1(VALU_DEP_3)
	v_add_co_u32 v28, vcc_lo, s4, v14
	v_add_co_ci_u32_e32 v29, vcc_lo, s5, v15, vcc_lo
	v_add_co_u32 v14, vcc_lo, s6, v14
	v_add_co_ci_u32_e32 v15, vcc_lo, s7, v15, vcc_lo
	global_load_b64 v[28:29], v[28:29], off
	global_load_b64 v[14:15], v[14:15], off
	s_waitcnt vmcnt(14)
	v_add_f64 v[8:9], v[22:23], -v[8:9]
	v_add_f64 v[4:5], v[4:5], -v[10:11]
	v_lshlrev_b64 v[10:11], 3, v[0:1]
	v_add_nc_u32_e32 v0, s15, v0
	s_delay_alu instid0(VALU_DEP_2) | instskip(NEXT) | instid1(VALU_DEP_3)
	v_add_co_u32 v22, vcc_lo, s4, v10
	v_add_co_ci_u32_e32 v23, vcc_lo, s5, v11, vcc_lo
	v_add_co_u32 v10, vcc_lo, s6, v10
	v_add_co_ci_u32_e32 v11, vcc_lo, s7, v11, vcc_lo
	global_load_b64 v[22:23], v[22:23], off
	global_load_b64 v[10:11], v[10:11], off
	s_waitcnt vmcnt(14)
	v_add_f64 v[12:13], v[30:31], -v[12:13]
	v_add_f64 v[4:5], v[4:5], v[8:9]
	v_lshlrev_b64 v[8:9], 3, v[0:1]
	v_add_nc_u32_e32 v0, s2, v0
	s_delay_alu instid0(VALU_DEP_2) | instskip(NEXT) | instid1(VALU_DEP_3)
	v_add_co_u32 v30, vcc_lo, s4, v8
	v_add_co_ci_u32_e32 v31, vcc_lo, s5, v9, vcc_lo
	v_add_co_u32 v8, vcc_lo, s6, v8
	v_add_co_ci_u32_e32 v9, vcc_lo, s7, v9, vcc_lo
	global_load_b64 v[30:31], v[30:31], off
	global_load_b64 v[8:9], v[8:9], off
	s_waitcnt vmcnt(14)
	v_add_f64 v[16:17], v[34:35], -v[16:17]
	v_add_f64 v[4:5], v[4:5], v[12:13]
	v_lshlrev_b64 v[12:13], 3, v[0:1]
	v_add_nc_u32_e32 v0, s2, v0
	s_delay_alu instid0(VALU_DEP_2) | instskip(NEXT) | instid1(VALU_DEP_3)
	v_add_co_u32 v34, vcc_lo, s4, v12
	v_add_co_ci_u32_e32 v35, vcc_lo, s5, v13, vcc_lo
	v_add_co_u32 v12, vcc_lo, s6, v12
	v_add_co_ci_u32_e32 v13, vcc_lo, s7, v13, vcc_lo
	global_load_b64 v[34:35], v[34:35], off
	global_load_b64 v[12:13], v[12:13], off
	s_waitcnt vmcnt(14)
	v_add_f64 v[20:21], v[32:33], -v[20:21]
	v_add_f64 v[4:5], v[4:5], -v[16:17]
	v_lshlrev_b64 v[16:17], 3, v[0:1]
	v_add_nc_u32_e32 v0, s2, v0
	s_delay_alu instid0(VALU_DEP_2) | instskip(NEXT) | instid1(VALU_DEP_3)
	v_add_co_u32 v32, vcc_lo, s4, v16
	v_add_co_ci_u32_e32 v33, vcc_lo, s5, v17, vcc_lo
	v_add_co_u32 v16, vcc_lo, s6, v16
	v_add_co_ci_u32_e32 v17, vcc_lo, s7, v17, vcc_lo
	global_load_b64 v[32:33], v[32:33], off
	global_load_b64 v[16:17], v[16:17], off
	s_waitcnt vmcnt(14)
	v_add_f64 v[6:7], v[36:37], -v[6:7]
	v_add_f64 v[4:5], v[4:5], v[20:21]
	v_lshlrev_b64 v[20:21], 3, v[0:1]
	v_add_nc_u32_e32 v0, s12, v0
	s_delay_alu instid0(VALU_DEP_2) | instskip(NEXT) | instid1(VALU_DEP_3)
	v_add_co_u32 v36, vcc_lo, s4, v20
	v_add_co_ci_u32_e32 v37, vcc_lo, s5, v21, vcc_lo
	v_add_co_u32 v20, vcc_lo, s6, v20
	v_add_co_ci_u32_e32 v21, vcc_lo, s7, v21, vcc_lo
	global_load_b64 v[36:37], v[36:37], off
	global_load_b64 v[20:21], v[20:21], off
	s_waitcnt vmcnt(14)
	v_add_f64 v[24:25], v[38:39], -v[24:25]
	v_add_f64 v[4:5], v[4:5], v[6:7]
	v_lshlrev_b64 v[6:7], 3, v[0:1]
	v_add_nc_u32_e32 v0, s2, v0
	s_delay_alu instid0(VALU_DEP_2) | instskip(NEXT) | instid1(VALU_DEP_3)
	v_add_co_u32 v38, vcc_lo, s4, v6
	v_add_co_ci_u32_e32 v39, vcc_lo, s5, v7, vcc_lo
	v_add_co_u32 v6, vcc_lo, s6, v6
	v_add_co_ci_u32_e32 v7, vcc_lo, s7, v7, vcc_lo
	global_load_b64 v[38:39], v[38:39], off
	global_load_b64 v[6:7], v[6:7], off
	v_lshlrev_b64 v[40:41], 3, v[0:1]
	v_add_nc_u32_e32 v0, s14, v0
	s_delay_alu instid0(VALU_DEP_2) | instskip(NEXT) | instid1(VALU_DEP_3)
	v_add_co_u32 v42, vcc_lo, s4, v40
	v_add_co_ci_u32_e32 v43, vcc_lo, s5, v41, vcc_lo
	v_add_co_u32 v40, vcc_lo, s6, v40
	v_add_co_ci_u32_e32 v41, vcc_lo, s7, v41, vcc_lo
	global_load_b64 v[42:43], v[42:43], off
	global_load_b64 v[40:41], v[40:41], off
	v_add_f64 v[4:5], v[4:5], v[24:25]
	s_waitcnt vmcnt(16)
	v_add_f64 v[18:19], v[26:27], -v[18:19]
	s_delay_alu instid0(VALU_DEP_2) | instskip(SKIP_2) | instid1(VALU_DEP_2)
	v_add_f64 v[4:5], v[24:25], v[4:5]
	v_lshlrev_b64 v[24:25], 3, v[0:1]
	v_add_nc_u32_e32 v0, s2, v0
	v_add_co_u32 v26, vcc_lo, s4, v24
	s_delay_alu instid0(VALU_DEP_3)
	v_add_co_ci_u32_e32 v27, vcc_lo, s5, v25, vcc_lo
	v_add_co_u32 v24, vcc_lo, s6, v24
	v_add_co_ci_u32_e32 v25, vcc_lo, s7, v25, vcc_lo
	global_load_b64 v[26:27], v[26:27], off
	global_load_b64 v[24:25], v[24:25], off
	s_waitcnt vmcnt(16)
	v_add_f64 v[14:15], v[28:29], -v[14:15]
	v_add_f64 v[4:5], v[4:5], v[18:19]
	v_lshlrev_b64 v[18:19], 3, v[0:1]
	v_add_nc_u32_e32 v0, s2, v0
	s_delay_alu instid0(VALU_DEP_2) | instskip(NEXT) | instid1(VALU_DEP_3)
	v_add_co_u32 v28, vcc_lo, s4, v18
	v_add_co_ci_u32_e32 v29, vcc_lo, s5, v19, vcc_lo
	v_add_co_u32 v18, vcc_lo, s6, v18
	v_add_co_ci_u32_e32 v19, vcc_lo, s7, v19, vcc_lo
	global_load_b64 v[28:29], v[28:29], off
	global_load_b64 v[18:19], v[18:19], off
	s_waitcnt vmcnt(16)
	v_add_f64 v[10:11], v[22:23], -v[10:11]
	v_add_f64 v[4:5], v[4:5], v[14:15]
	v_lshlrev_b64 v[14:15], 3, v[0:1]
	v_add_nc_u32_e32 v0, s17, v0
	s_delay_alu instid0(VALU_DEP_2) | instskip(NEXT) | instid1(VALU_DEP_3)
	v_add_co_u32 v22, vcc_lo, s4, v14
	v_add_co_ci_u32_e32 v23, vcc_lo, s5, v15, vcc_lo
	v_add_co_u32 v14, vcc_lo, s6, v14
	v_add_co_ci_u32_e32 v15, vcc_lo, s7, v15, vcc_lo
	global_load_b64 v[22:23], v[22:23], off
	global_load_b64 v[14:15], v[14:15], off
	s_waitcnt vmcnt(16)
	v_add_f64 v[8:9], v[30:31], -v[8:9]
	v_add_f64 v[4:5], v[4:5], -v[10:11]
	v_lshlrev_b64 v[10:11], 3, v[0:1]
	v_add_nc_u32_e32 v0, s3, v0
	s_delay_alu instid0(VALU_DEP_2) | instskip(NEXT) | instid1(VALU_DEP_3)
	v_add_co_u32 v30, vcc_lo, s4, v10
	v_add_co_ci_u32_e32 v31, vcc_lo, s5, v11, vcc_lo
	v_add_co_u32 v10, vcc_lo, s6, v10
	v_add_co_ci_u32_e32 v11, vcc_lo, s7, v11, vcc_lo
	global_load_b64 v[30:31], v[30:31], off
	global_load_b64 v[10:11], v[10:11], off
	s_waitcnt vmcnt(16)
	v_add_f64 v[12:13], v[34:35], -v[12:13]
	v_add_f64 v[4:5], v[4:5], v[8:9]
	v_lshlrev_b64 v[8:9], 3, v[0:1]
	v_add_nc_u32_e32 v0, s2, v0
	s_delay_alu instid0(VALU_DEP_2) | instskip(NEXT) | instid1(VALU_DEP_3)
	v_add_co_u32 v34, vcc_lo, s4, v8
	v_add_co_ci_u32_e32 v35, vcc_lo, s5, v9, vcc_lo
	v_add_co_u32 v8, vcc_lo, s6, v8
	v_add_co_ci_u32_e32 v9, vcc_lo, s7, v9, vcc_lo
	global_load_b64 v[34:35], v[34:35], off
	global_load_b64 v[8:9], v[8:9], off
	s_waitcnt vmcnt(16)
	v_add_f64 v[16:17], v[32:33], -v[16:17]
	v_add_f64 v[4:5], v[4:5], v[12:13]
	;; [unrolled: 12-line block ×4, first 2 shown]
	v_lshlrev_b64 v[20:21], 3, v[0:1]
	v_add_nc_u32_e32 v0, s2, v0
	s_delay_alu instid0(VALU_DEP_2) | instskip(NEXT) | instid1(VALU_DEP_3)
	v_add_co_u32 v38, vcc_lo, s4, v20
	v_add_co_ci_u32_e32 v39, vcc_lo, s5, v21, vcc_lo
	v_add_co_u32 v20, vcc_lo, s6, v20
	v_add_co_ci_u32_e32 v21, vcc_lo, s7, v21, vcc_lo
	global_load_b64 v[38:39], v[38:39], off
	global_load_b64 v[20:21], v[20:21], off
	s_waitcnt vmcnt(16)
	v_add_f64 v[40:41], v[42:43], -v[40:41]
	v_add_f64 v[4:5], v[4:5], -v[6:7]
	v_lshlrev_b64 v[6:7], 3, v[0:1]
	v_add_nc_u32_e32 v0, s2, v0
	s_delay_alu instid0(VALU_DEP_2) | instskip(NEXT) | instid1(VALU_DEP_3)
	v_add_co_u32 v42, vcc_lo, s4, v6
	v_add_co_ci_u32_e32 v43, vcc_lo, s5, v7, vcc_lo
	v_add_co_u32 v6, vcc_lo, s6, v6
	v_add_co_ci_u32_e32 v7, vcc_lo, s7, v7, vcc_lo
	global_load_b64 v[42:43], v[42:43], off
	global_load_b64 v[6:7], v[6:7], off
	s_waitcnt vmcnt(16)
	v_add_f64 v[24:25], v[26:27], -v[24:25]
	v_lshlrev_b64 v[26:27], 3, v[0:1]
	v_add_nc_u32_e32 v0, s3, v0
	v_add_f64 v[4:5], v[4:5], -v[40:41]
	s_delay_alu instid0(VALU_DEP_3) | instskip(NEXT) | instid1(VALU_DEP_4)
	v_add_co_u32 v40, vcc_lo, s4, v26
	v_add_co_ci_u32_e32 v41, vcc_lo, s5, v27, vcc_lo
	v_add_co_u32 v26, vcc_lo, s6, v26
	v_add_co_ci_u32_e32 v27, vcc_lo, s7, v27, vcc_lo
	global_load_b64 v[40:41], v[40:41], off
	global_load_b64 v[26:27], v[26:27], off
	s_waitcnt vmcnt(16)
	v_add_f64 v[18:19], v[28:29], -v[18:19]
	v_add_f64 v[4:5], v[4:5], v[24:25]
	v_lshlrev_b64 v[24:25], 3, v[0:1]
	v_add_nc_u32_e32 v0, s16, v0
	s_delay_alu instid0(VALU_DEP_2) | instskip(NEXT) | instid1(VALU_DEP_3)
	v_add_co_u32 v28, vcc_lo, s4, v24
	v_add_co_ci_u32_e32 v29, vcc_lo, s5, v25, vcc_lo
	v_add_co_u32 v24, vcc_lo, s6, v24
	v_add_co_ci_u32_e32 v25, vcc_lo, s7, v25, vcc_lo
	global_load_b64 v[28:29], v[28:29], off
	global_load_b64 v[24:25], v[24:25], off
	s_waitcnt vmcnt(16)
	v_add_f64 v[14:15], v[22:23], -v[14:15]
	v_add_f64 v[4:5], v[4:5], -v[18:19]
	v_lshlrev_b64 v[18:19], 3, v[0:1]
	v_add_nc_u32_e32 v0, s16, v0
	s_delay_alu instid0(VALU_DEP_2) | instskip(NEXT) | instid1(VALU_DEP_3)
	v_add_co_u32 v22, vcc_lo, s4, v18
	v_add_co_ci_u32_e32 v23, vcc_lo, s5, v19, vcc_lo
	v_add_co_u32 v18, vcc_lo, s6, v18
	v_add_co_ci_u32_e32 v19, vcc_lo, s7, v19, vcc_lo
	global_load_b64 v[22:23], v[22:23], off
	global_load_b64 v[18:19], v[18:19], off
	s_waitcnt vmcnt(16)
	v_add_f64 v[10:11], v[30:31], -v[10:11]
	v_add_f64 v[4:5], v[4:5], v[14:15]
	v_lshlrev_b64 v[14:15], 3, v[0:1]
	v_add_nc_u32_e32 v0, s2, v0
	s_delay_alu instid0(VALU_DEP_2) | instskip(NEXT) | instid1(VALU_DEP_3)
	v_add_co_u32 v30, vcc_lo, s4, v14
	v_add_co_ci_u32_e32 v31, vcc_lo, s5, v15, vcc_lo
	v_add_co_u32 v14, vcc_lo, s6, v14
	v_add_co_ci_u32_e32 v15, vcc_lo, s7, v15, vcc_lo
	global_load_b64 v[30:31], v[30:31], off
	global_load_b64 v[14:15], v[14:15], off
	s_waitcnt vmcnt(16)
	v_add_f64 v[8:9], v[34:35], -v[8:9]
	v_add_f64 v[4:5], v[4:5], v[10:11]
	;; [unrolled: 12-line block ×5, first 2 shown]
	v_lshlrev_b64 v[16:17], 3, v[0:1]
	v_add_nc_u32_e32 v0, s12, v0
	s_delay_alu instid0(VALU_DEP_2) | instskip(NEXT) | instid1(VALU_DEP_3)
	v_add_co_u32 v38, vcc_lo, s4, v16
	v_add_co_ci_u32_e32 v39, vcc_lo, s5, v17, vcc_lo
	v_add_co_u32 v16, vcc_lo, s6, v16
	v_add_co_ci_u32_e32 v17, vcc_lo, s7, v17, vcc_lo
	global_load_b64 v[38:39], v[38:39], off
	global_load_b64 v[16:17], v[16:17], off
	s_waitcnt vmcnt(16)
	v_add_f64 v[6:7], v[42:43], -v[6:7]
	v_add_f64 v[4:5], v[4:5], -v[20:21]
	v_lshlrev_b64 v[20:21], 3, v[0:1]
	v_add_nc_u32_e32 v0, s15, v0
	s_delay_alu instid0(VALU_DEP_2) | instskip(NEXT) | instid1(VALU_DEP_3)
	v_add_co_u32 v42, vcc_lo, s4, v20
	v_add_co_ci_u32_e32 v43, vcc_lo, s5, v21, vcc_lo
	v_add_co_u32 v20, vcc_lo, s6, v20
	v_add_co_ci_u32_e32 v21, vcc_lo, s7, v21, vcc_lo
	global_load_b64 v[42:43], v[42:43], off
	global_load_b64 v[20:21], v[20:21], off
	s_waitcnt vmcnt(16)
	v_add_f64 v[26:27], v[40:41], -v[26:27]
	v_add_f64 v[4:5], v[4:5], -v[6:7]
	;; [unrolled: 12-line block ×3, first 2 shown]
	v_lshlrev_b64 v[26:27], 3, v[0:1]
	v_add_nc_u32_e32 v0, s2, v0
	s_delay_alu instid0(VALU_DEP_2) | instskip(NEXT) | instid1(VALU_DEP_3)
	v_add_co_u32 v28, vcc_lo, s4, v26
	v_add_co_ci_u32_e32 v29, vcc_lo, s5, v27, vcc_lo
	v_add_co_u32 v26, vcc_lo, s6, v26
	v_add_co_ci_u32_e32 v27, vcc_lo, s7, v27, vcc_lo
	global_load_b64 v[28:29], v[28:29], off
	global_load_b64 v[26:27], v[26:27], off
	s_waitcnt vmcnt(16)
	v_add_f64 v[18:19], v[22:23], -v[18:19]
	v_lshlrev_b64 v[22:23], 3, v[0:1]
	v_add_nc_u32_e32 v0, s3, v0
	v_add_f64 v[4:5], v[4:5], -v[24:25]
	s_delay_alu instid0(VALU_DEP_3) | instskip(NEXT) | instid1(VALU_DEP_4)
	v_add_co_u32 v24, vcc_lo, s4, v22
	v_add_co_ci_u32_e32 v25, vcc_lo, s5, v23, vcc_lo
	v_add_co_u32 v22, vcc_lo, s6, v22
	v_add_co_ci_u32_e32 v23, vcc_lo, s7, v23, vcc_lo
	global_load_b64 v[24:25], v[24:25], off
	global_load_b64 v[22:23], v[22:23], off
	s_waitcnt vmcnt(16)
	v_add_f64 v[14:15], v[30:31], -v[14:15]
	v_add_f64 v[4:5], v[4:5], v[18:19]
	v_lshlrev_b64 v[18:19], 3, v[0:1]
	v_add_nc_u32_e32 v0, s2, v0
	s_delay_alu instid0(VALU_DEP_2) | instskip(NEXT) | instid1(VALU_DEP_3)
	v_add_co_u32 v30, vcc_lo, s4, v18
	v_add_co_ci_u32_e32 v31, vcc_lo, s5, v19, vcc_lo
	v_add_co_u32 v18, vcc_lo, s6, v18
	v_add_co_ci_u32_e32 v19, vcc_lo, s7, v19, vcc_lo
	global_load_b64 v[30:31], v[30:31], off
	global_load_b64 v[18:19], v[18:19], off
	s_waitcnt vmcnt(16)
	v_add_f64 v[10:11], v[34:35], -v[10:11]
	v_add_f64 v[4:5], v[4:5], -v[14:15]
	v_lshlrev_b64 v[14:15], 3, v[0:1]
	v_add_nc_u32_e32 v0, s2, v0
	s_delay_alu instid0(VALU_DEP_2) | instskip(NEXT) | instid1(VALU_DEP_3)
	v_add_co_u32 v34, vcc_lo, s4, v14
	v_add_co_ci_u32_e32 v35, vcc_lo, s5, v15, vcc_lo
	v_add_co_u32 v14, vcc_lo, s6, v14
	v_add_co_ci_u32_e32 v15, vcc_lo, s7, v15, vcc_lo
	global_load_b64 v[34:35], v[34:35], off
	global_load_b64 v[14:15], v[14:15], off
	s_waitcnt vmcnt(16)
	v_add_f64 v[8:9], v[32:33], -v[8:9]
	v_add_f64 v[4:5], v[4:5], v[10:11]
	v_lshlrev_b64 v[10:11], 3, v[0:1]
	v_add_nc_u32_e32 v0, s2, v0
	s_delay_alu instid0(VALU_DEP_2) | instskip(NEXT) | instid1(VALU_DEP_3)
	v_add_co_u32 v32, vcc_lo, s4, v10
	v_add_co_ci_u32_e32 v33, vcc_lo, s5, v11, vcc_lo
	v_add_co_u32 v10, vcc_lo, s6, v10
	v_add_co_ci_u32_e32 v11, vcc_lo, s7, v11, vcc_lo
	global_load_b64 v[32:33], v[32:33], off
	global_load_b64 v[10:11], v[10:11], off
	v_mad_u64_u32 v[44:45], null, s2, 11, v[0:1]
	v_mov_b32_e32 v45, v1
	s_waitcnt vmcnt(16)
	v_add_f64 v[12:13], v[36:37], -v[12:13]
	v_add_f64 v[4:5], v[4:5], v[8:9]
	v_lshlrev_b64 v[8:9], 3, v[0:1]
	v_add_nc_u32_e32 v0, s15, v44
	s_delay_alu instid0(VALU_DEP_2) | instskip(NEXT) | instid1(VALU_DEP_3)
	v_add_co_u32 v36, vcc_lo, s4, v8
	v_add_co_ci_u32_e32 v37, vcc_lo, s5, v9, vcc_lo
	v_add_co_u32 v8, vcc_lo, s6, v8
	v_add_co_ci_u32_e32 v9, vcc_lo, s7, v9, vcc_lo
	global_load_b64 v[36:37], v[36:37], off
	global_load_b64 v[8:9], v[8:9], off
	s_waitcnt vmcnt(16)
	v_add_f64 v[16:17], v[38:39], -v[16:17]
	v_add_f64 v[4:5], v[4:5], v[12:13]
	v_lshlrev_b64 v[12:13], 3, v[44:45]
	s_delay_alu instid0(VALU_DEP_1) | instskip(NEXT) | instid1(VALU_DEP_2)
	v_add_co_u32 v38, vcc_lo, s4, v12
	v_add_co_ci_u32_e32 v39, vcc_lo, s5, v13, vcc_lo
	v_add_co_u32 v12, vcc_lo, s6, v12
	v_add_co_ci_u32_e32 v13, vcc_lo, s7, v13, vcc_lo
	global_load_b64 v[38:39], v[38:39], off
	global_load_b64 v[12:13], v[12:13], off
	s_waitcnt vmcnt(16)
	v_add_f64 v[20:21], v[42:43], -v[20:21]
	v_add_f64 v[4:5], v[4:5], v[16:17]
	v_lshlrev_b64 v[16:17], 3, v[0:1]
	v_add_nc_u32_e32 v0, s2, v0
	s_delay_alu instid0(VALU_DEP_2) | instskip(NEXT) | instid1(VALU_DEP_3)
	v_add_co_u32 v42, vcc_lo, s4, v16
	v_add_co_ci_u32_e32 v43, vcc_lo, s5, v17, vcc_lo
	v_add_co_u32 v16, vcc_lo, s6, v16
	v_add_co_ci_u32_e32 v17, vcc_lo, s7, v17, vcc_lo
	global_load_b64 v[42:43], v[42:43], off
	global_load_b64 v[16:17], v[16:17], off
	s_waitcnt vmcnt(16)
	v_add_f64 v[6:7], v[40:41], -v[6:7]
	v_add_f64 v[4:5], v[4:5], v[20:21]
	v_lshlrev_b64 v[20:21], 3, v[0:1]
	v_add_nc_u32_e32 v0, s2, v0
	s_delay_alu instid0(VALU_DEP_2) | instskip(NEXT) | instid1(VALU_DEP_3)
	v_add_co_u32 v40, vcc_lo, s4, v20
	v_add_co_ci_u32_e32 v41, vcc_lo, s5, v21, vcc_lo
	v_add_co_u32 v20, vcc_lo, s6, v20
	v_add_co_ci_u32_e32 v21, vcc_lo, s7, v21, vcc_lo
	global_load_b64 v[40:41], v[40:41], off
	global_load_b64 v[20:21], v[20:21], off
	s_waitcnt vmcnt(16)
	v_add_f64 v[26:27], v[28:29], -v[26:27]
	v_add_f64 v[4:5], v[4:5], -v[6:7]
	v_lshlrev_b64 v[6:7], 3, v[0:1]
	v_add_nc_u32_e32 v0, s12, v0
	s_delay_alu instid0(VALU_DEP_2) | instskip(NEXT) | instid1(VALU_DEP_3)
	v_add_co_u32 v28, vcc_lo, s4, v6
	v_add_co_ci_u32_e32 v29, vcc_lo, s5, v7, vcc_lo
	v_add_co_u32 v6, vcc_lo, s6, v6
	v_add_co_ci_u32_e32 v7, vcc_lo, s7, v7, vcc_lo
	global_load_b64 v[28:29], v[28:29], off
	global_load_b64 v[6:7], v[6:7], off
	s_waitcnt vmcnt(16)
	v_add_f64 v[22:23], v[24:25], -v[22:23]
	v_lshlrev_b64 v[24:25], 3, v[0:1]
	v_add_nc_u32_e32 v0, s2, v0
	v_add_f64 v[4:5], v[4:5], -v[26:27]
	s_delay_alu instid0(VALU_DEP_3) | instskip(NEXT) | instid1(VALU_DEP_4)
	v_add_co_u32 v26, vcc_lo, s4, v24
	v_add_co_ci_u32_e32 v27, vcc_lo, s5, v25, vcc_lo
	v_add_co_u32 v24, vcc_lo, s6, v24
	v_add_co_ci_u32_e32 v25, vcc_lo, s7, v25, vcc_lo
	global_load_b64 v[26:27], v[26:27], off
	global_load_b64 v[24:25], v[24:25], off
	s_waitcnt vmcnt(16)
	v_add_f64 v[18:19], v[30:31], -v[18:19]
	v_add_f64 v[4:5], v[4:5], -v[22:23]
	v_lshlrev_b64 v[22:23], 3, v[0:1]
	v_add_nc_u32_e32 v0, s17, v0
	s_delay_alu instid0(VALU_DEP_2) | instskip(NEXT) | instid1(VALU_DEP_3)
	v_add_co_u32 v30, vcc_lo, s4, v22
	v_add_co_ci_u32_e32 v31, vcc_lo, s5, v23, vcc_lo
	v_add_co_u32 v22, vcc_lo, s6, v22
	v_add_co_ci_u32_e32 v23, vcc_lo, s7, v23, vcc_lo
	global_load_b64 v[30:31], v[30:31], off
	global_load_b64 v[22:23], v[22:23], off
	s_waitcnt vmcnt(16)
	v_add_f64 v[14:15], v[34:35], -v[14:15]
	v_add_f64 v[4:5], v[4:5], -v[18:19]
	v_lshlrev_b64 v[18:19], 3, v[0:1]
	v_add_nc_u32_e32 v0, s15, v0
	s_delay_alu instid0(VALU_DEP_2) | instskip(NEXT) | instid1(VALU_DEP_3)
	;; [unrolled: 12-line block ×4, first 2 shown]
	v_add_co_u32 v36, vcc_lo, s4, v10
	v_add_co_ci_u32_e32 v37, vcc_lo, s5, v11, vcc_lo
	v_add_co_u32 v10, vcc_lo, s6, v10
	v_add_co_ci_u32_e32 v11, vcc_lo, s7, v11, vcc_lo
	global_load_b64 v[36:37], v[36:37], off
	global_load_b64 v[10:11], v[10:11], off
	s_waitcnt vmcnt(16)
	v_add_f64 v[12:13], v[38:39], -v[12:13]
	v_add_f64 v[4:5], v[4:5], v[8:9]
	v_lshlrev_b64 v[8:9], 3, v[0:1]
	v_add_nc_u32_e32 v0, s15, v0
	s_delay_alu instid0(VALU_DEP_2) | instskip(NEXT) | instid1(VALU_DEP_3)
	v_add_co_u32 v38, vcc_lo, s4, v8
	v_add_co_ci_u32_e32 v39, vcc_lo, s5, v9, vcc_lo
	v_add_co_u32 v8, vcc_lo, s6, v8
	v_add_co_ci_u32_e32 v9, vcc_lo, s7, v9, vcc_lo
	global_load_b64 v[38:39], v[38:39], off
	global_load_b64 v[8:9], v[8:9], off
	s_waitcnt vmcnt(16)
	v_add_f64 v[16:17], v[42:43], -v[16:17]
	v_add_f64 v[4:5], v[4:5], v[12:13]
	v_lshlrev_b64 v[12:13], 3, v[0:1]
	v_add_nc_u32_e32 v0, s13, v0
	s_delay_alu instid0(VALU_DEP_2) | instskip(NEXT) | instid1(VALU_DEP_3)
	v_add_co_u32 v42, vcc_lo, s4, v12
	v_add_co_ci_u32_e32 v43, vcc_lo, s5, v13, vcc_lo
	v_add_co_u32 v12, vcc_lo, s6, v12
	v_add_co_ci_u32_e32 v13, vcc_lo, s7, v13, vcc_lo
	global_load_b64 v[42:43], v[42:43], off
	global_load_b64 v[12:13], v[12:13], off
	s_waitcnt vmcnt(16)
	v_add_f64 v[20:21], v[40:41], -v[20:21]
	v_add_f64 v[4:5], v[4:5], -v[16:17]
	v_lshlrev_b64 v[16:17], 3, v[0:1]
	v_add_nc_u32_e32 v0, s14, v0
	s_delay_alu instid0(VALU_DEP_2) | instskip(NEXT) | instid1(VALU_DEP_3)
	v_add_co_u32 v40, vcc_lo, s4, v16
	v_add_co_ci_u32_e32 v41, vcc_lo, s5, v17, vcc_lo
	v_add_co_u32 v16, vcc_lo, s6, v16
	v_add_co_ci_u32_e32 v17, vcc_lo, s7, v17, vcc_lo
	global_load_b64 v[40:41], v[40:41], off
	global_load_b64 v[16:17], v[16:17], off
	s_waitcnt vmcnt(16)
	v_add_f64 v[6:7], v[28:29], -v[6:7]
	v_add_f64 v[4:5], v[4:5], -v[20:21]
	;; [unrolled: 12-line block ×5, first 2 shown]
	v_lshlrev_b64 v[22:23], 3, v[0:1]
	v_add_nc_u32_e32 v0, s2, v0
	s_delay_alu instid0(VALU_DEP_2) | instskip(NEXT) | instid1(VALU_DEP_3)
	v_add_co_u32 v34, vcc_lo, s4, v22
	v_add_co_ci_u32_e32 v35, vcc_lo, s5, v23, vcc_lo
	v_add_co_u32 v22, vcc_lo, s6, v22
	v_add_co_ci_u32_e32 v23, vcc_lo, s7, v23, vcc_lo
	global_load_b64 v[34:35], v[34:35], off
	global_load_b64 v[22:23], v[22:23], off
	s_waitcnt vmcnt(16)
	v_add_f64 v[14:15], v[32:33], -v[14:15]
	v_add_f64 v[4:5], v[4:5], v[18:19]
	v_lshlrev_b64 v[18:19], 3, v[0:1]
	v_add_nc_u32_e32 v0, s2, v0
	s_delay_alu instid0(VALU_DEP_2) | instskip(NEXT) | instid1(VALU_DEP_3)
	v_add_co_u32 v32, vcc_lo, s4, v18
	v_add_co_ci_u32_e32 v33, vcc_lo, s5, v19, vcc_lo
	v_add_co_u32 v18, vcc_lo, s6, v18
	v_add_co_ci_u32_e32 v19, vcc_lo, s7, v19, vcc_lo
	global_load_b64 v[32:33], v[32:33], off
	global_load_b64 v[18:19], v[18:19], off
	s_waitcnt vmcnt(16)
	v_add_f64 v[10:11], v[36:37], -v[10:11]
	v_add_f64 v[4:5], v[4:5], v[14:15]
	v_lshlrev_b64 v[14:15], 3, v[0:1]
	v_add_nc_u32_e32 v0, s12, v0
	s_delay_alu instid0(VALU_DEP_2) | instskip(NEXT) | instid1(VALU_DEP_3)
	v_add_co_u32 v36, vcc_lo, s4, v14
	v_add_co_ci_u32_e32 v37, vcc_lo, s5, v15, vcc_lo
	v_add_co_u32 v14, vcc_lo, s6, v14
	v_add_co_ci_u32_e32 v15, vcc_lo, s7, v15, vcc_lo
	global_load_b64 v[36:37], v[36:37], off
	global_load_b64 v[14:15], v[14:15], off
	s_waitcnt vmcnt(16)
	v_add_f64 v[8:9], v[38:39], -v[8:9]
	v_add_f64 v[4:5], v[4:5], -v[10:11]
	v_lshlrev_b64 v[10:11], 3, v[0:1]
	v_add_nc_u32_e32 v0, s2, v0
	s_delay_alu instid0(VALU_DEP_2) | instskip(NEXT) | instid1(VALU_DEP_3)
	v_add_co_u32 v38, vcc_lo, s4, v10
	v_add_co_ci_u32_e32 v39, vcc_lo, s5, v11, vcc_lo
	v_add_co_u32 v10, vcc_lo, s6, v10
	v_add_co_ci_u32_e32 v11, vcc_lo, s7, v11, vcc_lo
	global_load_b64 v[38:39], v[38:39], off
	global_load_b64 v[10:11], v[10:11], off
	v_lshlrev_b64 v[0:1], 3, v[0:1]
	s_waitcnt vmcnt(16)
	v_add_f64 v[12:13], v[42:43], -v[12:13]
	v_add_f64 v[4:5], v[4:5], -v[8:9]
	s_delay_alu instid0(VALU_DEP_3) | instskip(NEXT) | instid1(VALU_DEP_4)
	v_add_co_u32 v8, vcc_lo, s4, v0
	v_add_co_ci_u32_e32 v9, vcc_lo, s5, v1, vcc_lo
	v_add_co_u32 v0, vcc_lo, s6, v0
	v_add_co_ci_u32_e32 v1, vcc_lo, s7, v1, vcc_lo
	global_load_b64 v[8:9], v[8:9], off
	global_load_b64 v[0:1], v[0:1], off
	s_load_b64 s[0:1], s[0:1], 0x8
	v_add_co_u32 v2, vcc_lo, s8, v2
	v_add_co_ci_u32_e32 v3, vcc_lo, s9, v3, vcc_lo
	s_waitcnt vmcnt(16)
	v_add_f64 v[16:17], v[40:41], -v[16:17]
	v_add_f64 v[4:5], v[4:5], v[12:13]
	s_waitcnt vmcnt(14)
	v_add_f64 v[12:13], v[28:29], -v[20:21]
	s_delay_alu instid0(VALU_DEP_2) | instskip(SKIP_2) | instid1(VALU_DEP_2)
	v_add_f64 v[4:5], v[4:5], -v[16:17]
	s_waitcnt vmcnt(12)
	v_add_f64 v[6:7], v[26:27], -v[6:7]
	v_add_f64 v[4:5], v[4:5], -v[12:13]
	s_waitcnt vmcnt(10)
	v_add_f64 v[12:13], v[30:31], -v[24:25]
	s_delay_alu instid0(VALU_DEP_2) | instskip(SKIP_2) | instid1(VALU_DEP_2)
	v_add_f64 v[4:5], v[4:5], -v[6:7]
	s_waitcnt vmcnt(8)
	v_add_f64 v[6:7], v[34:35], -v[22:23]
	v_add_f64 v[4:5], v[4:5], -v[12:13]
	s_waitcnt vmcnt(6)
	v_add_f64 v[12:13], v[32:33], -v[18:19]
	s_delay_alu instid0(VALU_DEP_2) | instskip(SKIP_2) | instid1(VALU_DEP_2)
	v_add_f64 v[4:5], v[4:5], -v[6:7]
	s_waitcnt vmcnt(4)
	v_add_f64 v[6:7], v[36:37], -v[14:15]
	v_add_f64 v[4:5], v[4:5], -v[12:13]
	s_waitcnt vmcnt(2)
	v_add_f64 v[10:11], v[38:39], -v[10:11]
	s_delay_alu instid0(VALU_DEP_2) | instskip(SKIP_2) | instid1(VALU_DEP_2)
	v_add_f64 v[4:5], v[4:5], v[6:7]
	s_waitcnt vmcnt(0)
	v_add_f64 v[0:1], v[8:9], -v[0:1]
	v_add_f64 v[4:5], v[4:5], -v[10:11]
	s_delay_alu instid0(VALU_DEP_1) | instskip(NEXT) | instid1(VALU_DEP_1)
	v_add_f64 v[0:1], v[4:5], -v[0:1]
	v_mul_f64 v[0:1], v[0:1], s[10:11]
	s_waitcnt lgkmcnt(0)
	s_delay_alu instid0(VALU_DEP_1)
	v_mul_f64 v[0:1], s[0:1], v[0:1]
	global_store_b64 v[2:3], v[0:1], off
	s_nop 0
	s_sendmsg sendmsg(MSG_DEALLOC_VGPRS)
	s_endpgm
	.section	.rodata,"a",@progbits
	.p2align	6, 0x0
	.amdhsa_kernel _Z13rdwdot_kernelIdEvPKT_S2_PS0_S0_S2_
		.amdhsa_group_segment_fixed_size 0
		.amdhsa_private_segment_fixed_size 0
		.amdhsa_kernarg_size 296
		.amdhsa_user_sgpr_count 15
		.amdhsa_user_sgpr_dispatch_ptr 0
		.amdhsa_user_sgpr_queue_ptr 0
		.amdhsa_user_sgpr_kernarg_segment_ptr 1
		.amdhsa_user_sgpr_dispatch_id 0
		.amdhsa_user_sgpr_private_segment_size 0
		.amdhsa_wavefront_size32 1
		.amdhsa_uses_dynamic_stack 0
		.amdhsa_enable_private_segment 0
		.amdhsa_system_sgpr_workgroup_id_x 1
		.amdhsa_system_sgpr_workgroup_id_y 0
		.amdhsa_system_sgpr_workgroup_id_z 0
		.amdhsa_system_sgpr_workgroup_info 0
		.amdhsa_system_vgpr_workitem_id 0
		.amdhsa_next_free_vgpr 60
		.amdhsa_next_free_sgpr 18
		.amdhsa_reserve_vcc 1
		.amdhsa_float_round_mode_32 0
		.amdhsa_float_round_mode_16_64 0
		.amdhsa_float_denorm_mode_32 3
		.amdhsa_float_denorm_mode_16_64 3
		.amdhsa_dx10_clamp 1
		.amdhsa_ieee_mode 1
		.amdhsa_fp16_overflow 0
		.amdhsa_workgroup_processor_mode 1
		.amdhsa_memory_ordered 1
		.amdhsa_forward_progress 0
		.amdhsa_shared_vgpr_count 0
		.amdhsa_exception_fp_ieee_invalid_op 0
		.amdhsa_exception_fp_denorm_src 0
		.amdhsa_exception_fp_ieee_div_zero 0
		.amdhsa_exception_fp_ieee_overflow 0
		.amdhsa_exception_fp_ieee_underflow 0
		.amdhsa_exception_fp_ieee_inexact 0
		.amdhsa_exception_int_div_zero 0
	.end_amdhsa_kernel
	.section	.text._Z13rdwdot_kernelIdEvPKT_S2_PS0_S0_S2_,"axG",@progbits,_Z13rdwdot_kernelIdEvPKT_S2_PS0_S0_S2_,comdat
.Lfunc_end46:
	.size	_Z13rdwdot_kernelIdEvPKT_S2_PS0_S0_S2_, .Lfunc_end46-_Z13rdwdot_kernelIdEvPKT_S2_PS0_S0_S2_
                                        ; -- End function
	.section	.AMDGPU.csdata,"",@progbits
; Kernel info:
; codeLenInByte = 6648
; NumSgprs: 20
; NumVgprs: 60
; ScratchSize: 0
; MemoryBound: 0
; FloatMode: 240
; IeeeMode: 1
; LDSByteSize: 0 bytes/workgroup (compile time only)
; SGPRBlocks: 2
; VGPRBlocks: 7
; NumSGPRsForWavesPerEU: 20
; NumVGPRsForWavesPerEU: 60
; Occupancy: 16
; WaveLimiterHint : 0
; COMPUTE_PGM_RSRC2:SCRATCH_EN: 0
; COMPUTE_PGM_RSRC2:USER_SGPR: 15
; COMPUTE_PGM_RSRC2:TRAP_HANDLER: 0
; COMPUTE_PGM_RSRC2:TGID_X_EN: 1
; COMPUTE_PGM_RSRC2:TGID_Y_EN: 0
; COMPUTE_PGM_RSRC2:TGID_Z_EN: 0
; COMPUTE_PGM_RSRC2:TIDIG_COMP_CNT: 0
	.section	.text._Z14rdwdot2_kernelIdEvPKT_S2_PS0_S0_S2_,"axG",@progbits,_Z14rdwdot2_kernelIdEvPKT_S2_PS0_S0_S2_,comdat
	.protected	_Z14rdwdot2_kernelIdEvPKT_S2_PS0_S0_S2_ ; -- Begin function _Z14rdwdot2_kernelIdEvPKT_S2_PS0_S0_S2_
	.globl	_Z14rdwdot2_kernelIdEvPKT_S2_PS0_S0_S2_
	.p2align	8
	.type	_Z14rdwdot2_kernelIdEvPKT_S2_PS0_S0_S2_,@function
_Z14rdwdot2_kernelIdEvPKT_S2_PS0_S0_S2_: ; @_Z14rdwdot2_kernelIdEvPKT_S2_PS0_S0_S2_
; %bb.0:
	s_clause 0x1
	s_load_b32 s2, s[0:1], 0x34
	s_load_b32 s3, s[0:1], 0x28
	s_waitcnt lgkmcnt(0)
	s_and_b32 s4, s2, 0xffff
	s_delay_alu instid0(SALU_CYCLE_1)
	s_mul_i32 s2, s3, s4
	s_mul_i32 s15, s15, s4
	;; [unrolled: 1-line block ×4, first 2 shown]
	v_add3_u32 v0, s3, s15, v0
	s_lshl_b32 s3, s2, 1
	v_mov_b32_e32 v1, 0
	s_delay_alu instid0(VALU_DEP_1) | instskip(SKIP_1) | instid1(VALU_DEP_1)
	v_mad_u64_u32 v[2:3], null, s2, 25, v[0:1]
	v_mov_b32_e32 v3, v1
	v_mad_u64_u32 v[4:5], null, s2, 19, v[2:3]
	v_lshlrev_b64 v[5:6], 3, v[0:1]
	s_delay_alu instid0(VALU_DEP_2) | instskip(NEXT) | instid1(VALU_DEP_1)
	v_add_nc_u32_e32 v0, s3, v4
	v_mad_u64_u32 v[7:8], null, s2, 18, v[0:1]
	v_lshlrev_b64 v[9:10], 3, v[0:1]
	v_mov_b32_e32 v8, v1
	s_delay_alu instid0(VALU_DEP_3) | instskip(NEXT) | instid1(VALU_DEP_2)
	v_add_nc_u32_e32 v0, s2, v7
	v_lshlrev_b64 v[7:8], 3, v[7:8]
	v_lshlrev_b64 v[2:3], 3, v[2:3]
	s_delay_alu instid0(VALU_DEP_3) | instskip(SKIP_1) | instid1(VALU_DEP_1)
	v_lshlrev_b64 v[11:12], 3, v[0:1]
	v_add_nc_u32_e32 v0, s2, v0
	v_lshlrev_b64 v[13:14], 3, v[0:1]
	v_add_nc_u32_e32 v0, s2, v0
	s_delay_alu instid0(VALU_DEP_1) | instskip(SKIP_1) | instid1(VALU_DEP_1)
	v_lshlrev_b64 v[15:16], 3, v[0:1]
	v_add_nc_u32_e32 v0, s2, v0
	v_lshlrev_b64 v[17:18], 3, v[0:1]
	v_add_nc_u32_e32 v0, s4, v0
	s_delay_alu instid0(VALU_DEP_1) | instskip(SKIP_4) | instid1(VALU_DEP_1)
	v_lshlrev_b64 v[19:20], 3, v[0:1]
	v_add_nc_u32_e32 v0, s4, v0
	s_clause 0x1
	s_load_b256 s[4:11], s[0:1], 0x0
	s_load_b64 s[0:1], s[0:1], 0x20
	v_lshlrev_b64 v[21:22], 3, v[0:1]
	v_add_nc_u32_e32 v0, s2, v0
	s_delay_alu instid0(VALU_DEP_1) | instskip(SKIP_1) | instid1(VALU_DEP_1)
	v_lshlrev_b64 v[23:24], 3, v[0:1]
	v_add_nc_u32_e32 v0, s2, v0
	v_lshlrev_b64 v[25:26], 3, v[0:1]
	v_add_nc_u32_e32 v0, s2, v0
	s_waitcnt lgkmcnt(0)
	v_add_co_u32 v33, vcc_lo, s4, v7
	s_delay_alu instid0(VALU_DEP_2) | instskip(SKIP_3) | instid1(VALU_DEP_3)
	v_lshlrev_b64 v[27:28], 3, v[0:1]
	v_lshl_add_u32 v0, s2, 3, v0
	v_add_co_ci_u32_e32 v34, vcc_lo, s5, v8, vcc_lo
	v_add_co_u32 v7, vcc_lo, s6, v7
	v_mad_u64_u32 v[29:30], null, 0xffffff46, s2, v[0:1]
	v_mov_b32_e32 v30, v1
	v_add_co_ci_u32_e32 v8, vcc_lo, s7, v8, vcc_lo
	v_lshlrev_b64 v[57:58], 3, v[0:1]
	s_delay_alu instid0(VALU_DEP_3) | instskip(SKIP_1) | instid1(VALU_DEP_1)
	v_mad_u64_u32 v[31:32], null, 0x7d, s2, v[29:30]
	v_mov_b32_e32 v32, v1
	v_lshlrev_b64 v[35:36], 3, v[31:32]
	s_delay_alu instid0(VALU_DEP_1) | instskip(NEXT) | instid1(VALU_DEP_2)
	v_add_co_u32 v37, vcc_lo, s4, v35
	v_add_co_ci_u32_e32 v38, vcc_lo, s5, v36, vcc_lo
	v_add_co_u32 v35, vcc_lo, s6, v35
	v_add_co_ci_u32_e32 v36, vcc_lo, s7, v36, vcc_lo
	global_load_b64 v[32:33], v[33:34], off
	global_load_b64 v[7:8], v[7:8], off
	;; [unrolled: 1-line block ×4, first 2 shown]
	v_add_co_u32 v39, vcc_lo, s4, v13
	v_add_co_ci_u32_e32 v40, vcc_lo, s5, v14, vcc_lo
	v_add_co_u32 v13, vcc_lo, s6, v13
	v_add_co_ci_u32_e32 v14, vcc_lo, s7, v14, vcc_lo
	global_load_b64 v[39:40], v[39:40], off
	global_load_b64 v[13:14], v[13:14], off
	v_add_co_u32 v41, vcc_lo, s4, v5
	v_add_co_ci_u32_e32 v42, vcc_lo, s5, v6, vcc_lo
	v_add_co_u32 v5, vcc_lo, s6, v5
	v_add_co_ci_u32_e32 v6, vcc_lo, s7, v6, vcc_lo
	;; [unrolled: 2-line block ×5, first 2 shown]
	v_add_co_u32 v17, vcc_lo, s6, v17
	global_load_b64 v[41:42], v[41:42], off
	v_add_co_ci_u32_e32 v18, vcc_lo, s7, v18, vcc_lo
	global_load_b64 v[47:48], v[5:6], off
	global_load_b64 v[43:44], v[43:44], off
	;; [unrolled: 1-line block ×5, first 2 shown]
	v_mov_b32_e32 v5, v1
	s_delay_alu instid0(VALU_DEP_1) | instskip(NEXT) | instid1(VALU_DEP_1)
	v_lshlrev_b64 v[4:5], 3, v[4:5]
	v_add_co_u32 v51, vcc_lo, s4, v4
	s_delay_alu instid0(VALU_DEP_2)
	v_add_co_ci_u32_e32 v52, vcc_lo, s5, v5, vcc_lo
	v_add_co_u32 v4, vcc_lo, s6, v4
	v_add_co_ci_u32_e32 v5, vcc_lo, s7, v5, vcc_lo
	s_waitcnt vmcnt(11)
	v_mad_u64_u32 v[49:50], null, s2, 45, v[31:32]
	v_mov_b32_e32 v50, v1
	s_waitcnt vmcnt(10)
	v_add_f64 v[6:7], v[32:33], -v[7:8]
	s_waitcnt vmcnt(8)
	v_add_f64 v[31:32], v[37:38], -v[34:35]
	s_delay_alu instid0(VALU_DEP_4) | instskip(SKIP_1) | instid1(VALU_DEP_2)
	v_lshlrev_b64 v[53:54], 3, v[49:50]
	v_add_nc_u32_e32 v0, s2, v49
	v_add_co_u32 v55, vcc_lo, s4, v53
	s_delay_alu instid0(VALU_DEP_3)
	v_add_co_ci_u32_e32 v56, vcc_lo, s5, v54, vcc_lo
	v_add_co_u32 v53, vcc_lo, s6, v53
	v_add_co_ci_u32_e32 v54, vcc_lo, s7, v54, vcc_lo
	global_load_b64 v[50:51], v[51:52], off
	global_load_b64 v[4:5], v[4:5], off
	;; [unrolled: 1-line block ×4, first 2 shown]
	v_add_co_u32 v59, vcc_lo, s4, v9
	v_lshlrev_b64 v[61:62], 3, v[0:1]
	v_add_co_ci_u32_e32 v60, vcc_lo, s5, v10, vcc_lo
	v_add_co_u32 v9, vcc_lo, s6, v9
	v_add_co_ci_u32_e32 v10, vcc_lo, s7, v10, vcc_lo
	s_delay_alu instid0(VALU_DEP_4)
	v_add_co_u32 v63, vcc_lo, s4, v61
	v_add_co_ci_u32_e32 v64, vcc_lo, s5, v62, vcc_lo
	v_add_co_u32 v61, vcc_lo, s6, v61
	v_add_co_ci_u32_e32 v62, vcc_lo, s7, v62, vcc_lo
	global_load_b64 v[59:60], v[59:60], off
	global_load_b64 v[9:10], v[9:10], off
	;; [unrolled: 1-line block ×4, first 2 shown]
	v_add_co_u32 v65, vcc_lo, s4, v19
	v_add_co_ci_u32_e32 v66, vcc_lo, s5, v20, vcc_lo
	v_add_co_u32 v19, vcc_lo, s6, v19
	v_add_co_ci_u32_e32 v20, vcc_lo, s7, v20, vcc_lo
	global_load_b64 v[65:66], v[65:66], off
	global_load_b64 v[19:20], v[19:20], off
	v_add_nc_u32_e32 v0, s3, v0
	v_add_co_u32 v67, vcc_lo, s4, v11
	v_add_co_ci_u32_e32 v68, vcc_lo, s5, v12, vcc_lo
	s_delay_alu instid0(VALU_DEP_3) | instskip(SKIP_3) | instid1(VALU_DEP_4)
	v_lshlrev_b64 v[69:70], 3, v[0:1]
	v_add_co_u32 v11, vcc_lo, s6, v11
	v_add_co_ci_u32_e32 v12, vcc_lo, s7, v12, vcc_lo
	v_add_nc_u32_e32 v0, s2, v0
	v_add_co_u32 v71, vcc_lo, s4, v69
	v_add_co_ci_u32_e32 v72, vcc_lo, s5, v70, vcc_lo
	v_add_co_u32 v69, vcc_lo, s6, v69
	v_add_co_ci_u32_e32 v70, vcc_lo, s7, v70, vcc_lo
	global_load_b64 v[67:68], v[67:68], off
	global_load_b64 v[11:12], v[11:12], off
	;; [unrolled: 1-line block ×4, first 2 shown]
	v_lshlrev_b64 v[73:74], 3, v[0:1]
	s_waitcnt vmcnt(20)
	v_add_f64 v[13:14], v[39:40], -v[13:14]
	v_add_f64 v[31:32], v[6:7], v[31:32]
	s_waitcnt vmcnt(18)
	v_add_f64 v[37:38], v[41:42], -v[47:48]
	s_waitcnt vmcnt(16)
	v_add_f64 v[2:3], v[43:44], -v[2:3]
	;; [unrolled: 2-line block ×3, first 2 shown]
	v_add_co_u32 v75, vcc_lo, s4, v73
	v_add_co_ci_u32_e32 v76, vcc_lo, s5, v74, vcc_lo
	v_add_co_u32 v73, vcc_lo, s6, v73
	v_add_co_ci_u32_e32 v74, vcc_lo, s7, v74, vcc_lo
	global_load_b64 v[75:76], v[75:76], off
	global_load_b64 v[73:74], v[73:74], off
	v_add_co_u32 v77, vcc_lo, s4, v15
	v_add_co_ci_u32_e32 v78, vcc_lo, s5, v16, vcc_lo
	v_add_co_u32 v15, vcc_lo, s6, v15
	v_add_co_ci_u32_e32 v16, vcc_lo, s7, v16, vcc_lo
	;; [unrolled: 2-line block ×4, first 2 shown]
	global_load_b64 v[77:78], v[77:78], off
	global_load_b64 v[15:16], v[15:16], off
	;; [unrolled: 1-line block ×4, first 2 shown]
	v_add_co_u32 v33, vcc_lo, s4, v23
	v_add_co_ci_u32_e32 v34, vcc_lo, s5, v24, vcc_lo
	v_add_co_u32 v23, vcc_lo, s6, v23
	v_add_co_ci_u32_e32 v24, vcc_lo, s7, v24, vcc_lo
	global_load_b64 v[33:34], v[33:34], off
	global_load_b64 v[23:24], v[23:24], off
	v_add_co_u32 v35, vcc_lo, s4, v25
	v_add_co_ci_u32_e32 v36, vcc_lo, s5, v26, vcc_lo
	v_add_co_u32 v25, vcc_lo, s6, v25
	v_add_co_ci_u32_e32 v26, vcc_lo, s7, v26, vcc_lo
	global_load_b64 v[35:36], v[35:36], off
	global_load_b64 v[25:26], v[25:26], off
	v_add_f64 v[31:32], v[13:14], v[31:32]
	v_add_co_u32 v39, vcc_lo, s4, v27
	v_add_co_ci_u32_e32 v40, vcc_lo, s5, v28, vcc_lo
	v_add_co_u32 v27, vcc_lo, s6, v27
	v_add_co_ci_u32_e32 v28, vcc_lo, s7, v28, vcc_lo
	global_load_b64 v[39:40], v[39:40], off
	global_load_b64 v[27:28], v[27:28], off
	v_mad_u64_u32 v[41:42], null, s2, 6, v[0:1]
	v_add_f64 v[2:3], v[37:38], v[2:3]
	v_mov_b32_e32 v42, v1
	s_delay_alu instid0(VALU_DEP_1) | instskip(SKIP_1) | instid1(VALU_DEP_2)
	v_lshlrev_b64 v[42:43], 3, v[41:42]
	v_add_nc_u32_e32 v0, s3, v41
	v_add_co_u32 v44, vcc_lo, s4, v42
	s_delay_alu instid0(VALU_DEP_3)
	v_add_co_ci_u32_e32 v45, vcc_lo, s5, v43, vcc_lo
	v_add_co_u32 v42, vcc_lo, s6, v42
	v_add_co_ci_u32_e32 v43, vcc_lo, s7, v43, vcc_lo
	global_load_b64 v[44:45], v[44:45], off
	global_load_b64 v[42:43], v[42:43], off
	v_add_f64 v[31:32], v[17:18], v[31:32]
	s_waitcnt vmcnt(26)
	v_add_f64 v[4:5], v[50:51], -v[4:5]
	s_waitcnt vmcnt(24)
	v_add_f64 v[37:38], v[55:56], -v[52:53]
	s_waitcnt vmcnt(22)
	v_add_f64 v[8:9], v[59:60], -v[9:10]
	s_waitcnt vmcnt(18)
	v_add_f64 v[19:20], v[65:66], -v[19:20]
	s_delay_alu instid0(VALU_DEP_4) | instskip(SKIP_4) | instid1(VALU_DEP_2)
	v_add_f64 v[2:3], v[2:3], v[4:5]
	v_add_f64 v[4:5], v[63:64], -v[61:62]
	v_add_f64 v[31:32], v[31:32], -v[37:38]
	v_lshlrev_b64 v[37:38], 3, v[0:1]
	v_add_nc_u32_e32 v0, s2, v0
	v_add_co_u32 v46, vcc_lo, s4, v37
	s_delay_alu instid0(VALU_DEP_3)
	v_add_co_ci_u32_e32 v47, vcc_lo, s5, v38, vcc_lo
	v_add_co_u32 v37, vcc_lo, s6, v37
	v_add_co_ci_u32_e32 v38, vcc_lo, s7, v38, vcc_lo
	global_load_b64 v[46:47], v[46:47], off
	global_load_b64 v[37:38], v[37:38], off
	s_waitcnt vmcnt(18)
	v_add_f64 v[10:11], v[67:68], -v[11:12]
	s_waitcnt vmcnt(16)
	v_add_f64 v[48:49], v[71:72], -v[69:70]
	v_add_f64 v[2:3], v[2:3], v[8:9]
	v_lshlrev_b64 v[8:9], 3, v[0:1]
	v_add_f64 v[4:5], v[31:32], -v[4:5]
	v_add_nc_u32_e32 v0, s3, v0
	s_delay_alu instid0(VALU_DEP_3) | instskip(NEXT) | instid1(VALU_DEP_4)
	v_add_co_u32 v31, vcc_lo, s4, v8
	v_add_co_ci_u32_e32 v32, vcc_lo, s5, v9, vcc_lo
	v_add_co_u32 v8, vcc_lo, s6, v8
	v_add_co_ci_u32_e32 v9, vcc_lo, s7, v9, vcc_lo
	global_load_b64 v[31:32], v[31:32], off
	global_load_b64 v[8:9], v[8:9], off
	v_lshlrev_b64 v[50:51], 3, v[0:1]
	v_add_f64 v[2:3], v[2:3], -v[6:7]
	v_add_co_u32 v6, vcc_lo, s4, v57
	v_add_f64 v[4:5], v[4:5], -v[19:20]
	v_add_co_ci_u32_e32 v7, vcc_lo, s5, v58, vcc_lo
	v_add_co_u32 v52, vcc_lo, s6, v57
	v_add_co_ci_u32_e32 v53, vcc_lo, s7, v58, vcc_lo
	v_add_co_u32 v54, vcc_lo, s4, v50
	;; [unrolled: 2-line block ×3, first 2 shown]
	v_add_co_ci_u32_e32 v51, vcc_lo, s7, v51, vcc_lo
	global_load_b64 v[6:7], v[6:7], off
	global_load_b64 v[52:53], v[52:53], off
	;; [unrolled: 1-line block ×4, first 2 shown]
	s_waitcnt vmcnt(20)
	v_add_f64 v[56:57], v[75:76], -v[73:74]
	s_load_b128 s[4:7], s[0:1], 0x98
	v_add_f64 v[2:3], v[2:3], -v[10:11]
	s_waitcnt vmcnt(18)
	v_add_f64 v[10:11], v[77:78], -v[15:16]
	s_waitcnt vmcnt(16)
	v_add_f64 v[15:16], v[79:80], -v[21:22]
	v_add_f64 v[4:5], v[4:5], -v[48:49]
	s_delay_alu instid0(VALU_DEP_4) | instskip(SKIP_2) | instid1(VALU_DEP_3)
	v_add_f64 v[2:3], v[2:3], -v[13:14]
	s_waitcnt vmcnt(14)
	v_add_f64 v[12:13], v[33:34], -v[23:24]
	v_add_f64 v[4:5], v[4:5], -v[56:57]
	s_delay_alu instid0(VALU_DEP_3) | instskip(SKIP_2) | instid1(VALU_DEP_3)
	v_add_f64 v[2:3], v[2:3], -v[10:11]
	s_waitcnt vmcnt(12)
	v_add_f64 v[10:11], v[35:36], -v[25:26]
	v_add_f64 v[4:5], v[4:5], -v[15:16]
	s_delay_alu instid0(VALU_DEP_3) | instskip(SKIP_2) | instid1(VALU_DEP_3)
	;; [unrolled: 5-line block ×3, first 2 shown]
	v_add_f64 v[2:3], v[2:3], v[19:20]
	s_waitcnt vmcnt(8)
	v_add_f64 v[19:20], v[44:45], -v[42:43]
	v_add_f64 v[4:5], v[4:5], -v[10:11]
	s_delay_alu instid0(VALU_DEP_3) | instskip(NEXT) | instid1(VALU_DEP_2)
	v_add_f64 v[2:3], v[2:3], v[15:16]
	v_add_f64 v[4:5], v[4:5], -v[17:18]
	s_waitcnt vmcnt(6)
	v_add_f64 v[14:15], v[46:47], -v[37:38]
	s_delay_alu instid0(VALU_DEP_3) | instskip(NEXT) | instid1(VALU_DEP_3)
	v_add_f64 v[2:3], v[2:3], v[12:13]
	v_add_f64 v[4:5], v[19:20], v[4:5]
	s_waitcnt vmcnt(4)
	v_add_f64 v[8:9], v[31:32], -v[8:9]
	s_delay_alu instid0(VALU_DEP_3) | instskip(NEXT) | instid1(VALU_DEP_3)
	v_add_f64 v[2:3], v[2:3], v[10:11]
	v_add_f64 v[4:5], v[14:15], v[4:5]
	s_waitcnt vmcnt(2)
	v_add_f64 v[6:7], v[6:7], -v[52:53]
	s_waitcnt vmcnt(0)
	v_add_f64 v[10:11], v[54:55], -v[50:51]
	s_delay_alu instid0(VALU_DEP_4) | instskip(NEXT) | instid1(VALU_DEP_4)
	v_add_f64 v[2:3], v[2:3], v[17:18]
	v_add_f64 v[4:5], v[8:9], v[4:5]
	v_lshlrev_b64 v[8:9], 3, v[29:30]
	s_delay_alu instid0(VALU_DEP_3) | instskip(SKIP_3) | instid1(VALU_DEP_3)
	v_add_f64 v[2:3], v[2:3], v[6:7]
	v_mad_u64_u32 v[6:7], null, 0xffffff48, s2, v[0:1]
	v_mov_b32_e32 v7, v1
	v_add_f64 v[4:5], v[4:5], v[10:11]
	v_add_nc_u32_e32 v0, s2, v6
	s_delay_alu instid0(VALU_DEP_3) | instskip(SKIP_2) | instid1(VALU_DEP_4)
	v_lshlrev_b64 v[10:11], 3, v[6:7]
	v_add_co_u32 v6, vcc_lo, s8, v8
	v_add_co_ci_u32_e32 v7, vcc_lo, s9, v9, vcc_lo
	v_lshlrev_b64 v[8:9], 3, v[0:1]
	s_delay_alu instid0(VALU_DEP_4) | instskip(SKIP_2) | instid1(VALU_DEP_4)
	v_add_co_u32 v10, vcc_lo, s8, v10
	v_add_co_ci_u32_e32 v11, vcc_lo, s9, v11, vcc_lo
	v_mov_b32_e32 v0, v1
	v_add_co_u32 v8, vcc_lo, s8, v8
	v_add_co_ci_u32_e32 v9, vcc_lo, s9, v9, vcc_lo
	v_mul_f64 v[2:3], v[2:3], s[10:11]
	v_mul_f64 v[4:5], v[4:5], s[10:11]
	s_waitcnt lgkmcnt(0)
	s_delay_alu instid0(VALU_DEP_2) | instskip(NEXT) | instid1(VALU_DEP_2)
	v_mul_f64 v[2:3], s[4:5], v[2:3]
	v_mul_f64 v[4:5], s[6:7], v[4:5]
	s_clause 0x2
	global_store_b64 v[6:7], v[2:3], off
	global_store_b64 v[10:11], v[4:5], off
	;; [unrolled: 1-line block ×3, first 2 shown]
	s_nop 0
	s_sendmsg sendmsg(MSG_DEALLOC_VGPRS)
	s_endpgm
	.section	.rodata,"a",@progbits
	.p2align	6, 0x0
	.amdhsa_kernel _Z14rdwdot2_kernelIdEvPKT_S2_PS0_S0_S2_
		.amdhsa_group_segment_fixed_size 0
		.amdhsa_private_segment_fixed_size 0
		.amdhsa_kernarg_size 296
		.amdhsa_user_sgpr_count 15
		.amdhsa_user_sgpr_dispatch_ptr 0
		.amdhsa_user_sgpr_queue_ptr 0
		.amdhsa_user_sgpr_kernarg_segment_ptr 1
		.amdhsa_user_sgpr_dispatch_id 0
		.amdhsa_user_sgpr_private_segment_size 0
		.amdhsa_wavefront_size32 1
		.amdhsa_uses_dynamic_stack 0
		.amdhsa_enable_private_segment 0
		.amdhsa_system_sgpr_workgroup_id_x 1
		.amdhsa_system_sgpr_workgroup_id_y 0
		.amdhsa_system_sgpr_workgroup_id_z 0
		.amdhsa_system_sgpr_workgroup_info 0
		.amdhsa_system_vgpr_workitem_id 0
		.amdhsa_next_free_vgpr 81
		.amdhsa_next_free_sgpr 16
		.amdhsa_reserve_vcc 1
		.amdhsa_float_round_mode_32 0
		.amdhsa_float_round_mode_16_64 0
		.amdhsa_float_denorm_mode_32 3
		.amdhsa_float_denorm_mode_16_64 3
		.amdhsa_dx10_clamp 1
		.amdhsa_ieee_mode 1
		.amdhsa_fp16_overflow 0
		.amdhsa_workgroup_processor_mode 1
		.amdhsa_memory_ordered 1
		.amdhsa_forward_progress 0
		.amdhsa_shared_vgpr_count 0
		.amdhsa_exception_fp_ieee_invalid_op 0
		.amdhsa_exception_fp_denorm_src 0
		.amdhsa_exception_fp_ieee_div_zero 0
		.amdhsa_exception_fp_ieee_overflow 0
		.amdhsa_exception_fp_ieee_underflow 0
		.amdhsa_exception_fp_ieee_inexact 0
		.amdhsa_exception_int_div_zero 0
	.end_amdhsa_kernel
	.section	.text._Z14rdwdot2_kernelIdEvPKT_S2_PS0_S0_S2_,"axG",@progbits,_Z14rdwdot2_kernelIdEvPKT_S2_PS0_S0_S2_,comdat
.Lfunc_end47:
	.size	_Z14rdwdot2_kernelIdEvPKT_S2_PS0_S0_S2_, .Lfunc_end47-_Z14rdwdot2_kernelIdEvPKT_S2_PS0_S0_S2_
                                        ; -- End function
	.section	.AMDGPU.csdata,"",@progbits
; Kernel info:
; codeLenInByte = 2240
; NumSgprs: 18
; NumVgprs: 81
; ScratchSize: 0
; MemoryBound: 0
; FloatMode: 240
; IeeeMode: 1
; LDSByteSize: 0 bytes/workgroup (compile time only)
; SGPRBlocks: 2
; VGPRBlocks: 10
; NumSGPRsForWavesPerEU: 18
; NumVGPRsForWavesPerEU: 81
; Occupancy: 16
; WaveLimiterHint : 0
; COMPUTE_PGM_RSRC2:SCRATCH_EN: 0
; COMPUTE_PGM_RSRC2:USER_SGPR: 15
; COMPUTE_PGM_RSRC2:TRAP_HANDLER: 0
; COMPUTE_PGM_RSRC2:TGID_X_EN: 1
; COMPUTE_PGM_RSRC2:TGID_Y_EN: 0
; COMPUTE_PGM_RSRC2:TGID_Z_EN: 0
; COMPUTE_PGM_RSRC2:TIDIG_COMP_CNT: 0
	.section	.text._Z14rdwdot3_kernelIdEvPKT_S2_PS0_S0_S2_,"axG",@progbits,_Z14rdwdot3_kernelIdEvPKT_S2_PS0_S0_S2_,comdat
	.protected	_Z14rdwdot3_kernelIdEvPKT_S2_PS0_S0_S2_ ; -- Begin function _Z14rdwdot3_kernelIdEvPKT_S2_PS0_S0_S2_
	.globl	_Z14rdwdot3_kernelIdEvPKT_S2_PS0_S0_S2_
	.p2align	8
	.type	_Z14rdwdot3_kernelIdEvPKT_S2_PS0_S0_S2_,@function
_Z14rdwdot3_kernelIdEvPKT_S2_PS0_S0_S2_: ; @_Z14rdwdot3_kernelIdEvPKT_S2_PS0_S0_S2_
; %bb.0:
	s_clause 0x3
	s_load_b256 s[4:11], s[0:1], 0x0
	s_load_b64 s[20:21], s[0:1], 0x20
	s_load_b32 s22, s[0:1], 0x28
	s_load_b32 s0, s[0:1], 0x34
	s_waitcnt lgkmcnt(0)
	s_and_b32 s0, s0, 0xffff
	s_delay_alu instid0(SALU_CYCLE_1)
	s_mul_i32 s22, s22, s0
	s_mul_i32 s15, s15, s0
	s_mul_i32 s1, s22, 0x71
	s_lshl_b32 s0, s22, 3
	v_add3_u32 v0, s1, s15, v0
	v_mov_b32_e32 v1, 0
	s_mul_i32 s28, s22, 6
	s_lshl_b32 s29, s22, 2
	s_mul_i32 s27, s22, 12
	s_lshl_b32 s23, s22, 1
	v_lshlrev_b64 v[2:3], 3, v[0:1]
	v_add_nc_u32_e32 v0, s0, v0
	s_mul_i32 s26, s22, 3
	s_mul_i32 s25, s22, 39
	;; [unrolled: 1-line block ×3, first 2 shown]
	s_delay_alu instid0(VALU_DEP_2)
	v_add_co_u32 v4, vcc_lo, s4, v2
	v_add_co_ci_u32_e32 v5, vcc_lo, s5, v3, vcc_lo
	v_add_co_u32 v2, vcc_lo, s6, v2
	v_add_co_ci_u32_e32 v3, vcc_lo, s7, v3, vcc_lo
	global_load_b64 v[4:5], v[4:5], off
	global_load_b64 v[2:3], v[2:3], off
	s_waitcnt vmcnt(0)
	v_add_f64 v[2:3], v[4:5], -v[2:3]
	v_lshlrev_b64 v[4:5], 3, v[0:1]
	s_delay_alu instid0(VALU_DEP_1) | instskip(NEXT) | instid1(VALU_DEP_2)
	v_add_co_u32 v6, vcc_lo, s4, v4
	v_add_co_ci_u32_e32 v7, vcc_lo, s5, v5, vcc_lo
	v_add_co_u32 v4, vcc_lo, s6, v4
	v_add_co_ci_u32_e32 v5, vcc_lo, s7, v5, vcc_lo
	global_load_b64 v[6:7], v[6:7], off
	global_load_b64 v[4:5], v[4:5], off
	s_waitcnt vmcnt(0)
	v_add_f64 v[4:5], v[6:7], -v[4:5]
	s_delay_alu instid0(VALU_DEP_1) | instskip(SKIP_1) | instid1(VALU_DEP_1)
	v_add_f64 v[8:9], v[2:3], -v[4:5]
	v_mad_u64_u32 v[2:3], null, 0xffffffa5, s22, v[0:1]
	v_dual_mov_b32 v3, v1 :: v_dual_add_nc_u32 v0, s28, v2
	s_delay_alu instid0(VALU_DEP_1) | instskip(NEXT) | instid1(VALU_DEP_1)
	v_lshlrev_b64 v[3:4], 3, v[2:3]
	v_add_co_u32 v5, vcc_lo, s4, v3
	s_delay_alu instid0(VALU_DEP_2)
	v_add_co_ci_u32_e32 v6, vcc_lo, s5, v4, vcc_lo
	v_add_co_u32 v3, vcc_lo, s6, v3
	v_add_co_ci_u32_e32 v4, vcc_lo, s7, v4, vcc_lo
	global_load_b64 v[5:6], v[5:6], off
	global_load_b64 v[3:4], v[3:4], off
	s_waitcnt vmcnt(0)
	v_add_f64 v[3:4], v[5:6], -v[3:4]
	v_lshlrev_b64 v[5:6], 3, v[0:1]
	v_add_nc_u32_e32 v0, s29, v0
	s_delay_alu instid0(VALU_DEP_2) | instskip(NEXT) | instid1(VALU_DEP_3)
	v_add_co_u32 v10, vcc_lo, s4, v5
	v_add_co_ci_u32_e32 v11, vcc_lo, s5, v6, vcc_lo
	v_add_co_u32 v5, vcc_lo, s6, v5
	v_add_co_ci_u32_e32 v6, vcc_lo, s7, v6, vcc_lo
	global_load_b64 v[10:11], v[10:11], off
	global_load_b64 v[5:6], v[5:6], off
	s_waitcnt vmcnt(0)
	v_add_f64 v[5:6], v[10:11], -v[5:6]
	s_delay_alu instid0(VALU_DEP_1) | instskip(SKIP_2) | instid1(VALU_DEP_2)
	v_add_f64 v[2:3], v[3:4], v[5:6]
	v_lshlrev_b64 v[4:5], 3, v[0:1]
	v_add_nc_u32_e32 v0, s27, v0
	v_add_co_u32 v6, vcc_lo, s4, v4
	s_delay_alu instid0(VALU_DEP_3)
	v_add_co_ci_u32_e32 v7, vcc_lo, s5, v5, vcc_lo
	v_add_co_u32 v4, vcc_lo, s6, v4
	v_add_co_ci_u32_e32 v5, vcc_lo, s7, v5, vcc_lo
	global_load_b64 v[6:7], v[6:7], off
	global_load_b64 v[4:5], v[4:5], off
	s_waitcnt vmcnt(0)
	v_add_f64 v[4:5], v[6:7], -v[4:5]
	s_delay_alu instid0(VALU_DEP_1) | instskip(SKIP_2) | instid1(VALU_DEP_2)
	v_add_f64 v[2:3], v[2:3], v[4:5]
	v_lshlrev_b64 v[4:5], 3, v[0:1]
	v_add_nc_u32_e32 v0, s23, v0
	v_add_co_u32 v6, vcc_lo, s4, v4
	s_delay_alu instid0(VALU_DEP_3)
	v_add_co_ci_u32_e32 v7, vcc_lo, s5, v5, vcc_lo
	v_add_co_u32 v4, vcc_lo, s6, v4
	v_add_co_ci_u32_e32 v5, vcc_lo, s7, v5, vcc_lo
	global_load_b64 v[6:7], v[6:7], off
	global_load_b64 v[4:5], v[4:5], off
	s_waitcnt vmcnt(0)
	v_add_f64 v[4:5], v[6:7], -v[4:5]
	s_delay_alu instid0(VALU_DEP_1) | instskip(SKIP_3) | instid1(VALU_DEP_2)
	v_add_f64 v[2:3], v[2:3], v[4:5]
	v_lshlrev_b64 v[4:5], 3, v[0:1]
	v_add_nc_u32_e32 v0, s0, v0
	s_mul_i32 s0, s22, 7
	v_add_co_u32 v6, vcc_lo, s4, v4
	s_delay_alu instid0(VALU_DEP_3)
	v_add_co_ci_u32_e32 v7, vcc_lo, s5, v5, vcc_lo
	v_add_co_u32 v4, vcc_lo, s6, v4
	v_add_co_ci_u32_e32 v5, vcc_lo, s7, v5, vcc_lo
	global_load_b64 v[6:7], v[6:7], off
	global_load_b64 v[4:5], v[4:5], off
	s_waitcnt vmcnt(0)
	v_add_f64 v[4:5], v[6:7], -v[4:5]
	s_delay_alu instid0(VALU_DEP_1) | instskip(SKIP_2) | instid1(VALU_DEP_2)
	v_add_f64 v[2:3], v[2:3], v[4:5]
	v_lshlrev_b64 v[4:5], 3, v[0:1]
	v_add_nc_u32_e32 v0, s0, v0
	v_add_co_u32 v6, vcc_lo, s4, v4
	s_delay_alu instid0(VALU_DEP_3)
	v_add_co_ci_u32_e32 v7, vcc_lo, s5, v5, vcc_lo
	v_add_co_u32 v4, vcc_lo, s6, v4
	v_add_co_ci_u32_e32 v5, vcc_lo, s7, v5, vcc_lo
	global_load_b64 v[6:7], v[6:7], off
	global_load_b64 v[4:5], v[4:5], off
	s_waitcnt vmcnt(0)
	v_add_f64 v[4:5], v[6:7], -v[4:5]
	s_delay_alu instid0(VALU_DEP_1) | instskip(SKIP_2) | instid1(VALU_DEP_2)
	v_add_f64 v[2:3], v[2:3], v[4:5]
	v_lshlrev_b64 v[4:5], 3, v[0:1]
	v_add_nc_u32_e32 v0, s22, v0
	;; [unrolled: 13-line block ×3, first 2 shown]
	v_add_co_u32 v6, vcc_lo, s4, v4
	s_delay_alu instid0(VALU_DEP_3)
	v_add_co_ci_u32_e32 v7, vcc_lo, s5, v5, vcc_lo
	v_add_co_u32 v4, vcc_lo, s6, v4
	v_add_co_ci_u32_e32 v5, vcc_lo, s7, v5, vcc_lo
	global_load_b64 v[6:7], v[6:7], off
	global_load_b64 v[4:5], v[4:5], off
	s_waitcnt vmcnt(0)
	v_add_f64 v[4:5], v[6:7], -v[4:5]
	s_delay_alu instid0(VALU_DEP_1) | instskip(SKIP_2) | instid1(VALU_DEP_2)
	v_add_f64 v[2:3], v[2:3], -v[4:5]
	v_lshlrev_b64 v[4:5], 3, v[0:1]
	v_add_nc_u32_e32 v0, s22, v0
	v_add_co_u32 v6, vcc_lo, s4, v4
	s_delay_alu instid0(VALU_DEP_3)
	v_add_co_ci_u32_e32 v7, vcc_lo, s5, v5, vcc_lo
	v_add_co_u32 v4, vcc_lo, s6, v4
	v_add_co_ci_u32_e32 v5, vcc_lo, s7, v5, vcc_lo
	global_load_b64 v[6:7], v[6:7], off
	global_load_b64 v[4:5], v[4:5], off
	s_waitcnt vmcnt(0)
	v_add_f64 v[4:5], v[6:7], -v[4:5]
	s_delay_alu instid0(VALU_DEP_1) | instskip(SKIP_2) | instid1(VALU_DEP_2)
	v_add_f64 v[2:3], v[2:3], -v[4:5]
	v_lshlrev_b64 v[4:5], 3, v[0:1]
	v_add_nc_u32_e32 v0, s22, v0
	;; [unrolled: 13-line block ×6, first 2 shown]
	v_add_co_u32 v6, vcc_lo, s4, v2
	s_delay_alu instid0(VALU_DEP_3)
	v_add_co_ci_u32_e32 v7, vcc_lo, s5, v3, vcc_lo
	v_add_co_u32 v2, vcc_lo, s6, v2
	v_add_co_ci_u32_e32 v3, vcc_lo, s7, v3, vcc_lo
	global_load_b64 v[6:7], v[6:7], off
	global_load_b64 v[2:3], v[2:3], off
	s_waitcnt vmcnt(0)
	v_add_f64 v[2:3], v[6:7], -v[2:3]
	v_lshlrev_b64 v[6:7], 3, v[0:1]
	v_add_nc_u32_e32 v0, s29, v0
	s_delay_alu instid0(VALU_DEP_2) | instskip(NEXT) | instid1(VALU_DEP_3)
	v_add_co_u32 v10, vcc_lo, s4, v6
	v_add_co_ci_u32_e32 v11, vcc_lo, s5, v7, vcc_lo
	v_add_co_u32 v6, vcc_lo, s6, v6
	v_add_co_ci_u32_e32 v7, vcc_lo, s7, v7, vcc_lo
	global_load_b64 v[10:11], v[10:11], off
	global_load_b64 v[6:7], v[6:7], off
	v_add_f64 v[4:5], v[4:5], -v[2:3]
	s_waitcnt vmcnt(0)
	v_add_f64 v[6:7], v[10:11], -v[6:7]
	s_delay_alu instid0(VALU_DEP_1) | instskip(SKIP_2) | instid1(VALU_DEP_2)
	v_add_f64 v[4:5], v[4:5], v[6:7]
	v_lshlrev_b64 v[6:7], 3, v[0:1]
	v_add_nc_u32_e32 v0, s0, v0
	v_add_co_u32 v10, vcc_lo, s4, v6
	s_delay_alu instid0(VALU_DEP_3)
	v_add_co_ci_u32_e32 v11, vcc_lo, s5, v7, vcc_lo
	v_add_co_u32 v6, vcc_lo, s6, v6
	v_add_co_ci_u32_e32 v7, vcc_lo, s7, v7, vcc_lo
	global_load_b64 v[10:11], v[10:11], off
	global_load_b64 v[6:7], v[6:7], off
	s_waitcnt vmcnt(0)
	v_add_f64 v[6:7], v[10:11], -v[6:7]
	s_delay_alu instid0(VALU_DEP_1) | instskip(SKIP_2) | instid1(VALU_DEP_2)
	v_add_f64 v[4:5], v[4:5], v[6:7]
	v_lshlrev_b64 v[6:7], 3, v[0:1]
	v_add_nc_u32_e32 v0, s28, v0
	v_add_co_u32 v10, vcc_lo, s4, v6
	s_delay_alu instid0(VALU_DEP_3)
	v_add_co_ci_u32_e32 v11, vcc_lo, s5, v7, vcc_lo
	v_add_co_u32 v6, vcc_lo, s6, v6
	v_add_co_ci_u32_e32 v7, vcc_lo, s7, v7, vcc_lo
	global_load_b64 v[10:11], v[10:11], off
	global_load_b64 v[6:7], v[6:7], off
	s_waitcnt vmcnt(0)
	v_add_f64 v[6:7], v[10:11], -v[6:7]
	s_delay_alu instid0(VALU_DEP_1) | instskip(SKIP_2) | instid1(VALU_DEP_2)
	v_add_f64 v[4:5], v[4:5], -v[6:7]
	v_lshlrev_b64 v[6:7], 3, v[0:1]
	v_add_nc_u32_e32 v0, s26, v0
	v_add_co_u32 v10, vcc_lo, s4, v6
	s_delay_alu instid0(VALU_DEP_3)
	v_add_co_ci_u32_e32 v11, vcc_lo, s5, v7, vcc_lo
	v_add_co_u32 v6, vcc_lo, s6, v6
	v_add_co_ci_u32_e32 v7, vcc_lo, s7, v7, vcc_lo
	global_load_b64 v[10:11], v[10:11], off
	global_load_b64 v[6:7], v[6:7], off
	s_waitcnt vmcnt(0)
	v_add_f64 v[6:7], v[10:11], -v[6:7]
	s_delay_alu instid0(VALU_DEP_1) | instskip(SKIP_2) | instid1(VALU_DEP_2)
	v_add_f64 v[4:5], v[4:5], v[6:7]
	v_lshlrev_b64 v[6:7], 3, v[0:1]
	v_add_nc_u32_e32 v0, s22, v0
	v_add_co_u32 v10, vcc_lo, s4, v6
	s_delay_alu instid0(VALU_DEP_3)
	v_add_co_ci_u32_e32 v11, vcc_lo, s5, v7, vcc_lo
	v_add_co_u32 v6, vcc_lo, s6, v6
	v_add_co_ci_u32_e32 v7, vcc_lo, s7, v7, vcc_lo
	global_load_b64 v[10:11], v[10:11], off
	global_load_b64 v[6:7], v[6:7], off
	s_waitcnt vmcnt(0)
	v_add_f64 v[6:7], v[10:11], -v[6:7]
	s_delay_alu instid0(VALU_DEP_1) | instskip(SKIP_2) | instid1(VALU_DEP_2)
	v_add_f64 v[4:5], v[4:5], v[6:7]
	;; [unrolled: 13-line block ×3, first 2 shown]
	v_lshlrev_b64 v[6:7], 3, v[0:1]
	v_add_nc_u32_e32 v0, s25, v0
	v_add_co_u32 v10, vcc_lo, s4, v6
	s_delay_alu instid0(VALU_DEP_3)
	v_add_co_ci_u32_e32 v11, vcc_lo, s5, v7, vcc_lo
	v_add_co_u32 v6, vcc_lo, s6, v6
	v_add_co_ci_u32_e32 v7, vcc_lo, s7, v7, vcc_lo
	global_load_b64 v[10:11], v[10:11], off
	global_load_b64 v[6:7], v[6:7], off
	s_waitcnt vmcnt(0)
	v_add_f64 v[6:7], v[10:11], -v[6:7]
	s_delay_alu instid0(VALU_DEP_1) | instskip(SKIP_1) | instid1(VALU_DEP_1)
	v_add_f64 v[4:5], v[4:5], v[6:7]
	v_lshlrev_b64 v[6:7], 3, v[0:1]
	v_add_co_u32 v10, vcc_lo, s4, v6
	s_delay_alu instid0(VALU_DEP_2)
	v_add_co_ci_u32_e32 v11, vcc_lo, s5, v7, vcc_lo
	v_add_co_u32 v6, vcc_lo, s6, v6
	v_add_co_ci_u32_e32 v7, vcc_lo, s7, v7, vcc_lo
	global_load_b64 v[10:11], v[10:11], off
	global_load_b64 v[6:7], v[6:7], off
	s_waitcnt vmcnt(0)
	v_add_f64 v[6:7], v[10:11], -v[6:7]
	s_delay_alu instid0(VALU_DEP_1) | instskip(SKIP_2) | instid1(VALU_DEP_1)
	v_add_f64 v[4:5], v[4:5], v[6:7]
	v_mad_u64_u32 v[6:7], null, s22, 14, v[0:1]
	v_mov_b32_e32 v7, v1
	v_lshlrev_b64 v[10:11], 3, v[6:7]
	v_add_nc_u32_e32 v0, s28, v6
	s_delay_alu instid0(VALU_DEP_2) | instskip(NEXT) | instid1(VALU_DEP_3)
	v_add_co_u32 v12, vcc_lo, s4, v10
	v_add_co_ci_u32_e32 v13, vcc_lo, s5, v11, vcc_lo
	v_add_co_u32 v10, vcc_lo, s6, v10
	v_add_co_ci_u32_e32 v11, vcc_lo, s7, v11, vcc_lo
	global_load_b64 v[12:13], v[12:13], off
	v_lshlrev_b64 v[6:7], 3, v[0:1]
	v_add_nc_u32_e32 v0, s27, v0
	global_load_b64 v[10:11], v[10:11], off
	s_waitcnt vmcnt(0)
	v_add_f64 v[10:11], v[12:13], -v[10:11]
	s_delay_alu instid0(VALU_DEP_1)
	v_add_f64 v[4:5], v[4:5], v[10:11]
	v_add_co_u32 v10, vcc_lo, s4, v6
	v_add_co_ci_u32_e32 v11, vcc_lo, s5, v7, vcc_lo
	v_add_co_u32 v6, vcc_lo, s6, v6
	v_add_co_ci_u32_e32 v7, vcc_lo, s7, v7, vcc_lo
	global_load_b64 v[10:11], v[10:11], off
	global_load_b64 v[6:7], v[6:7], off
	s_waitcnt vmcnt(0)
	v_add_f64 v[12:13], v[10:11], -v[6:7]
	v_lshlrev_b64 v[6:7], 3, v[0:1]
	v_add_nc_u32_e32 v0, s24, v0
	s_delay_alu instid0(VALU_DEP_2) | instskip(NEXT) | instid1(VALU_DEP_3)
	v_add_co_u32 v10, vcc_lo, s4, v6
	v_add_co_ci_u32_e32 v11, vcc_lo, s5, v7, vcc_lo
	v_add_co_u32 v6, vcc_lo, s6, v6
	v_add_co_ci_u32_e32 v7, vcc_lo, s7, v7, vcc_lo
	global_load_b64 v[10:11], v[10:11], off
	global_load_b64 v[6:7], v[6:7], off
	v_add_f64 v[4:5], v[4:5], v[12:13]
	s_waitcnt vmcnt(0)
	v_add_f64 v[6:7], v[10:11], -v[6:7]
	s_delay_alu instid0(VALU_DEP_1) | instskip(SKIP_1) | instid1(VALU_DEP_1)
	v_add_f64 v[4:5], v[4:5], v[6:7]
	v_lshlrev_b64 v[6:7], 3, v[0:1]
	v_add_co_u32 v10, vcc_lo, s4, v6
	s_delay_alu instid0(VALU_DEP_2)
	v_add_co_ci_u32_e32 v11, vcc_lo, s5, v7, vcc_lo
	v_add_co_u32 v6, vcc_lo, s6, v6
	v_add_co_ci_u32_e32 v7, vcc_lo, s7, v7, vcc_lo
	global_load_b64 v[10:11], v[10:11], off
	global_load_b64 v[6:7], v[6:7], off
	s_waitcnt vmcnt(0)
	v_add_f64 v[6:7], v[10:11], -v[6:7]
	s_delay_alu instid0(VALU_DEP_1) | instskip(SKIP_2) | instid1(VALU_DEP_1)
	v_add_f64 v[4:5], v[4:5], v[6:7]
	v_mad_u64_u32 v[6:7], null, s22, 11, v[0:1]
	v_mov_b32_e32 v7, v1
	v_lshlrev_b64 v[10:11], 3, v[6:7]
	s_delay_alu instid0(VALU_DEP_1) | instskip(NEXT) | instid1(VALU_DEP_2)
	v_add_co_u32 v14, vcc_lo, s4, v10
	v_add_co_ci_u32_e32 v15, vcc_lo, s5, v11, vcc_lo
	v_add_co_u32 v10, vcc_lo, s6, v10
	v_add_co_ci_u32_e32 v11, vcc_lo, s7, v11, vcc_lo
	global_load_b64 v[14:15], v[14:15], off
	global_load_b64 v[10:11], v[10:11], off
	s_waitcnt vmcnt(0)
	v_add_f64 v[10:11], v[14:15], -v[10:11]
	s_delay_alu instid0(VALU_DEP_1) | instskip(SKIP_2) | instid1(VALU_DEP_1)
	v_add_f64 v[4:5], v[4:5], v[10:11]
	v_mad_u64_u32 v[10:11], null, s22, 13, v[6:7]
	v_mov_b32_e32 v11, v1
	v_lshlrev_b64 v[6:7], 3, v[10:11]
	v_add_nc_u32_e32 v0, s26, v10
	s_delay_alu instid0(VALU_DEP_2) | instskip(NEXT) | instid1(VALU_DEP_3)
	v_add_co_u32 v14, vcc_lo, s4, v6
	v_add_co_ci_u32_e32 v15, vcc_lo, s5, v7, vcc_lo
	v_add_co_u32 v6, vcc_lo, s6, v6
	v_add_co_ci_u32_e32 v7, vcc_lo, s7, v7, vcc_lo
	global_load_b64 v[14:15], v[14:15], off
	global_load_b64 v[6:7], v[6:7], off
	s_waitcnt vmcnt(0)
	v_add_f64 v[6:7], v[14:15], -v[6:7]
	s_delay_alu instid0(VALU_DEP_1) | instskip(SKIP_1) | instid1(VALU_DEP_1)
	v_add_f64 v[4:5], v[4:5], v[6:7]
	v_lshlrev_b64 v[6:7], 3, v[0:1]
	v_add_co_u32 v10, vcc_lo, s4, v6
	s_delay_alu instid0(VALU_DEP_2)
	v_add_co_ci_u32_e32 v11, vcc_lo, s5, v7, vcc_lo
	v_add_co_u32 v6, vcc_lo, s6, v6
	v_add_co_ci_u32_e32 v7, vcc_lo, s7, v7, vcc_lo
	global_load_b64 v[10:11], v[10:11], off
	global_load_b64 v[6:7], v[6:7], off
	s_clause 0x2
	s_load_b256 s[12:19], s[20:21], 0x60
	s_load_b128 s[0:3], s[20:21], 0x80
	s_load_b64 s[20:21], s[20:21], 0x90
	s_waitcnt vmcnt(0)
	v_add_f64 v[6:7], v[10:11], -v[6:7]
	s_delay_alu instid0(VALU_DEP_1) | instskip(SKIP_2) | instid1(VALU_DEP_1)
	v_add_f64 v[4:5], v[4:5], v[6:7]
	v_mad_u64_u32 v[6:7], null, 0xffffff41, s22, v[0:1]
	v_mov_b32_e32 v7, v1
	v_lshlrev_b64 v[10:11], 3, v[6:7]
	s_delay_alu instid0(VALU_DEP_1) | instskip(NEXT) | instid1(VALU_DEP_2)
	v_add_co_u32 v10, vcc_lo, s8, v10
	v_add_co_ci_u32_e32 v11, vcc_lo, s9, v11, vcc_lo
	v_mul_f64 v[4:5], v[4:5], s[10:11]
	s_waitcnt lgkmcnt(0)
	s_delay_alu instid0(VALU_DEP_1)
	v_mul_f64 v[4:5], s[12:13], v[4:5]
	s_mul_i32 s13, s22, 0x4d
	s_mul_i32 s12, s22, 10
	global_store_b64 v[10:11], v[4:5], off
	v_mad_u64_u32 v[4:5], null, s22, 44, v[6:7]
	v_mov_b32_e32 v5, v1
	s_delay_alu instid0(VALU_DEP_1) | instskip(SKIP_1) | instid1(VALU_DEP_2)
	v_lshlrev_b64 v[5:6], 3, v[4:5]
	v_add_nc_u32_e32 v0, s22, v4
	v_add_co_u32 v10, vcc_lo, s4, v5
	s_delay_alu instid0(VALU_DEP_3)
	v_add_co_ci_u32_e32 v11, vcc_lo, s5, v6, vcc_lo
	v_add_co_u32 v5, vcc_lo, s6, v5
	v_add_co_ci_u32_e32 v6, vcc_lo, s7, v6, vcc_lo
	global_load_b64 v[10:11], v[10:11], off
	global_load_b64 v[5:6], v[5:6], off
	s_waitcnt vmcnt(0)
	v_add_f64 v[5:6], v[10:11], -v[5:6]
	v_lshlrev_b64 v[10:11], 3, v[0:1]
	s_delay_alu instid0(VALU_DEP_1) | instskip(NEXT) | instid1(VALU_DEP_2)
	v_add_co_u32 v14, vcc_lo, s4, v10
	v_add_co_ci_u32_e32 v15, vcc_lo, s5, v11, vcc_lo
	v_add_co_u32 v10, vcc_lo, s6, v10
	v_add_co_ci_u32_e32 v11, vcc_lo, s7, v11, vcc_lo
	global_load_b64 v[14:15], v[14:15], off
	global_load_b64 v[10:11], v[10:11], off
	s_waitcnt vmcnt(0)
	v_add_f64 v[10:11], v[14:15], -v[10:11]
	s_delay_alu instid0(VALU_DEP_1) | instskip(SKIP_2) | instid1(VALU_DEP_1)
	v_add_f64 v[6:7], v[5:6], v[10:11]
	v_mad_u64_u32 v[10:11], null, s22, 53, v[0:1]
	v_mov_b32_e32 v11, v1
	v_lshlrev_b64 v[4:5], 3, v[10:11]
	v_add_nc_u32_e32 v0, s23, v10
	s_delay_alu instid0(VALU_DEP_2) | instskip(NEXT) | instid1(VALU_DEP_3)
	v_add_co_u32 v14, vcc_lo, s4, v4
	v_add_co_ci_u32_e32 v15, vcc_lo, s5, v5, vcc_lo
	v_add_co_u32 v4, vcc_lo, s6, v4
	v_add_co_ci_u32_e32 v5, vcc_lo, s7, v5, vcc_lo
	global_load_b64 v[14:15], v[14:15], off
	global_load_b64 v[4:5], v[4:5], off
	s_waitcnt vmcnt(0)
	v_add_f64 v[4:5], v[14:15], -v[4:5]
	s_delay_alu instid0(VALU_DEP_1) | instskip(SKIP_2) | instid1(VALU_DEP_2)
	v_add_f64 v[14:15], v[6:7], v[4:5]
	v_lshlrev_b64 v[6:7], 3, v[0:1]
	v_add_nc_u32_e32 v0, s23, v0
	v_add_co_u32 v10, vcc_lo, s4, v6
	s_delay_alu instid0(VALU_DEP_3)
	v_add_co_ci_u32_e32 v11, vcc_lo, s5, v7, vcc_lo
	v_add_co_u32 v6, vcc_lo, s6, v6
	v_add_co_ci_u32_e32 v7, vcc_lo, s7, v7, vcc_lo
	global_load_b64 v[10:11], v[10:11], off
	global_load_b64 v[6:7], v[6:7], off
	s_waitcnt vmcnt(0)
	v_add_f64 v[6:7], v[10:11], -v[6:7]
	s_delay_alu instid0(VALU_DEP_1) | instskip(NEXT) | instid1(VALU_DEP_1)
	v_add_f64 v[10:11], v[14:15], v[6:7]
	v_add_f64 v[8:9], v[10:11], -v[8:9]
	v_lshlrev_b64 v[10:11], 3, v[0:1]
	v_add_nc_u32_e32 v0, s22, v0
	s_delay_alu instid0(VALU_DEP_2) | instskip(NEXT) | instid1(VALU_DEP_3)
	v_add_co_u32 v14, vcc_lo, s4, v10
	v_add_co_ci_u32_e32 v15, vcc_lo, s5, v11, vcc_lo
	v_add_co_u32 v10, vcc_lo, s6, v10
	v_add_co_ci_u32_e32 v11, vcc_lo, s7, v11, vcc_lo
	global_load_b64 v[14:15], v[14:15], off
	global_load_b64 v[10:11], v[10:11], off
	s_waitcnt vmcnt(0)
	v_add_f64 v[10:11], v[14:15], -v[10:11]
	s_delay_alu instid0(VALU_DEP_1) | instskip(SKIP_2) | instid1(VALU_DEP_2)
	v_add_f64 v[8:9], v[8:9], v[10:11]
	v_lshlrev_b64 v[10:11], 3, v[0:1]
	v_add_nc_u32_e32 v0, s22, v0
	v_add_co_u32 v14, vcc_lo, s4, v10
	s_delay_alu instid0(VALU_DEP_3)
	v_add_co_ci_u32_e32 v15, vcc_lo, s5, v11, vcc_lo
	v_add_co_u32 v10, vcc_lo, s6, v10
	v_add_co_ci_u32_e32 v11, vcc_lo, s7, v11, vcc_lo
	global_load_b64 v[14:15], v[14:15], off
	global_load_b64 v[10:11], v[10:11], off
	s_waitcnt vmcnt(0)
	v_add_f64 v[10:11], v[14:15], -v[10:11]
	v_lshlrev_b64 v[14:15], 3, v[0:1]
	v_add_nc_u32_e32 v0, s22, v0
	s_delay_alu instid0(VALU_DEP_2) | instskip(NEXT) | instid1(VALU_DEP_3)
	v_add_co_u32 v16, vcc_lo, s4, v14
	v_add_co_ci_u32_e32 v17, vcc_lo, s5, v15, vcc_lo
	v_add_co_u32 v14, vcc_lo, s6, v14
	v_add_co_ci_u32_e32 v15, vcc_lo, s7, v15, vcc_lo
	global_load_b64 v[16:17], v[16:17], off
	global_load_b64 v[14:15], v[14:15], off
	v_add_f64 v[8:9], v[8:9], -v[10:11]
	s_waitcnt vmcnt(0)
	v_add_f64 v[14:15], v[16:17], -v[14:15]
	s_delay_alu instid0(VALU_DEP_1) | instskip(SKIP_2) | instid1(VALU_DEP_2)
	v_add_f64 v[14:15], v[8:9], -v[14:15]
	v_lshlrev_b64 v[8:9], 3, v[0:1]
	v_add_nc_u32_e32 v0, s22, v0
	v_add_co_u32 v16, vcc_lo, s4, v8
	s_delay_alu instid0(VALU_DEP_3)
	v_add_co_ci_u32_e32 v17, vcc_lo, s5, v9, vcc_lo
	v_add_co_u32 v8, vcc_lo, s6, v8
	v_add_co_ci_u32_e32 v9, vcc_lo, s7, v9, vcc_lo
	global_load_b64 v[16:17], v[16:17], off
	global_load_b64 v[8:9], v[8:9], off
	s_waitcnt vmcnt(0)
	v_add_f64 v[8:9], v[16:17], -v[8:9]
	v_lshlrev_b64 v[16:17], 3, v[0:1]
	v_add_nc_u32_e32 v0, s22, v0
	s_delay_alu instid0(VALU_DEP_2) | instskip(NEXT) | instid1(VALU_DEP_3)
	v_add_co_u32 v18, vcc_lo, s4, v16
	v_add_co_ci_u32_e32 v19, vcc_lo, s5, v17, vcc_lo
	v_add_co_u32 v16, vcc_lo, s6, v16
	v_add_co_ci_u32_e32 v17, vcc_lo, s7, v17, vcc_lo
	global_load_b64 v[18:19], v[18:19], off
	global_load_b64 v[16:17], v[16:17], off
	v_add_f64 v[14:15], v[14:15], -v[8:9]
	s_waitcnt vmcnt(0)
	v_add_f64 v[16:17], v[18:19], -v[16:17]
	s_delay_alu instid0(VALU_DEP_1) | instskip(SKIP_2) | instid1(VALU_DEP_2)
	v_add_f64 v[14:15], v[14:15], -v[16:17]
	v_lshlrev_b64 v[16:17], 3, v[0:1]
	v_add_nc_u32_e32 v0, s22, v0
	v_add_co_u32 v18, vcc_lo, s4, v16
	s_delay_alu instid0(VALU_DEP_3)
	v_add_co_ci_u32_e32 v19, vcc_lo, s5, v17, vcc_lo
	v_add_co_u32 v16, vcc_lo, s6, v16
	v_add_co_ci_u32_e32 v17, vcc_lo, s7, v17, vcc_lo
	global_load_b64 v[18:19], v[18:19], off
	global_load_b64 v[16:17], v[16:17], off
	s_waitcnt vmcnt(0)
	v_add_f64 v[16:17], v[18:19], -v[16:17]
	s_delay_alu instid0(VALU_DEP_1) | instskip(SKIP_2) | instid1(VALU_DEP_2)
	v_add_f64 v[14:15], v[14:15], -v[16:17]
	v_lshlrev_b64 v[16:17], 3, v[0:1]
	v_add_nc_u32_e32 v0, s27, v0
	v_add_co_u32 v18, vcc_lo, s4, v16
	s_delay_alu instid0(VALU_DEP_3)
	v_add_co_ci_u32_e32 v19, vcc_lo, s5, v17, vcc_lo
	v_add_co_u32 v16, vcc_lo, s6, v16
	v_add_co_ci_u32_e32 v17, vcc_lo, s7, v17, vcc_lo
	global_load_b64 v[18:19], v[18:19], off
	global_load_b64 v[16:17], v[16:17], off
	s_waitcnt vmcnt(0)
	v_add_f64 v[16:17], v[18:19], -v[16:17]
	s_delay_alu instid0(VALU_DEP_1) | instskip(SKIP_2) | instid1(VALU_DEP_2)
	v_add_f64 v[14:15], v[14:15], -v[16:17]
	v_lshlrev_b64 v[16:17], 3, v[0:1]
	v_add_nc_u32_e32 v0, s29, v0
	v_add_co_u32 v18, vcc_lo, s4, v16
	s_delay_alu instid0(VALU_DEP_3)
	v_add_co_ci_u32_e32 v19, vcc_lo, s5, v17, vcc_lo
	v_add_co_u32 v16, vcc_lo, s6, v16
	v_add_co_ci_u32_e32 v17, vcc_lo, s7, v17, vcc_lo
	global_load_b64 v[18:19], v[18:19], off
	global_load_b64 v[16:17], v[16:17], off
	s_waitcnt vmcnt(0)
	v_add_f64 v[16:17], v[18:19], -v[16:17]
	s_delay_alu instid0(VALU_DEP_1) | instskip(SKIP_2) | instid1(VALU_DEP_2)
	v_add_f64 v[14:15], v[14:15], v[16:17]
	v_lshlrev_b64 v[16:17], 3, v[0:1]
	v_add_nc_u32_e32 v0, s22, v0
	v_add_co_u32 v18, vcc_lo, s4, v16
	s_delay_alu instid0(VALU_DEP_3)
	v_add_co_ci_u32_e32 v19, vcc_lo, s5, v17, vcc_lo
	v_add_co_u32 v16, vcc_lo, s6, v16
	v_add_co_ci_u32_e32 v17, vcc_lo, s7, v17, vcc_lo
	global_load_b64 v[18:19], v[18:19], off
	global_load_b64 v[16:17], v[16:17], off
	s_waitcnt vmcnt(0)
	v_add_f64 v[16:17], v[18:19], -v[16:17]
	s_delay_alu instid0(VALU_DEP_1) | instskip(SKIP_2) | instid1(VALU_DEP_2)
	v_add_f64 v[14:15], v[14:15], v[16:17]
	v_lshlrev_b64 v[16:17], 3, v[0:1]
	v_add_nc_u32_e32 v0, s28, v0
	v_add_co_u32 v18, vcc_lo, s4, v16
	s_delay_alu instid0(VALU_DEP_3)
	v_add_co_ci_u32_e32 v19, vcc_lo, s5, v17, vcc_lo
	v_add_co_u32 v16, vcc_lo, s6, v16
	v_add_co_ci_u32_e32 v17, vcc_lo, s7, v17, vcc_lo
	global_load_b64 v[18:19], v[18:19], off
	global_load_b64 v[16:17], v[16:17], off
	s_waitcnt vmcnt(0)
	v_add_f64 v[16:17], v[18:19], -v[16:17]
	s_delay_alu instid0(VALU_DEP_1) | instskip(SKIP_1) | instid1(VALU_DEP_1)
	v_add_f64 v[14:15], v[14:15], v[16:17]
	v_lshlrev_b64 v[16:17], 3, v[0:1]
	v_add_co_u32 v18, vcc_lo, s4, v16
	s_delay_alu instid0(VALU_DEP_2)
	v_add_co_ci_u32_e32 v19, vcc_lo, s5, v17, vcc_lo
	v_add_co_u32 v16, vcc_lo, s6, v16
	v_add_co_ci_u32_e32 v17, vcc_lo, s7, v17, vcc_lo
	global_load_b64 v[18:19], v[18:19], off
	global_load_b64 v[16:17], v[16:17], off
	s_waitcnt vmcnt(0)
	v_add_f64 v[16:17], v[18:19], -v[16:17]
	s_delay_alu instid0(VALU_DEP_1) | instskip(SKIP_2) | instid1(VALU_DEP_1)
	v_add_f64 v[14:15], v[14:15], v[16:17]
	v_mad_u64_u32 v[16:17], null, 0xffffff7e, s22, v[0:1]
	v_mov_b32_e32 v17, v1
	v_lshlrev_b64 v[17:18], 3, v[16:17]
	v_add_nc_u32_e32 v0, s13, v16
	s_delay_alu instid0(VALU_DEP_2) | instskip(NEXT) | instid1(VALU_DEP_3)
	v_add_co_u32 v17, vcc_lo, s8, v17
	v_add_co_ci_u32_e32 v18, vcc_lo, s9, v18, vcc_lo
	v_mul_f64 v[14:15], v[14:15], s[10:11]
	s_delay_alu instid0(VALU_DEP_1) | instskip(SKIP_3) | instid1(VALU_DEP_2)
	v_mul_f64 v[14:15], s[14:15], v[14:15]
	global_store_b64 v[17:18], v[14:15], off
	v_lshlrev_b64 v[14:15], 3, v[0:1]
	v_add_nc_u32_e32 v0, s22, v0
	v_add_co_u32 v16, vcc_lo, s4, v14
	s_delay_alu instid0(VALU_DEP_3)
	v_add_co_ci_u32_e32 v17, vcc_lo, s5, v15, vcc_lo
	v_add_co_u32 v14, vcc_lo, s6, v14
	v_add_co_ci_u32_e32 v15, vcc_lo, s7, v15, vcc_lo
	global_load_b64 v[16:17], v[16:17], off
	global_load_b64 v[14:15], v[14:15], off
	s_waitcnt vmcnt(0)
	v_add_f64 v[14:15], v[16:17], -v[14:15]
	v_lshlrev_b64 v[16:17], 3, v[0:1]
	v_add_nc_u32_e32 v0, s26, v0
	s_delay_alu instid0(VALU_DEP_2) | instskip(NEXT) | instid1(VALU_DEP_3)
	v_add_co_u32 v18, vcc_lo, s4, v16
	v_add_co_ci_u32_e32 v19, vcc_lo, s5, v17, vcc_lo
	v_add_co_u32 v16, vcc_lo, s6, v16
	v_add_co_ci_u32_e32 v17, vcc_lo, s7, v17, vcc_lo
	global_load_b64 v[18:19], v[18:19], off
	global_load_b64 v[16:17], v[16:17], off
	s_waitcnt vmcnt(0)
	v_add_f64 v[16:17], v[18:19], -v[16:17]
	s_delay_alu instid0(VALU_DEP_1) | instskip(SKIP_2) | instid1(VALU_DEP_2)
	v_add_f64 v[16:17], v[14:15], v[16:17]
	v_lshlrev_b64 v[14:15], 3, v[0:1]
	v_add_nc_u32_e32 v0, s12, v0
	v_add_co_u32 v18, vcc_lo, s4, v14
	s_delay_alu instid0(VALU_DEP_3)
	v_add_co_ci_u32_e32 v19, vcc_lo, s5, v15, vcc_lo
	v_add_co_u32 v14, vcc_lo, s6, v14
	v_add_co_ci_u32_e32 v15, vcc_lo, s7, v15, vcc_lo
	global_load_b64 v[18:19], v[18:19], off
	global_load_b64 v[14:15], v[14:15], off
	s_waitcnt vmcnt(0)
	v_add_f64 v[14:15], v[18:19], -v[14:15]
	v_lshlrev_b64 v[18:19], 3, v[0:1]
	s_delay_alu instid0(VALU_DEP_1) | instskip(NEXT) | instid1(VALU_DEP_2)
	v_add_co_u32 v20, vcc_lo, s4, v18
	v_add_co_ci_u32_e32 v21, vcc_lo, s5, v19, vcc_lo
	v_add_co_u32 v18, vcc_lo, s6, v18
	v_add_co_ci_u32_e32 v19, vcc_lo, s7, v19, vcc_lo
	global_load_b64 v[20:21], v[20:21], off
	global_load_b64 v[18:19], v[18:19], off
	v_add_f64 v[16:17], v[16:17], v[14:15]
	s_waitcnt vmcnt(0)
	v_add_f64 v[18:19], v[20:21], -v[18:19]
	s_delay_alu instid0(VALU_DEP_1) | instskip(SKIP_2) | instid1(VALU_DEP_1)
	v_add_f64 v[16:17], v[16:17], v[18:19]
	v_mad_u64_u32 v[18:19], null, s22, 27, v[0:1]
	v_mov_b32_e32 v19, v1
	v_lshlrev_b64 v[19:20], 3, v[18:19]
	v_add_nc_u32_e32 v0, s12, v18
	s_mul_i32 s12, s22, 15
	s_delay_alu instid0(VALU_DEP_2) | instskip(NEXT) | instid1(VALU_DEP_3)
	v_add_co_u32 v21, vcc_lo, s4, v19
	v_add_co_ci_u32_e32 v22, vcc_lo, s5, v20, vcc_lo
	v_add_co_u32 v19, vcc_lo, s6, v19
	v_add_co_ci_u32_e32 v20, vcc_lo, s7, v20, vcc_lo
	global_load_b64 v[21:22], v[21:22], off
	global_load_b64 v[19:20], v[19:20], off
	s_waitcnt vmcnt(0)
	v_add_f64 v[19:20], v[21:22], -v[19:20]
	s_delay_alu instid0(VALU_DEP_1) | instskip(SKIP_2) | instid1(VALU_DEP_2)
	v_add_f64 v[16:17], v[16:17], v[19:20]
	v_lshlrev_b64 v[18:19], 3, v[0:1]
	v_add_nc_u32_e32 v0, s22, v0
	v_add_co_u32 v20, vcc_lo, s4, v18
	s_delay_alu instid0(VALU_DEP_3)
	v_add_co_ci_u32_e32 v21, vcc_lo, s5, v19, vcc_lo
	v_add_co_u32 v18, vcc_lo, s6, v18
	v_add_co_ci_u32_e32 v19, vcc_lo, s7, v19, vcc_lo
	global_load_b64 v[20:21], v[20:21], off
	global_load_b64 v[18:19], v[18:19], off
	s_waitcnt vmcnt(0)
	v_add_f64 v[18:19], v[20:21], -v[18:19]
	s_delay_alu instid0(VALU_DEP_1) | instskip(SKIP_2) | instid1(VALU_DEP_2)
	v_add_f64 v[16:17], v[16:17], v[18:19]
	v_lshlrev_b64 v[18:19], 3, v[0:1]
	v_add_nc_u32_e32 v0, s27, v0
	v_add_co_u32 v20, vcc_lo, s4, v18
	s_delay_alu instid0(VALU_DEP_3)
	;; [unrolled: 13-line block ×3, first 2 shown]
	v_add_co_ci_u32_e32 v21, vcc_lo, s5, v19, vcc_lo
	v_add_co_u32 v18, vcc_lo, s6, v18
	v_add_co_ci_u32_e32 v19, vcc_lo, s7, v19, vcc_lo
	global_load_b64 v[20:21], v[20:21], off
	global_load_b64 v[18:19], v[18:19], off
	s_waitcnt vmcnt(0)
	v_add_f64 v[18:19], v[20:21], -v[18:19]
	s_delay_alu instid0(VALU_DEP_1) | instskip(SKIP_2) | instid1(VALU_DEP_2)
	v_add_f64 v[16:17], v[16:17], -v[18:19]
	v_lshlrev_b64 v[18:19], 3, v[0:1]
	v_add_nc_u32_e32 v0, s22, v0
	v_add_co_u32 v20, vcc_lo, s4, v18
	s_delay_alu instid0(VALU_DEP_3)
	v_add_co_ci_u32_e32 v21, vcc_lo, s5, v19, vcc_lo
	v_add_co_u32 v18, vcc_lo, s6, v18
	v_add_co_ci_u32_e32 v19, vcc_lo, s7, v19, vcc_lo
	global_load_b64 v[20:21], v[20:21], off
	global_load_b64 v[18:19], v[18:19], off
	s_waitcnt vmcnt(0)
	v_add_f64 v[18:19], v[20:21], -v[18:19]
	s_delay_alu instid0(VALU_DEP_1) | instskip(SKIP_2) | instid1(VALU_DEP_2)
	v_add_f64 v[16:17], v[16:17], -v[18:19]
	v_lshlrev_b64 v[18:19], 3, v[0:1]
	v_add_nc_u32_e32 v0, s22, v0
	v_add_co_u32 v20, vcc_lo, s4, v18
	s_delay_alu instid0(VALU_DEP_3)
	;; [unrolled: 13-line block ×4, first 2 shown]
	v_add_co_ci_u32_e32 v21, vcc_lo, s5, v19, vcc_lo
	v_add_co_u32 v18, vcc_lo, s6, v18
	v_add_co_ci_u32_e32 v19, vcc_lo, s7, v19, vcc_lo
	global_load_b64 v[20:21], v[20:21], off
	global_load_b64 v[18:19], v[18:19], off
	s_waitcnt vmcnt(0)
	v_add_f64 v[18:19], v[20:21], -v[18:19]
	s_delay_alu instid0(VALU_DEP_1) | instskip(NEXT) | instid1(VALU_DEP_1)
	v_add_f64 v[16:17], v[16:17], -v[18:19]
	v_add_f64 v[12:13], v[16:17], -v[12:13]
	v_lshlrev_b64 v[16:17], 3, v[0:1]
	v_add_nc_u32_e32 v0, s22, v0
	s_delay_alu instid0(VALU_DEP_2) | instskip(NEXT) | instid1(VALU_DEP_3)
	v_add_co_u32 v18, vcc_lo, s4, v16
	v_add_co_ci_u32_e32 v19, vcc_lo, s5, v17, vcc_lo
	v_add_co_u32 v16, vcc_lo, s6, v16
	v_add_co_ci_u32_e32 v17, vcc_lo, s7, v17, vcc_lo
	global_load_b64 v[18:19], v[18:19], off
	global_load_b64 v[16:17], v[16:17], off
	s_waitcnt vmcnt(0)
	v_add_f64 v[16:17], v[18:19], -v[16:17]
	s_delay_alu instid0(VALU_DEP_1) | instskip(SKIP_2) | instid1(VALU_DEP_2)
	v_add_f64 v[12:13], v[12:13], -v[16:17]
	v_lshlrev_b64 v[16:17], 3, v[0:1]
	v_add_nc_u32_e32 v0, s22, v0
	v_add_co_u32 v18, vcc_lo, s4, v16
	s_delay_alu instid0(VALU_DEP_3)
	v_add_co_ci_u32_e32 v19, vcc_lo, s5, v17, vcc_lo
	v_add_co_u32 v16, vcc_lo, s6, v16
	v_add_co_ci_u32_e32 v17, vcc_lo, s7, v17, vcc_lo
	global_load_b64 v[18:19], v[18:19], off
	global_load_b64 v[16:17], v[16:17], off
	s_waitcnt vmcnt(0)
	v_add_f64 v[16:17], v[18:19], -v[16:17]
	s_delay_alu instid0(VALU_DEP_1) | instskip(SKIP_2) | instid1(VALU_DEP_2)
	v_add_f64 v[16:17], v[12:13], -v[16:17]
	v_lshlrev_b64 v[12:13], 3, v[0:1]
	v_add_nc_u32_e32 v0, s22, v0
	v_add_co_u32 v18, vcc_lo, s4, v12
	s_delay_alu instid0(VALU_DEP_3)
	v_add_co_ci_u32_e32 v19, vcc_lo, s5, v13, vcc_lo
	v_add_co_u32 v12, vcc_lo, s6, v12
	v_add_co_ci_u32_e32 v13, vcc_lo, s7, v13, vcc_lo
	global_load_b64 v[18:19], v[18:19], off
	global_load_b64 v[12:13], v[12:13], off
	s_waitcnt vmcnt(0)
	v_add_f64 v[12:13], v[18:19], -v[12:13]
	v_lshlrev_b64 v[18:19], 3, v[0:1]
	v_add_nc_u32_e32 v0, s22, v0
	s_delay_alu instid0(VALU_DEP_2) | instskip(NEXT) | instid1(VALU_DEP_3)
	v_add_co_u32 v20, vcc_lo, s4, v18
	v_add_co_ci_u32_e32 v21, vcc_lo, s5, v19, vcc_lo
	v_add_co_u32 v18, vcc_lo, s6, v18
	v_add_co_ci_u32_e32 v19, vcc_lo, s7, v19, vcc_lo
	global_load_b64 v[20:21], v[20:21], off
	global_load_b64 v[18:19], v[18:19], off
	v_add_f64 v[16:17], v[16:17], -v[12:13]
	s_waitcnt vmcnt(0)
	v_add_f64 v[18:19], v[20:21], -v[18:19]
	s_delay_alu instid0(VALU_DEP_1) | instskip(SKIP_2) | instid1(VALU_DEP_2)
	v_add_f64 v[16:17], v[16:17], -v[18:19]
	v_lshlrev_b64 v[18:19], 3, v[0:1]
	v_add_nc_u32_e32 v0, s22, v0
	v_add_co_u32 v20, vcc_lo, s4, v18
	s_delay_alu instid0(VALU_DEP_3)
	v_add_co_ci_u32_e32 v21, vcc_lo, s5, v19, vcc_lo
	v_add_co_u32 v18, vcc_lo, s6, v18
	v_add_co_ci_u32_e32 v19, vcc_lo, s7, v19, vcc_lo
	global_load_b64 v[20:21], v[20:21], off
	global_load_b64 v[18:19], v[18:19], off
	s_waitcnt vmcnt(0)
	v_add_f64 v[18:19], v[20:21], -v[18:19]
	s_delay_alu instid0(VALU_DEP_1) | instskip(SKIP_2) | instid1(VALU_DEP_2)
	v_add_f64 v[16:17], v[16:17], -v[18:19]
	v_lshlrev_b64 v[18:19], 3, v[0:1]
	v_add_nc_u32_e32 v0, s22, v0
	v_add_co_u32 v20, vcc_lo, s4, v18
	s_delay_alu instid0(VALU_DEP_3)
	v_add_co_ci_u32_e32 v21, vcc_lo, s5, v19, vcc_lo
	v_add_co_u32 v18, vcc_lo, s6, v18
	v_add_co_ci_u32_e32 v19, vcc_lo, s7, v19, vcc_lo
	global_load_b64 v[20:21], v[20:21], off
	global_load_b64 v[18:19], v[18:19], off
	s_waitcnt vmcnt(0)
	v_add_f64 v[18:19], v[20:21], -v[18:19]
	s_delay_alu instid0(VALU_DEP_1) | instskip(SKIP_2) | instid1(VALU_DEP_2)
	v_add_f64 v[16:17], v[16:17], -v[18:19]
	v_lshlrev_b64 v[18:19], 3, v[0:1]
	v_add_nc_u32_e32 v0, s22, v0
	v_add_co_u32 v20, vcc_lo, s4, v18
	s_delay_alu instid0(VALU_DEP_3)
	v_add_co_ci_u32_e32 v21, vcc_lo, s5, v19, vcc_lo
	v_add_co_u32 v18, vcc_lo, s6, v18
	v_add_co_ci_u32_e32 v19, vcc_lo, s7, v19, vcc_lo
	global_load_b64 v[20:21], v[20:21], off
	global_load_b64 v[18:19], v[18:19], off
	s_waitcnt vmcnt(0)
	v_add_f64 v[18:19], v[20:21], -v[18:19]
	s_delay_alu instid0(VALU_DEP_1) | instskip(SKIP_2) | instid1(VALU_DEP_2)
	v_add_f64 v[16:17], v[16:17], -v[18:19]
	v_lshlrev_b64 v[18:19], 3, v[0:1]
	v_add_nc_u32_e32 v0, s22, v0
	v_add_co_u32 v20, vcc_lo, s4, v18
	s_delay_alu instid0(VALU_DEP_3)
	v_add_co_ci_u32_e32 v21, vcc_lo, s5, v19, vcc_lo
	v_add_co_u32 v18, vcc_lo, s6, v18
	v_add_co_ci_u32_e32 v19, vcc_lo, s7, v19, vcc_lo
	global_load_b64 v[20:21], v[20:21], off
	global_load_b64 v[18:19], v[18:19], off
	s_waitcnt vmcnt(0)
	v_add_f64 v[18:19], v[20:21], -v[18:19]
	s_delay_alu instid0(VALU_DEP_1) | instskip(SKIP_2) | instid1(VALU_DEP_2)
	v_add_f64 v[16:17], v[16:17], -v[18:19]
	v_lshlrev_b64 v[18:19], 3, v[0:1]
	v_add_nc_u32_e32 v0, s23, v0
	v_add_co_u32 v20, vcc_lo, s4, v18
	s_delay_alu instid0(VALU_DEP_3)
	v_add_co_ci_u32_e32 v21, vcc_lo, s5, v19, vcc_lo
	v_add_co_u32 v18, vcc_lo, s6, v18
	v_add_co_ci_u32_e32 v19, vcc_lo, s7, v19, vcc_lo
	global_load_b64 v[20:21], v[20:21], off
	global_load_b64 v[18:19], v[18:19], off
	s_waitcnt vmcnt(0)
	v_add_f64 v[18:19], v[20:21], -v[18:19]
	s_delay_alu instid0(VALU_DEP_1) | instskip(SKIP_2) | instid1(VALU_DEP_2)
	v_add_f64 v[16:17], v[16:17], -v[18:19]
	v_lshlrev_b64 v[18:19], 3, v[0:1]
	v_add_nc_u32_e32 v0, s26, v0
	v_add_co_u32 v20, vcc_lo, s4, v18
	s_delay_alu instid0(VALU_DEP_3)
	v_add_co_ci_u32_e32 v21, vcc_lo, s5, v19, vcc_lo
	v_add_co_u32 v18, vcc_lo, s6, v18
	v_add_co_ci_u32_e32 v19, vcc_lo, s7, v19, vcc_lo
	global_load_b64 v[20:21], v[20:21], off
	global_load_b64 v[18:19], v[18:19], off
	s_waitcnt vmcnt(0)
	v_add_f64 v[18:19], v[20:21], -v[18:19]
	s_delay_alu instid0(VALU_DEP_1) | instskip(SKIP_2) | instid1(VALU_DEP_2)
	v_add_f64 v[16:17], v[16:17], v[18:19]
	v_lshlrev_b64 v[18:19], 3, v[0:1]
	v_add_nc_u32_e32 v0, s23, v0
	v_add_co_u32 v20, vcc_lo, s4, v18
	s_delay_alu instid0(VALU_DEP_3)
	v_add_co_ci_u32_e32 v21, vcc_lo, s5, v19, vcc_lo
	v_add_co_u32 v18, vcc_lo, s6, v18
	v_add_co_ci_u32_e32 v19, vcc_lo, s7, v19, vcc_lo
	global_load_b64 v[20:21], v[20:21], off
	global_load_b64 v[18:19], v[18:19], off
	s_waitcnt vmcnt(0)
	v_add_f64 v[18:19], v[20:21], -v[18:19]
	s_delay_alu instid0(VALU_DEP_1) | instskip(SKIP_2) | instid1(VALU_DEP_2)
	v_add_f64 v[16:17], v[16:17], v[18:19]
	v_lshlrev_b64 v[18:19], 3, v[0:1]
	v_add_nc_u32_e32 v0, s12, v0
	v_add_co_u32 v20, vcc_lo, s4, v18
	s_delay_alu instid0(VALU_DEP_3)
	v_add_co_ci_u32_e32 v21, vcc_lo, s5, v19, vcc_lo
	v_add_co_u32 v18, vcc_lo, s6, v18
	v_add_co_ci_u32_e32 v19, vcc_lo, s7, v19, vcc_lo
	global_load_b64 v[20:21], v[20:21], off
	global_load_b64 v[18:19], v[18:19], off
	s_waitcnt vmcnt(0)
	v_add_f64 v[18:19], v[20:21], -v[18:19]
	s_delay_alu instid0(VALU_DEP_1) | instskip(SKIP_1) | instid1(VALU_DEP_1)
	v_add_f64 v[16:17], v[16:17], v[18:19]
	v_lshlrev_b64 v[18:19], 3, v[0:1]
	v_add_co_u32 v20, vcc_lo, s4, v18
	s_delay_alu instid0(VALU_DEP_2)
	v_add_co_ci_u32_e32 v21, vcc_lo, s5, v19, vcc_lo
	v_add_co_u32 v18, vcc_lo, s6, v18
	v_add_co_ci_u32_e32 v19, vcc_lo, s7, v19, vcc_lo
	global_load_b64 v[20:21], v[20:21], off
	global_load_b64 v[18:19], v[18:19], off
	s_waitcnt vmcnt(0)
	v_add_f64 v[18:19], v[20:21], -v[18:19]
	s_delay_alu instid0(VALU_DEP_1) | instskip(SKIP_2) | instid1(VALU_DEP_1)
	v_add_f64 v[16:17], v[16:17], v[18:19]
	v_mad_u64_u32 v[18:19], null, 0xffffff50, s22, v[0:1]
	v_mov_b32_e32 v19, v1
	v_lshlrev_b64 v[20:21], 3, v[18:19]
	s_delay_alu instid0(VALU_DEP_1) | instskip(NEXT) | instid1(VALU_DEP_2)
	v_add_co_u32 v20, vcc_lo, s8, v20
	v_add_co_ci_u32_e32 v21, vcc_lo, s9, v21, vcc_lo
	v_mul_f64 v[16:17], v[16:17], s[10:11]
	s_delay_alu instid0(VALU_DEP_1) | instskip(SKIP_3) | instid1(VALU_DEP_1)
	v_mul_f64 v[16:17], s[16:17], v[16:17]
	global_store_b64 v[20:21], v[16:17], off
	v_mad_u64_u32 v[16:17], null, 0x4e, s22, v[18:19]
	v_mov_b32_e32 v17, v1
	v_lshlrev_b64 v[17:18], 3, v[16:17]
	v_add_nc_u32_e32 v0, s13, v16
	s_delay_alu instid0(VALU_DEP_2) | instskip(NEXT) | instid1(VALU_DEP_3)
	v_add_co_u32 v19, vcc_lo, s4, v17
	v_add_co_ci_u32_e32 v20, vcc_lo, s5, v18, vcc_lo
	v_add_co_u32 v17, vcc_lo, s6, v17
	v_add_co_ci_u32_e32 v18, vcc_lo, s7, v18, vcc_lo
	global_load_b64 v[19:20], v[19:20], off
	global_load_b64 v[17:18], v[17:18], off
	s_waitcnt vmcnt(0)
	v_add_f64 v[17:18], v[19:20], -v[17:18]
	v_lshlrev_b64 v[19:20], 3, v[0:1]
	v_add_nc_u32_e32 v0, s24, v0
	s_delay_alu instid0(VALU_DEP_2) | instskip(NEXT) | instid1(VALU_DEP_3)
	v_add_co_u32 v21, vcc_lo, s4, v19
	v_add_co_ci_u32_e32 v22, vcc_lo, s5, v20, vcc_lo
	v_add_co_u32 v19, vcc_lo, s6, v19
	v_add_co_ci_u32_e32 v20, vcc_lo, s7, v20, vcc_lo
	global_load_b64 v[21:22], v[21:22], off
	global_load_b64 v[19:20], v[19:20], off
	s_waitcnt vmcnt(0)
	v_add_f64 v[19:20], v[21:22], -v[19:20]
	s_delay_alu instid0(VALU_DEP_1) | instskip(SKIP_2) | instid1(VALU_DEP_2)
	v_add_f64 v[16:17], v[17:18], v[19:20]
	v_lshlrev_b64 v[18:19], 3, v[0:1]
	v_add_nc_u32_e32 v0, s26, v0
	v_add_co_u32 v20, vcc_lo, s4, v18
	s_delay_alu instid0(VALU_DEP_3)
	v_add_co_ci_u32_e32 v21, vcc_lo, s5, v19, vcc_lo
	v_add_co_u32 v18, vcc_lo, s6, v18
	v_add_co_ci_u32_e32 v19, vcc_lo, s7, v19, vcc_lo
	global_load_b64 v[20:21], v[20:21], off
	global_load_b64 v[18:19], v[18:19], off
	s_waitcnt vmcnt(0)
	v_add_f64 v[18:19], v[20:21], -v[18:19]
	s_delay_alu instid0(VALU_DEP_1) | instskip(SKIP_2) | instid1(VALU_DEP_2)
	v_add_f64 v[16:17], v[16:17], v[18:19]
	v_lshlrev_b64 v[18:19], 3, v[0:1]
	v_add_nc_u32_e32 v0, s22, v0
	v_add_co_u32 v20, vcc_lo, s4, v18
	s_delay_alu instid0(VALU_DEP_3)
	;; [unrolled: 13-line block ×4, first 2 shown]
	v_add_co_ci_u32_e32 v21, vcc_lo, s5, v19, vcc_lo
	v_add_co_u32 v18, vcc_lo, s6, v18
	v_add_co_ci_u32_e32 v19, vcc_lo, s7, v19, vcc_lo
	global_load_b64 v[20:21], v[20:21], off
	global_load_b64 v[18:19], v[18:19], off
	s_waitcnt vmcnt(0)
	v_add_f64 v[18:19], v[20:21], -v[18:19]
	s_delay_alu instid0(VALU_DEP_1) | instskip(SKIP_2) | instid1(VALU_DEP_2)
	v_add_f64 v[16:17], v[16:17], -v[18:19]
	v_lshlrev_b64 v[18:19], 3, v[0:1]
	v_add_nc_u32_e32 v0, s22, v0
	v_add_co_u32 v20, vcc_lo, s4, v18
	s_delay_alu instid0(VALU_DEP_3)
	v_add_co_ci_u32_e32 v21, vcc_lo, s5, v19, vcc_lo
	v_add_co_u32 v18, vcc_lo, s6, v18
	v_add_co_ci_u32_e32 v19, vcc_lo, s7, v19, vcc_lo
	global_load_b64 v[20:21], v[20:21], off
	global_load_b64 v[18:19], v[18:19], off
	s_waitcnt vmcnt(0)
	v_add_f64 v[18:19], v[20:21], -v[18:19]
	s_delay_alu instid0(VALU_DEP_1) | instskip(SKIP_2) | instid1(VALU_DEP_2)
	v_add_f64 v[16:17], v[16:17], -v[18:19]
	v_lshlrev_b64 v[18:19], 3, v[0:1]
	v_add_nc_u32_e32 v0, s22, v0
	v_add_co_u32 v20, vcc_lo, s4, v18
	s_delay_alu instid0(VALU_DEP_3)
	;; [unrolled: 13-line block ×3, first 2 shown]
	v_add_co_ci_u32_e32 v21, vcc_lo, s5, v19, vcc_lo
	v_add_co_u32 v18, vcc_lo, s6, v18
	v_add_co_ci_u32_e32 v19, vcc_lo, s7, v19, vcc_lo
	global_load_b64 v[20:21], v[20:21], off
	global_load_b64 v[18:19], v[18:19], off
	s_waitcnt vmcnt(0)
	v_add_f64 v[18:19], v[20:21], -v[18:19]
	s_delay_alu instid0(VALU_DEP_1) | instskip(SKIP_1) | instid1(VALU_DEP_1)
	v_add_f64 v[16:17], v[16:17], -v[18:19]
	v_lshlrev_b64 v[18:19], 3, v[0:1]
	v_add_co_u32 v20, vcc_lo, s4, v18
	s_delay_alu instid0(VALU_DEP_2)
	v_add_co_ci_u32_e32 v21, vcc_lo, s5, v19, vcc_lo
	v_add_co_u32 v18, vcc_lo, s6, v18
	v_add_co_ci_u32_e32 v19, vcc_lo, s7, v19, vcc_lo
	global_load_b64 v[20:21], v[20:21], off
	global_load_b64 v[18:19], v[18:19], off
	s_waitcnt vmcnt(0)
	v_add_f64 v[18:19], v[20:21], -v[18:19]
	s_delay_alu instid0(VALU_DEP_1) | instskip(SKIP_2) | instid1(VALU_DEP_1)
	v_add_f64 v[16:17], v[16:17], -v[18:19]
	v_mad_u64_u32 v[18:19], null, 0xffffff58, s22, v[0:1]
	v_mov_b32_e32 v19, v1
	v_lshlrev_b64 v[20:21], 3, v[18:19]
	s_delay_alu instid0(VALU_DEP_1) | instskip(NEXT) | instid1(VALU_DEP_2)
	v_add_co_u32 v20, vcc_lo, s8, v20
	v_add_co_ci_u32_e32 v21, vcc_lo, s9, v21, vcc_lo
	v_mul_f64 v[16:17], v[16:17], s[10:11]
	s_delay_alu instid0(VALU_DEP_1) | instskip(SKIP_3) | instid1(VALU_DEP_1)
	v_mul_f64 v[16:17], s[18:19], v[16:17]
	global_store_b64 v[20:21], v[16:17], off
	v_mad_u64_u32 v[16:17], null, s22, 23, v[18:19]
	v_mov_b32_e32 v17, v1
	v_lshlrev_b64 v[17:18], 3, v[16:17]
	s_delay_alu instid0(VALU_DEP_1) | instskip(NEXT) | instid1(VALU_DEP_2)
	v_add_co_u32 v19, vcc_lo, s4, v17
	v_add_co_ci_u32_e32 v20, vcc_lo, s5, v18, vcc_lo
	v_add_co_u32 v17, vcc_lo, s6, v17
	v_add_co_ci_u32_e32 v18, vcc_lo, s7, v18, vcc_lo
	global_load_b64 v[19:20], v[19:20], off
	global_load_b64 v[17:18], v[17:18], off
	s_waitcnt vmcnt(0)
	v_add_f64 v[17:18], v[19:20], -v[17:18]
	s_delay_alu instid0(VALU_DEP_1) | instskip(SKIP_2) | instid1(VALU_DEP_1)
	v_add_f64 v[14:15], v[17:18], -v[14:15]
	v_mad_u64_u32 v[17:18], null, 0x45, s22, v[16:17]
	v_mov_b32_e32 v18, v1
	v_lshlrev_b64 v[18:19], 3, v[17:18]
	v_add_nc_u32_e32 v0, s22, v17
	s_delay_alu instid0(VALU_DEP_2) | instskip(NEXT) | instid1(VALU_DEP_3)
	v_add_co_u32 v20, vcc_lo, s4, v18
	v_add_co_ci_u32_e32 v21, vcc_lo, s5, v19, vcc_lo
	v_add_co_u32 v18, vcc_lo, s6, v18
	v_add_co_ci_u32_e32 v19, vcc_lo, s7, v19, vcc_lo
	global_load_b64 v[20:21], v[20:21], off
	v_lshlrev_b64 v[16:17], 3, v[0:1]
	v_add_nc_u32_e32 v0, s22, v0
	global_load_b64 v[18:19], v[18:19], off
	s_waitcnt vmcnt(0)
	v_add_f64 v[18:19], v[20:21], -v[18:19]
	s_delay_alu instid0(VALU_DEP_1)
	v_add_f64 v[14:15], v[14:15], -v[18:19]
	v_add_co_u32 v18, vcc_lo, s4, v16
	v_add_co_ci_u32_e32 v19, vcc_lo, s5, v17, vcc_lo
	v_add_co_u32 v16, vcc_lo, s6, v16
	v_add_co_ci_u32_e32 v17, vcc_lo, s7, v17, vcc_lo
	global_load_b64 v[18:19], v[18:19], off
	global_load_b64 v[16:17], v[16:17], off
	s_waitcnt vmcnt(0)
	v_add_f64 v[16:17], v[18:19], -v[16:17]
	s_delay_alu instid0(VALU_DEP_1) | instskip(SKIP_2) | instid1(VALU_DEP_2)
	v_add_f64 v[14:15], v[14:15], -v[16:17]
	v_lshlrev_b64 v[16:17], 3, v[0:1]
	v_add_nc_u32_e32 v0, s23, v0
	v_add_co_u32 v18, vcc_lo, s4, v16
	s_delay_alu instid0(VALU_DEP_3)
	v_add_co_ci_u32_e32 v19, vcc_lo, s5, v17, vcc_lo
	v_add_co_u32 v16, vcc_lo, s6, v16
	v_add_co_ci_u32_e32 v17, vcc_lo, s7, v17, vcc_lo
	global_load_b64 v[18:19], v[18:19], off
	global_load_b64 v[16:17], v[16:17], off
	s_waitcnt vmcnt(0)
	v_add_f64 v[16:17], v[18:19], -v[16:17]
	s_delay_alu instid0(VALU_DEP_1) | instskip(NEXT) | instid1(VALU_DEP_1)
	v_add_f64 v[14:15], v[14:15], -v[16:17]
	v_add_f64 v[4:5], v[14:15], -v[4:5]
	v_lshlrev_b64 v[14:15], 3, v[0:1]
	v_add_nc_u32_e32 v0, s12, v0
	s_delay_alu instid0(VALU_DEP_2) | instskip(NEXT) | instid1(VALU_DEP_3)
	v_add_co_u32 v16, vcc_lo, s4, v14
	v_add_co_ci_u32_e32 v17, vcc_lo, s5, v15, vcc_lo
	v_add_co_u32 v14, vcc_lo, s6, v14
	v_add_co_ci_u32_e32 v15, vcc_lo, s7, v15, vcc_lo
	global_load_b64 v[16:17], v[16:17], off
	global_load_b64 v[14:15], v[14:15], off
	s_waitcnt vmcnt(0)
	v_add_f64 v[14:15], v[16:17], -v[14:15]
	s_delay_alu instid0(VALU_DEP_1) | instskip(NEXT) | instid1(VALU_DEP_1)
	v_add_f64 v[4:5], v[4:5], -v[14:15]
	v_add_f64 v[4:5], v[4:5], -v[6:7]
	s_delay_alu instid0(VALU_DEP_1) | instskip(SKIP_2) | instid1(VALU_DEP_3)
	v_add_f64 v[4:5], v[4:5], -v[6:7]
	v_lshlrev_b64 v[6:7], 3, v[0:1]
	v_add_nc_u32_e32 v0, s23, v0
	v_add_f64 v[4:5], v[10:11], v[4:5]
	s_delay_alu instid0(VALU_DEP_3) | instskip(NEXT) | instid1(VALU_DEP_4)
	v_add_co_u32 v10, vcc_lo, s4, v6
	v_add_co_ci_u32_e32 v11, vcc_lo, s5, v7, vcc_lo
	v_add_co_u32 v6, vcc_lo, s6, v6
	v_add_co_ci_u32_e32 v7, vcc_lo, s7, v7, vcc_lo
	global_load_b64 v[10:11], v[10:11], off
	global_load_b64 v[6:7], v[6:7], off
	s_waitcnt vmcnt(0)
	v_add_f64 v[6:7], v[10:11], -v[6:7]
	v_lshlrev_b64 v[10:11], 3, v[0:1]
	v_add_nc_u32_e32 v0, s23, v0
	s_delay_alu instid0(VALU_DEP_2) | instskip(NEXT) | instid1(VALU_DEP_3)
	v_add_co_u32 v14, vcc_lo, s4, v10
	v_add_co_ci_u32_e32 v15, vcc_lo, s5, v11, vcc_lo
	v_add_co_u32 v10, vcc_lo, s6, v10
	v_add_co_ci_u32_e32 v11, vcc_lo, s7, v11, vcc_lo
	global_load_b64 v[14:15], v[14:15], off
	global_load_b64 v[10:11], v[10:11], off
	v_add_f64 v[4:5], v[6:7], v[4:5]
	s_waitcnt vmcnt(0)
	v_add_f64 v[10:11], v[14:15], -v[10:11]
	v_lshlrev_b64 v[14:15], 3, v[0:1]
	s_delay_alu instid0(VALU_DEP_1) | instskip(NEXT) | instid1(VALU_DEP_2)
	v_add_co_u32 v16, vcc_lo, s4, v14
	v_add_co_ci_u32_e32 v17, vcc_lo, s5, v15, vcc_lo
	v_add_co_u32 v14, vcc_lo, s6, v14
	v_add_co_ci_u32_e32 v15, vcc_lo, s7, v15, vcc_lo
	global_load_b64 v[16:17], v[16:17], off
	global_load_b64 v[14:15], v[14:15], off
	v_add_f64 v[4:5], v[10:11], v[4:5]
	s_waitcnt vmcnt(0)
	v_add_f64 v[14:15], v[16:17], -v[14:15]
	v_mad_u64_u32 v[16:17], null, 0xffffff8e, s22, v[0:1]
	v_mov_b32_e32 v17, v1
	s_delay_alu instid0(VALU_DEP_1) | instskip(SKIP_1) | instid1(VALU_DEP_2)
	v_lshlrev_b64 v[17:18], 3, v[16:17]
	v_add_nc_u32_e32 v0, s25, v16
	v_add_co_u32 v17, vcc_lo, s8, v17
	s_delay_alu instid0(VALU_DEP_3) | instskip(SKIP_1) | instid1(VALU_DEP_1)
	v_add_co_ci_u32_e32 v18, vcc_lo, s9, v18, vcc_lo
	v_add_f64 v[4:5], v[4:5], v[14:15]
	v_mul_f64 v[4:5], v[4:5], s[10:11]
	s_delay_alu instid0(VALU_DEP_1) | instskip(SKIP_2) | instid1(VALU_DEP_1)
	v_mul_f64 v[4:5], s[0:1], v[4:5]
	global_store_b64 v[17:18], v[4:5], off
	v_lshlrev_b64 v[4:5], 3, v[0:1]
	v_add_co_u32 v16, vcc_lo, s4, v4
	s_delay_alu instid0(VALU_DEP_2)
	v_add_co_ci_u32_e32 v17, vcc_lo, s5, v5, vcc_lo
	v_add_co_u32 v4, vcc_lo, s6, v4
	v_add_co_ci_u32_e32 v5, vcc_lo, s7, v5, vcc_lo
	global_load_b64 v[16:17], v[16:17], off
	global_load_b64 v[4:5], v[4:5], off
	s_waitcnt vmcnt(0)
	v_add_f64 v[4:5], v[16:17], -v[4:5]
	s_delay_alu instid0(VALU_DEP_1) | instskip(SKIP_1) | instid1(VALU_DEP_1)
	v_add_f64 v[2:3], v[2:3], v[4:5]
	v_mad_u64_u32 v[4:5], null, 0x44, s22, v[0:1]
	v_dual_mov_b32 v5, v1 :: v_dual_add_nc_u32 v0, s23, v4
	s_delay_alu instid0(VALU_DEP_3) | instskip(NEXT) | instid1(VALU_DEP_2)
	v_add_f64 v[2:3], v[8:9], v[2:3]
	v_lshlrev_b64 v[8:9], 3, v[4:5]
	s_delay_alu instid0(VALU_DEP_3) | instskip(SKIP_1) | instid1(VALU_DEP_3)
	v_lshlrev_b64 v[4:5], 3, v[0:1]
	v_add_nc_u32_e32 v0, s23, v0
	v_add_co_u32 v16, vcc_lo, s4, v8
	s_delay_alu instid0(VALU_DEP_4)
	v_add_co_ci_u32_e32 v17, vcc_lo, s5, v9, vcc_lo
	v_add_co_u32 v8, vcc_lo, s6, v8
	v_add_co_ci_u32_e32 v9, vcc_lo, s7, v9, vcc_lo
	global_load_b64 v[16:17], v[16:17], off
	global_load_b64 v[8:9], v[8:9], off
	s_waitcnt vmcnt(0)
	v_add_f64 v[8:9], v[16:17], -v[8:9]
	s_delay_alu instid0(VALU_DEP_1)
	v_add_f64 v[2:3], v[2:3], v[8:9]
	v_add_co_u32 v8, vcc_lo, s4, v4
	v_add_co_ci_u32_e32 v9, vcc_lo, s5, v5, vcc_lo
	v_add_co_u32 v4, vcc_lo, s6, v4
	v_add_co_ci_u32_e32 v5, vcc_lo, s7, v5, vcc_lo
	global_load_b64 v[8:9], v[8:9], off
	global_load_b64 v[4:5], v[4:5], off
	s_waitcnt vmcnt(0)
	v_add_f64 v[4:5], v[8:9], -v[4:5]
	s_delay_alu instid0(VALU_DEP_1) | instskip(SKIP_2) | instid1(VALU_DEP_3)
	v_add_f64 v[2:3], v[2:3], -v[4:5]
	v_lshlrev_b64 v[4:5], 3, v[0:1]
	v_add_nc_u32_e32 v0, s23, v0
	v_add_f64 v[2:3], v[2:3], -v[6:7]
	s_delay_alu instid0(VALU_DEP_3) | instskip(NEXT) | instid1(VALU_DEP_4)
	v_add_co_u32 v6, vcc_lo, s4, v4
	v_add_co_ci_u32_e32 v7, vcc_lo, s5, v5, vcc_lo
	v_add_co_u32 v4, vcc_lo, s6, v4
	v_add_co_ci_u32_e32 v5, vcc_lo, s7, v5, vcc_lo
	global_load_b64 v[6:7], v[6:7], off
	global_load_b64 v[4:5], v[4:5], off
	s_waitcnt vmcnt(0)
	v_add_f64 v[4:5], v[6:7], -v[4:5]
	s_delay_alu instid0(VALU_DEP_1) | instskip(SKIP_2) | instid1(VALU_DEP_2)
	v_add_f64 v[2:3], v[2:3], -v[4:5]
	v_lshlrev_b64 v[4:5], 3, v[0:1]
	v_add_nc_u32_e32 v0, s24, v0
	v_add_co_u32 v6, vcc_lo, s4, v4
	s_delay_alu instid0(VALU_DEP_3)
	v_add_co_ci_u32_e32 v7, vcc_lo, s5, v5, vcc_lo
	v_add_co_u32 v4, vcc_lo, s6, v4
	v_add_co_ci_u32_e32 v5, vcc_lo, s7, v5, vcc_lo
	global_load_b64 v[6:7], v[6:7], off
	global_load_b64 v[4:5], v[4:5], off
	v_add_f64 v[2:3], v[2:3], -v[10:11]
	s_waitcnt vmcnt(0)
	v_add_f64 v[4:5], v[6:7], -v[4:5]
	s_delay_alu instid0(VALU_DEP_1) | instskip(SKIP_2) | instid1(VALU_DEP_2)
	v_add_f64 v[2:3], v[2:3], -v[4:5]
	v_lshlrev_b64 v[4:5], 3, v[0:1]
	v_add_nc_u32_e32 v0, s12, v0
	v_add_co_u32 v6, vcc_lo, s4, v4
	s_delay_alu instid0(VALU_DEP_3)
	v_add_co_ci_u32_e32 v7, vcc_lo, s5, v5, vcc_lo
	v_add_co_u32 v4, vcc_lo, s6, v4
	v_add_co_ci_u32_e32 v5, vcc_lo, s7, v5, vcc_lo
	global_load_b64 v[6:7], v[6:7], off
	global_load_b64 v[4:5], v[4:5], off
	v_add_f64 v[2:3], v[2:3], -v[14:15]
	s_waitcnt vmcnt(0)
	v_add_f64 v[4:5], v[6:7], -v[4:5]
	s_delay_alu instid0(VALU_DEP_1) | instskip(SKIP_2) | instid1(VALU_DEP_2)
	v_add_f64 v[2:3], v[2:3], v[4:5]
	v_lshlrev_b64 v[4:5], 3, v[0:1]
	v_add_nc_u32_e32 v0, s22, v0
	v_add_co_u32 v6, vcc_lo, s4, v4
	s_delay_alu instid0(VALU_DEP_3)
	v_add_co_ci_u32_e32 v7, vcc_lo, s5, v5, vcc_lo
	v_add_co_u32 v4, vcc_lo, s6, v4
	v_add_co_ci_u32_e32 v5, vcc_lo, s7, v5, vcc_lo
	global_load_b64 v[6:7], v[6:7], off
	global_load_b64 v[4:5], v[4:5], off
	s_waitcnt vmcnt(0)
	v_add_f64 v[4:5], v[6:7], -v[4:5]
	s_delay_alu instid0(VALU_DEP_1) | instskip(SKIP_2) | instid1(VALU_DEP_2)
	v_add_f64 v[2:3], v[2:3], v[4:5]
	v_lshlrev_b64 v[4:5], 3, v[0:1]
	v_add_nc_u32_e32 v0, s22, v0
	v_add_co_u32 v6, vcc_lo, s4, v4
	s_delay_alu instid0(VALU_DEP_3)
	v_add_co_ci_u32_e32 v7, vcc_lo, s5, v5, vcc_lo
	v_add_co_u32 v4, vcc_lo, s6, v4
	v_add_co_ci_u32_e32 v5, vcc_lo, s7, v5, vcc_lo
	global_load_b64 v[6:7], v[6:7], off
	global_load_b64 v[4:5], v[4:5], off
	;; [unrolled: 13-line block ×3, first 2 shown]
	s_waitcnt vmcnt(0)
	v_add_f64 v[4:5], v[6:7], -v[4:5]
	s_delay_alu instid0(VALU_DEP_1) | instskip(SKIP_1) | instid1(VALU_DEP_1)
	v_add_f64 v[2:3], v[2:3], v[4:5]
	v_lshlrev_b64 v[4:5], 3, v[0:1]
	v_add_co_u32 v6, vcc_lo, s4, v4
	s_delay_alu instid0(VALU_DEP_2)
	v_add_co_ci_u32_e32 v7, vcc_lo, s5, v5, vcc_lo
	v_add_co_u32 v4, vcc_lo, s6, v4
	v_add_co_ci_u32_e32 v5, vcc_lo, s7, v5, vcc_lo
	global_load_b64 v[6:7], v[6:7], off
	global_load_b64 v[4:5], v[4:5], off
	s_waitcnt vmcnt(0)
	v_add_f64 v[4:5], v[6:7], -v[4:5]
	s_delay_alu instid0(VALU_DEP_1) | instskip(SKIP_2) | instid1(VALU_DEP_1)
	v_add_f64 v[2:3], v[2:3], v[4:5]
	v_mad_u64_u32 v[4:5], null, s22, 40, v[0:1]
	v_mov_b32_e32 v5, v1
	v_lshlrev_b64 v[6:7], 3, v[4:5]
	s_delay_alu instid0(VALU_DEP_1) | instskip(NEXT) | instid1(VALU_DEP_2)
	v_add_co_u32 v8, vcc_lo, s4, v6
	v_add_co_ci_u32_e32 v9, vcc_lo, s5, v7, vcc_lo
	v_add_co_u32 v6, vcc_lo, s6, v6
	v_add_co_ci_u32_e32 v7, vcc_lo, s7, v7, vcc_lo
	global_load_b64 v[8:9], v[8:9], off
	global_load_b64 v[6:7], v[6:7], off
	s_waitcnt vmcnt(0)
	v_add_f64 v[6:7], v[8:9], -v[6:7]
	s_delay_alu instid0(VALU_DEP_1) | instskip(SKIP_2) | instid1(VALU_DEP_1)
	v_add_f64 v[2:3], v[2:3], v[6:7]
	v_mad_u64_u32 v[6:7], null, 0xffffff51, s22, v[4:5]
	v_mov_b32_e32 v7, v1
	v_lshlrev_b64 v[4:5], 3, v[6:7]
	s_delay_alu instid0(VALU_DEP_1) | instskip(NEXT) | instid1(VALU_DEP_2)
	v_add_co_u32 v4, vcc_lo, s8, v4
	v_add_co_ci_u32_e32 v5, vcc_lo, s9, v5, vcc_lo
	v_mul_f64 v[2:3], v[2:3], s[10:11]
	s_delay_alu instid0(VALU_DEP_1) | instskip(SKIP_3) | instid1(VALU_DEP_1)
	v_mul_f64 v[2:3], s[2:3], v[2:3]
	global_store_b64 v[4:5], v[2:3], off
	v_mad_u64_u32 v[2:3], null, 0x47, s22, v[6:7]
	v_mov_b32_e32 v3, v1
	v_lshlrev_b64 v[3:4], 3, v[2:3]
	s_delay_alu instid0(VALU_DEP_1) | instskip(NEXT) | instid1(VALU_DEP_2)
	v_add_co_u32 v5, vcc_lo, s4, v3
	v_add_co_ci_u32_e32 v6, vcc_lo, s5, v4, vcc_lo
	v_add_co_u32 v3, vcc_lo, s6, v3
	v_add_co_ci_u32_e32 v4, vcc_lo, s7, v4, vcc_lo
	global_load_b64 v[5:6], v[5:6], off
	global_load_b64 v[3:4], v[3:4], off
	s_waitcnt vmcnt(0)
	v_add_f64 v[3:4], v[5:6], -v[3:4]
	s_delay_alu instid0(VALU_DEP_1) | instskip(SKIP_1) | instid1(VALU_DEP_1)
	v_mad_u64_u32 v[5:6], null, s22, 59, v[2:3]
	v_mov_b32_e32 v6, v1
	v_lshlrev_b64 v[6:7], 3, v[5:6]
	s_delay_alu instid0(VALU_DEP_1) | instskip(NEXT) | instid1(VALU_DEP_2)
	v_add_co_u32 v8, vcc_lo, s4, v6
	v_add_co_ci_u32_e32 v9, vcc_lo, s5, v7, vcc_lo
	v_add_co_u32 v6, vcc_lo, s6, v6
	v_add_co_ci_u32_e32 v7, vcc_lo, s7, v7, vcc_lo
	global_load_b64 v[8:9], v[8:9], off
	global_load_b64 v[6:7], v[6:7], off
	s_waitcnt vmcnt(0)
	v_add_f64 v[6:7], v[8:9], -v[6:7]
	s_delay_alu instid0(VALU_DEP_1) | instskip(SKIP_2) | instid1(VALU_DEP_1)
	v_add_f64 v[2:3], v[3:4], v[6:7]
	v_mad_u64_u32 v[6:7], null, s22, 25, v[5:6]
	v_mov_b32_e32 v7, v1
	v_lshlrev_b64 v[4:5], 3, v[6:7]
	s_delay_alu instid0(VALU_DEP_1) | instskip(NEXT) | instid1(VALU_DEP_2)
	v_add_co_u32 v7, vcc_lo, s4, v4
	v_add_co_ci_u32_e32 v8, vcc_lo, s5, v5, vcc_lo
	v_add_co_u32 v4, vcc_lo, s6, v4
	v_add_co_ci_u32_e32 v5, vcc_lo, s7, v5, vcc_lo
	global_load_b64 v[7:8], v[7:8], off
	global_load_b64 v[4:5], v[4:5], off
	v_add_f64 v[2:3], v[12:13], v[2:3]
	s_waitcnt vmcnt(0)
	v_add_f64 v[4:5], v[7:8], -v[4:5]
	s_delay_alu instid0(VALU_DEP_1) | instskip(SKIP_2) | instid1(VALU_DEP_1)
	v_add_f64 v[2:3], v[2:3], v[4:5]
	v_mad_u64_u32 v[4:5], null, 0xffffff66, s22, v[6:7]
	v_mov_b32_e32 v5, v1
	v_lshlrev_b64 v[0:1], 3, v[4:5]
	s_delay_alu instid0(VALU_DEP_1) | instskip(NEXT) | instid1(VALU_DEP_2)
	v_add_co_u32 v0, vcc_lo, s8, v0
	v_add_co_ci_u32_e32 v1, vcc_lo, s9, v1, vcc_lo
	v_mul_f64 v[2:3], v[2:3], s[10:11]
	s_delay_alu instid0(VALU_DEP_1)
	v_mul_f64 v[2:3], s[20:21], v[2:3]
	global_store_b64 v[0:1], v[2:3], off
	s_nop 0
	s_sendmsg sendmsg(MSG_DEALLOC_VGPRS)
	s_endpgm
	.section	.rodata,"a",@progbits
	.p2align	6, 0x0
	.amdhsa_kernel _Z14rdwdot3_kernelIdEvPKT_S2_PS0_S0_S2_
		.amdhsa_group_segment_fixed_size 0
		.amdhsa_private_segment_fixed_size 0
		.amdhsa_kernarg_size 296
		.amdhsa_user_sgpr_count 15
		.amdhsa_user_sgpr_dispatch_ptr 0
		.amdhsa_user_sgpr_queue_ptr 0
		.amdhsa_user_sgpr_kernarg_segment_ptr 1
		.amdhsa_user_sgpr_dispatch_id 0
		.amdhsa_user_sgpr_private_segment_size 0
		.amdhsa_wavefront_size32 1
		.amdhsa_uses_dynamic_stack 0
		.amdhsa_enable_private_segment 0
		.amdhsa_system_sgpr_workgroup_id_x 1
		.amdhsa_system_sgpr_workgroup_id_y 0
		.amdhsa_system_sgpr_workgroup_id_z 0
		.amdhsa_system_sgpr_workgroup_info 0
		.amdhsa_system_vgpr_workitem_id 0
		.amdhsa_next_free_vgpr 23
		.amdhsa_next_free_sgpr 30
		.amdhsa_reserve_vcc 1
		.amdhsa_float_round_mode_32 0
		.amdhsa_float_round_mode_16_64 0
		.amdhsa_float_denorm_mode_32 3
		.amdhsa_float_denorm_mode_16_64 3
		.amdhsa_dx10_clamp 1
		.amdhsa_ieee_mode 1
		.amdhsa_fp16_overflow 0
		.amdhsa_workgroup_processor_mode 1
		.amdhsa_memory_ordered 1
		.amdhsa_forward_progress 0
		.amdhsa_shared_vgpr_count 0
		.amdhsa_exception_fp_ieee_invalid_op 0
		.amdhsa_exception_fp_denorm_src 0
		.amdhsa_exception_fp_ieee_div_zero 0
		.amdhsa_exception_fp_ieee_overflow 0
		.amdhsa_exception_fp_ieee_underflow 0
		.amdhsa_exception_fp_ieee_inexact 0
		.amdhsa_exception_int_div_zero 0
	.end_amdhsa_kernel
	.section	.text._Z14rdwdot3_kernelIdEvPKT_S2_PS0_S0_S2_,"axG",@progbits,_Z14rdwdot3_kernelIdEvPKT_S2_PS0_S0_S2_,comdat
.Lfunc_end48:
	.size	_Z14rdwdot3_kernelIdEvPKT_S2_PS0_S0_S2_, .Lfunc_end48-_Z14rdwdot3_kernelIdEvPKT_S2_PS0_S0_S2_
                                        ; -- End function
	.section	.AMDGPU.csdata,"",@progbits
; Kernel info:
; codeLenInByte = 9024
; NumSgprs: 32
; NumVgprs: 23
; ScratchSize: 0
; MemoryBound: 0
; FloatMode: 240
; IeeeMode: 1
; LDSByteSize: 0 bytes/workgroup (compile time only)
; SGPRBlocks: 3
; VGPRBlocks: 2
; NumSGPRsForWavesPerEU: 32
; NumVGPRsForWavesPerEU: 23
; Occupancy: 16
; WaveLimiterHint : 0
; COMPUTE_PGM_RSRC2:SCRATCH_EN: 0
; COMPUTE_PGM_RSRC2:USER_SGPR: 15
; COMPUTE_PGM_RSRC2:TRAP_HANDLER: 0
; COMPUTE_PGM_RSRC2:TGID_X_EN: 1
; COMPUTE_PGM_RSRC2:TGID_Y_EN: 0
; COMPUTE_PGM_RSRC2:TGID_Z_EN: 0
; COMPUTE_PGM_RSRC2:TIDIG_COMP_CNT: 0
	.section	.text._Z14rdwdot6_kernelIdEvPKT_S2_PS0_S0_S2_,"axG",@progbits,_Z14rdwdot6_kernelIdEvPKT_S2_PS0_S0_S2_,comdat
	.protected	_Z14rdwdot6_kernelIdEvPKT_S2_PS0_S0_S2_ ; -- Begin function _Z14rdwdot6_kernelIdEvPKT_S2_PS0_S0_S2_
	.globl	_Z14rdwdot6_kernelIdEvPKT_S2_PS0_S0_S2_
	.p2align	8
	.type	_Z14rdwdot6_kernelIdEvPKT_S2_PS0_S0_S2_,@function
_Z14rdwdot6_kernelIdEvPKT_S2_PS0_S0_S2_: ; @_Z14rdwdot6_kernelIdEvPKT_S2_PS0_S0_S2_
; %bb.0:
	s_clause 0x3
	s_load_b32 s2, s[0:1], 0x34
	s_load_b32 s3, s[0:1], 0x28
	s_load_b256 s[4:11], s[0:1], 0x0
	s_load_b64 s[0:1], s[0:1], 0x20
	s_waitcnt lgkmcnt(0)
	s_and_b32 s12, s2, 0xffff
	s_delay_alu instid0(SALU_CYCLE_1)
	s_mul_i32 s2, s3, s12
	s_mul_i32 s15, s15, s12
	s_mul_i32 s3, s2, 28
	s_lshl_b32 s12, s2, 1
	v_add3_u32 v0, s3, s15, v0
	v_mov_b32_e32 v1, 0
	s_mul_i32 s3, s2, 5
	s_lshl_b32 s13, s2, 2
	s_mul_i32 s14, s2, 7
	s_delay_alu instid0(VALU_DEP_1) | instskip(SKIP_1) | instid1(VALU_DEP_1)
	v_lshlrev_b64 v[2:3], 3, v[0:1]
	v_add_nc_u32_e32 v0, s2, v0
	v_lshlrev_b64 v[4:5], 3, v[0:1]
	s_delay_alu instid0(VALU_DEP_3) | instskip(NEXT) | instid1(VALU_DEP_4)
	v_add_co_u32 v6, vcc_lo, s4, v2
	v_add_co_ci_u32_e32 v7, vcc_lo, s5, v3, vcc_lo
	v_add_co_u32 v2, vcc_lo, s6, v2
	v_add_co_ci_u32_e32 v3, vcc_lo, s7, v3, vcc_lo
	;; [unrolled: 2-line block ×4, first 2 shown]
	global_load_b64 v[6:7], v[6:7], off
	global_load_b64 v[2:3], v[2:3], off
	;; [unrolled: 1-line block ×4, first 2 shown]
	v_add_nc_u32_e32 v0, s2, v0
	s_delay_alu instid0(VALU_DEP_1) | instskip(SKIP_1) | instid1(VALU_DEP_2)
	v_lshlrev_b64 v[10:11], 3, v[0:1]
	v_add_nc_u32_e32 v0, s2, v0
	v_add_co_u32 v12, vcc_lo, s4, v10
	s_delay_alu instid0(VALU_DEP_3)
	v_add_co_ci_u32_e32 v13, vcc_lo, s5, v11, vcc_lo
	v_add_co_u32 v10, vcc_lo, s6, v10
	v_add_co_ci_u32_e32 v11, vcc_lo, s7, v11, vcc_lo
	global_load_b64 v[12:13], v[12:13], off
	global_load_b64 v[10:11], v[10:11], off
	v_lshlrev_b64 v[14:15], 3, v[0:1]
	v_add_nc_u32_e32 v0, s2, v0
	s_delay_alu instid0(VALU_DEP_2) | instskip(NEXT) | instid1(VALU_DEP_3)
	v_add_co_u32 v16, vcc_lo, s4, v14
	v_add_co_ci_u32_e32 v17, vcc_lo, s5, v15, vcc_lo
	v_add_co_u32 v14, vcc_lo, s6, v14
	v_add_co_ci_u32_e32 v15, vcc_lo, s7, v15, vcc_lo
	global_load_b64 v[16:17], v[16:17], off
	global_load_b64 v[14:15], v[14:15], off
	v_lshlrev_b64 v[18:19], 3, v[0:1]
	v_add_nc_u32_e32 v0, s2, v0
	s_delay_alu instid0(VALU_DEP_2) | instskip(NEXT) | instid1(VALU_DEP_3)
	v_add_co_u32 v20, vcc_lo, s4, v18
	;; [unrolled: 9-line block ×7, first 2 shown]
	v_add_co_ci_u32_e32 v41, vcc_lo, s5, v39, vcc_lo
	v_add_co_u32 v38, vcc_lo, s6, v38
	v_add_co_ci_u32_e32 v39, vcc_lo, s7, v39, vcc_lo
	global_load_b64 v[40:41], v[40:41], off
	global_load_b64 v[38:39], v[38:39], off
	s_waitcnt vmcnt(18)
	v_add_f64 v[2:3], v[6:7], -v[2:3]
	v_lshlrev_b64 v[6:7], 3, v[0:1]
	s_waitcnt vmcnt(16)
	v_add_f64 v[4:5], v[8:9], -v[4:5]
	v_add_nc_u32_e32 v0, s2, v0
	s_delay_alu instid0(VALU_DEP_3) | instskip(NEXT) | instid1(VALU_DEP_4)
	v_add_co_u32 v8, vcc_lo, s4, v6
	v_add_co_ci_u32_e32 v9, vcc_lo, s5, v7, vcc_lo
	v_add_co_u32 v6, vcc_lo, s6, v6
	v_add_co_ci_u32_e32 v7, vcc_lo, s7, v7, vcc_lo
	global_load_b64 v[42:43], v[8:9], off
	global_load_b64 v[44:45], v[6:7], off
	v_lshlrev_b64 v[6:7], 3, v[0:1]
	v_add_nc_u32_e32 v0, s2, v0
	s_waitcnt vmcnt(16)
	v_add_f64 v[8:9], v[12:13], -v[10:11]
	s_delay_alu instid0(VALU_DEP_3) | instskip(NEXT) | instid1(VALU_DEP_4)
	v_add_co_u32 v12, vcc_lo, s4, v6
	v_add_co_ci_u32_e32 v13, vcc_lo, s5, v7, vcc_lo
	v_add_co_u32 v6, vcc_lo, s6, v6
	v_add_co_ci_u32_e32 v7, vcc_lo, s7, v7, vcc_lo
	global_load_b64 v[12:13], v[12:13], off
	global_load_b64 v[46:47], v[6:7], off
	v_mad_u64_u32 v[48:49], null, s2, 9, v[0:1]
	v_mov_b32_e32 v49, v1
	v_add_f64 v[10:11], -v[2:3], -v[4:5]
	s_waitcnt vmcnt(16)
	v_add_f64 v[6:7], v[16:17], -v[14:15]
	v_add_f64 v[2:3], v[2:3], v[4:5]
	s_waitcnt vmcnt(12)
	v_add_f64 v[22:23], v[24:25], -v[22:23]
	s_delay_alu instid0(VALU_DEP_4) | instskip(SKIP_3) | instid1(VALU_DEP_3)
	v_add_f64 v[10:11], v[10:11], -v[8:9]
	v_lshlrev_b64 v[8:9], 3, v[0:1]
	v_add_nc_u32_e32 v0, s3, v48
	v_add_f64 v[2:3], v[2:3], v[6:7]
	v_add_co_u32 v14, vcc_lo, s4, v8
	s_delay_alu instid0(VALU_DEP_4)
	v_add_co_ci_u32_e32 v15, vcc_lo, s5, v9, vcc_lo
	v_add_co_u32 v8, vcc_lo, s6, v8
	v_add_co_ci_u32_e32 v9, vcc_lo, s7, v9, vcc_lo
	global_load_b64 v[14:15], v[14:15], off
	global_load_b64 v[16:17], v[8:9], off
	v_add_f64 v[8:9], v[20:21], -v[18:19]
	v_lshlrev_b64 v[18:19], 3, v[48:49]
	v_lshlrev_b64 v[24:25], 3, v[0:1]
	s_waitcnt vmcnt(12)
	v_add_f64 v[26:27], v[28:29], -v[26:27]
	v_add_nc_u32_e32 v0, s13, v0
	s_delay_alu instid0(VALU_DEP_4)
	v_add_co_u32 v20, vcc_lo, s4, v18
	v_add_co_ci_u32_e32 v21, vcc_lo, s5, v19, vcc_lo
	v_add_co_u32 v18, vcc_lo, s6, v18
	v_add_co_ci_u32_e32 v19, vcc_lo, s7, v19, vcc_lo
	global_load_b64 v[20:21], v[20:21], off
	global_load_b64 v[18:19], v[18:19], off
	v_add_co_u32 v48, vcc_lo, s4, v24
	v_add_f64 v[10:11], v[10:11], -v[6:7]
	v_add_co_ci_u32_e32 v49, vcc_lo, s5, v25, vcc_lo
	v_add_co_u32 v24, vcc_lo, s6, v24
	v_add_co_ci_u32_e32 v25, vcc_lo, s7, v25, vcc_lo
	global_load_b64 v[48:49], v[48:49], off
	global_load_b64 v[24:25], v[24:25], off
	v_add_f64 v[2:3], v[2:3], v[8:9]
	s_waitcnt vmcnt(10)
	v_add_f64 v[38:39], v[40:41], -v[38:39]
	v_add_f64 v[10:11], v[10:11], -v[8:9]
	s_delay_alu instid0(VALU_DEP_1) | instskip(SKIP_2) | instid1(VALU_DEP_2)
	v_add_f64 v[22:23], v[10:11], v[22:23]
	v_lshlrev_b64 v[10:11], 3, v[0:1]
	v_add_nc_u32_e32 v0, s2, v0
	v_add_co_u32 v28, vcc_lo, s4, v10
	s_delay_alu instid0(VALU_DEP_3)
	v_add_co_ci_u32_e32 v29, vcc_lo, s5, v11, vcc_lo
	v_add_co_u32 v10, vcc_lo, s6, v10
	v_add_co_ci_u32_e32 v11, vcc_lo, s7, v11, vcc_lo
	global_load_b64 v[28:29], v[28:29], off
	global_load_b64 v[50:51], v[10:11], off
	v_add_f64 v[10:11], v[32:33], -v[30:31]
	v_add_f64 v[32:33], v[36:37], -v[34:35]
	;; [unrolled: 1-line block ×3, first 2 shown]
	v_lshlrev_b64 v[26:27], 3, v[0:1]
	v_add_nc_u32_e32 v0, s13, v0
	s_delay_alu instid0(VALU_DEP_2) | instskip(NEXT) | instid1(VALU_DEP_3)
	v_add_co_u32 v30, vcc_lo, s4, v26
	v_add_co_ci_u32_e32 v31, vcc_lo, s5, v27, vcc_lo
	v_add_co_u32 v26, vcc_lo, s6, v26
	v_add_co_ci_u32_e32 v27, vcc_lo, s7, v27, vcc_lo
	global_load_b64 v[30:31], v[30:31], off
	global_load_b64 v[26:27], v[26:27], off
	v_lshlrev_b64 v[34:35], 3, v[0:1]
	v_mad_u64_u32 v[52:53], null, s2, 18, v[0:1]
	v_mov_b32_e32 v53, v1
	v_add_f64 v[2:3], v[2:3], -v[10:11]
	s_delay_alu instid0(VALU_DEP_4)
	v_add_co_u32 v36, vcc_lo, s4, v34
	v_add_co_ci_u32_e32 v37, vcc_lo, s5, v35, vcc_lo
	v_add_co_u32 v34, vcc_lo, s6, v34
	v_add_co_ci_u32_e32 v35, vcc_lo, s7, v35, vcc_lo
	global_load_b64 v[36:37], v[36:37], off
	global_load_b64 v[34:35], v[34:35], off
	v_add_nc_u32_e32 v0, s14, v52
	v_add_f64 v[22:23], v[22:23], v[10:11]
	s_delay_alu instid0(VALU_DEP_1) | instskip(SKIP_1) | instid1(VALU_DEP_4)
	v_add_f64 v[22:23], v[22:23], v[32:33]
	v_lshlrev_b64 v[32:33], 3, v[52:53]
	v_mad_u64_u32 v[52:53], null, s2, 13, v[0:1]
	v_mov_b32_e32 v53, v1
	s_delay_alu instid0(VALU_DEP_3) | instskip(NEXT) | instid1(VALU_DEP_4)
	v_add_co_u32 v40, vcc_lo, s4, v32
	v_add_co_ci_u32_e32 v41, vcc_lo, s5, v33, vcc_lo
	v_add_co_u32 v32, vcc_lo, s6, v32
	v_add_co_ci_u32_e32 v33, vcc_lo, s7, v33, vcc_lo
	global_load_b64 v[40:41], v[40:41], off
	global_load_b64 v[32:33], v[32:33], off
	s_waitcnt vmcnt(16)
	v_add_f64 v[42:43], v[42:43], -v[44:45]
	v_add_f64 v[22:23], v[22:23], v[38:39]
	v_lshlrev_b64 v[38:39], 3, v[0:1]
	v_add_nc_u32_e32 v0, s2, v52
	s_delay_alu instid0(VALU_DEP_2) | instskip(NEXT) | instid1(VALU_DEP_3)
	v_add_co_u32 v44, vcc_lo, s4, v38
	v_add_co_ci_u32_e32 v45, vcc_lo, s5, v39, vcc_lo
	v_add_co_u32 v38, vcc_lo, s6, v38
	v_add_co_ci_u32_e32 v39, vcc_lo, s7, v39, vcc_lo
	global_load_b64 v[44:45], v[44:45], off
	global_load_b64 v[38:39], v[38:39], off
	s_waitcnt vmcnt(16)
	v_add_f64 v[12:13], v[12:13], -v[46:47]
	v_add_f64 v[22:23], v[22:23], v[42:43]
	v_lshlrev_b64 v[42:43], 3, v[52:53]
	s_delay_alu instid0(VALU_DEP_1) | instskip(NEXT) | instid1(VALU_DEP_2)
	v_add_co_u32 v46, vcc_lo, s4, v42
	v_add_co_ci_u32_e32 v47, vcc_lo, s5, v43, vcc_lo
	v_add_co_u32 v42, vcc_lo, s6, v42
	v_add_co_ci_u32_e32 v43, vcc_lo, s7, v43, vcc_lo
	global_load_b64 v[46:47], v[46:47], off
	global_load_b64 v[42:43], v[42:43], off
	s_waitcnt vmcnt(16)
	v_add_f64 v[14:15], v[14:15], -v[16:17]
	v_lshlrev_b64 v[16:17], 3, v[0:1]
	v_add_nc_u32_e32 v0, s2, v0
	v_add_f64 v[12:13], v[22:23], v[12:13]
	s_delay_alu instid0(VALU_DEP_3) | instskip(NEXT) | instid1(VALU_DEP_4)
	v_add_co_u32 v22, vcc_lo, s4, v16
	v_add_co_ci_u32_e32 v23, vcc_lo, s5, v17, vcc_lo
	v_add_co_u32 v16, vcc_lo, s6, v16
	v_add_co_ci_u32_e32 v17, vcc_lo, s7, v17, vcc_lo
	global_load_b64 v[22:23], v[22:23], off
	global_load_b64 v[16:17], v[16:17], off
	s_waitcnt vmcnt(16)
	v_add_f64 v[18:19], v[20:21], -v[18:19]
	v_add_f64 v[12:13], v[12:13], v[14:15]
	s_waitcnt vmcnt(14)
	v_add_f64 v[14:15], v[48:49], -v[24:25]
	s_delay_alu instid0(VALU_DEP_2) | instskip(SKIP_2) | instid1(VALU_DEP_2)
	v_add_f64 v[12:13], v[12:13], -v[18:19]
	v_lshlrev_b64 v[18:19], 3, v[0:1]
	v_add_nc_u32_e32 v0, s2, v0
	v_add_co_u32 v20, vcc_lo, s4, v18
	s_delay_alu instid0(VALU_DEP_3)
	v_add_co_ci_u32_e32 v21, vcc_lo, s5, v19, vcc_lo
	v_add_co_u32 v18, vcc_lo, s6, v18
	v_add_co_ci_u32_e32 v19, vcc_lo, s7, v19, vcc_lo
	global_load_b64 v[20:21], v[20:21], off
	global_load_b64 v[18:19], v[18:19], off
	s_waitcnt vmcnt(14)
	v_add_f64 v[24:25], v[28:29], -v[50:51]
	v_add_f64 v[12:13], v[12:13], v[14:15]
	s_waitcnt vmcnt(12)
	v_add_f64 v[14:15], v[30:31], -v[26:27]
	s_delay_alu instid0(VALU_DEP_2) | instskip(SKIP_2) | instid1(VALU_DEP_2)
	v_add_f64 v[24:25], v[12:13], v[24:25]
	v_lshlrev_b64 v[12:13], 3, v[0:1]
	v_add_nc_u32_e32 v0, s2, v0
	v_add_co_u32 v26, vcc_lo, s4, v12
	s_delay_alu instid0(VALU_DEP_3)
	v_add_co_ci_u32_e32 v27, vcc_lo, s5, v13, vcc_lo
	v_add_co_u32 v12, vcc_lo, s6, v12
	v_add_co_ci_u32_e32 v13, vcc_lo, s7, v13, vcc_lo
	global_load_b64 v[26:27], v[26:27], off
	global_load_b64 v[28:29], v[12:13], off
	s_waitcnt vmcnt(12)
	v_add_f64 v[12:13], v[36:37], -v[34:35]
	v_add_f64 v[14:15], v[24:25], v[14:15]
	v_lshlrev_b64 v[24:25], 3, v[0:1]
	v_add_nc_u32_e32 v0, s2, v0
	s_delay_alu instid0(VALU_DEP_2) | instskip(NEXT) | instid1(VALU_DEP_3)
	v_add_co_u32 v30, vcc_lo, s4, v24
	v_add_co_ci_u32_e32 v31, vcc_lo, s5, v25, vcc_lo
	v_add_co_u32 v24, vcc_lo, s6, v24
	v_add_co_ci_u32_e32 v25, vcc_lo, s7, v25, vcc_lo
	global_load_b64 v[30:31], v[30:31], off
	global_load_b64 v[24:25], v[24:25], off
	v_lshlrev_b64 v[34:35], 3, v[0:1]
	v_add_nc_u32_e32 v0, s13, v0
	s_delay_alu instid0(VALU_DEP_2) | instskip(NEXT) | instid1(VALU_DEP_3)
	v_add_co_u32 v36, vcc_lo, s4, v34
	v_add_co_ci_u32_e32 v37, vcc_lo, s5, v35, vcc_lo
	v_add_co_u32 v34, vcc_lo, s6, v34
	v_add_co_ci_u32_e32 v35, vcc_lo, s7, v35, vcc_lo
	global_load_b64 v[36:37], v[36:37], off
	global_load_b64 v[34:35], v[34:35], off
	s_waitcnt vmcnt(14)
	v_add_f64 v[32:33], v[40:41], -v[32:33]
	v_add_f64 v[14:15], v[14:15], v[12:13]
	s_waitcnt vmcnt(12)
	v_add_f64 v[38:39], v[44:45], -v[38:39]
	s_delay_alu instid0(VALU_DEP_2) | instskip(SKIP_2) | instid1(VALU_DEP_2)
	v_add_f64 v[14:15], v[14:15], v[32:33]
	s_waitcnt vmcnt(10)
	v_add_f64 v[32:33], v[46:47], -v[42:43]
	v_add_f64 v[14:15], v[14:15], v[38:39]
	v_lshlrev_b64 v[38:39], 3, v[0:1]
	v_add_nc_u32_e32 v0, s12, v0
	s_lshl_b32 s12, s2, 3
	s_delay_alu instid0(VALU_DEP_2) | instskip(NEXT) | instid1(VALU_DEP_3)
	v_add_co_u32 v40, vcc_lo, s4, v38
	v_add_co_ci_u32_e32 v41, vcc_lo, s5, v39, vcc_lo
	v_add_co_u32 v38, vcc_lo, s6, v38
	v_add_co_ci_u32_e32 v39, vcc_lo, s7, v39, vcc_lo
	global_load_b64 v[40:41], v[40:41], off
	global_load_b64 v[38:39], v[38:39], off
	s_waitcnt vmcnt(10)
	v_add_f64 v[16:17], v[22:23], -v[16:17]
	v_lshlrev_b64 v[22:23], 3, v[0:1]
	v_add_nc_u32_e32 v0, s2, v0
	s_delay_alu instid0(VALU_DEP_1)
	v_lshlrev_b64 v[42:43], 3, v[0:1]
	v_mad_u64_u32 v[46:47], null, s2, 3, v[0:1]
	v_add_f64 v[14:15], v[14:15], v[32:33]
	v_add_co_u32 v32, vcc_lo, s4, v22
	v_add_co_ci_u32_e32 v33, vcc_lo, s5, v23, vcc_lo
	v_add_co_u32 v22, vcc_lo, s6, v22
	v_add_co_ci_u32_e32 v23, vcc_lo, s7, v23, vcc_lo
	global_load_b64 v[32:33], v[32:33], off
	global_load_b64 v[22:23], v[22:23], off
	v_add_co_u32 v44, vcc_lo, s4, v42
	v_add_co_ci_u32_e32 v45, vcc_lo, s5, v43, vcc_lo
	v_add_co_u32 v42, vcc_lo, s6, v42
	v_add_co_ci_u32_e32 v43, vcc_lo, s7, v43, vcc_lo
	global_load_b64 v[44:45], v[44:45], off
	global_load_b64 v[42:43], v[42:43], off
	v_dual_mov_b32 v47, v1 :: v_dual_add_nc_u32 v0, s3, v46
	v_add_f64 v[14:15], v[14:15], v[16:17]
	s_waitcnt vmcnt(12)
	v_add_f64 v[18:19], v[20:21], -v[18:19]
	s_delay_alu instid0(VALU_DEP_2) | instskip(SKIP_3) | instid1(VALU_DEP_3)
	v_add_f64 v[14:15], v[16:17], v[14:15]
	v_lshlrev_b64 v[16:17], 3, v[46:47]
	v_lshlrev_b64 v[46:47], 3, v[0:1]
	v_add_nc_u32_e32 v0, s12, v0
	v_add_co_u32 v20, vcc_lo, s4, v16
	s_delay_alu instid0(VALU_DEP_4)
	v_add_co_ci_u32_e32 v21, vcc_lo, s5, v17, vcc_lo
	v_add_co_u32 v16, vcc_lo, s6, v16
	v_add_co_ci_u32_e32 v17, vcc_lo, s7, v17, vcc_lo
	global_load_b64 v[20:21], v[20:21], off
	global_load_b64 v[16:17], v[16:17], off
	v_add_co_u32 v48, vcc_lo, s4, v46
	v_add_co_ci_u32_e32 v49, vcc_lo, s5, v47, vcc_lo
	v_add_co_u32 v46, vcc_lo, s6, v46
	v_add_co_ci_u32_e32 v47, vcc_lo, s7, v47, vcc_lo
	global_load_b64 v[48:49], v[48:49], off
	global_load_b64 v[46:47], v[46:47], off
	v_add_f64 v[14:15], v[14:15], v[18:19]
	s_waitcnt vmcnt(14)
	v_add_f64 v[26:27], v[26:27], -v[28:29]
	s_delay_alu instid0(VALU_DEP_2) | instskip(SKIP_2) | instid1(VALU_DEP_2)
	v_add_f64 v[14:15], v[18:19], v[14:15]
	v_lshlrev_b64 v[18:19], 3, v[0:1]
	v_add_nc_u32_e32 v0, s14, v0
	v_add_co_u32 v28, vcc_lo, s4, v18
	s_delay_alu instid0(VALU_DEP_3)
	v_add_co_ci_u32_e32 v29, vcc_lo, s5, v19, vcc_lo
	v_add_co_u32 v18, vcc_lo, s6, v18
	v_add_co_ci_u32_e32 v19, vcc_lo, s7, v19, vcc_lo
	global_load_b64 v[28:29], v[28:29], off
	global_load_b64 v[18:19], v[18:19], off
	v_lshlrev_b64 v[50:51], 3, v[0:1]
	v_add_nc_u32_e32 v0, s13, v0
	s_mul_i32 s13, s2, 10
	s_delay_alu instid0(VALU_DEP_1)
	v_lshlrev_b64 v[52:53], 3, v[0:1]
	v_add_nc_u32_e32 v0, s14, v0
	s_waitcnt vmcnt(14)
	v_add_f64 v[24:25], v[30:31], -v[24:25]
	v_add_co_u32 v30, vcc_lo, s4, v50
	v_add_co_ci_u32_e32 v31, vcc_lo, s5, v51, vcc_lo
	v_add_f64 v[14:15], v[14:15], v[26:27]
	v_lshlrev_b64 v[26:27], 3, v[0:1]
	v_add_nc_u32_e32 v0, s13, v0
	v_add_co_u32 v50, vcc_lo, s6, v50
	v_add_co_ci_u32_e32 v51, vcc_lo, s7, v51, vcc_lo
	s_delay_alu instid0(VALU_DEP_3)
	v_mad_u64_u32 v[54:55], null, s2, 15, v[0:1]
	global_load_b64 v[30:31], v[30:31], off
	global_load_b64 v[50:51], v[50:51], off
	v_lshlrev_b64 v[55:56], 3, v[0:1]
	s_waitcnt vmcnt(14)
	v_add_f64 v[34:35], v[36:37], -v[34:35]
	v_add_nc_u32_e32 v0, s13, v54
	s_delay_alu instid0(VALU_DEP_1) | instskip(SKIP_2) | instid1(VALU_DEP_2)
	v_mad_u64_u32 v[57:58], null, 0xffffff4e, s2, v[0:1]
	v_mov_b32_e32 v58, v1
	v_lshlrev_b64 v[62:63], 3, v[0:1]
	v_mad_u64_u32 v[59:60], null, s2, 33, v[57:58]
	v_mov_b32_e32 v60, v1
	s_delay_alu instid0(VALU_DEP_1)
	v_lshlrev_b64 v[36:37], 3, v[59:60]
	v_add_nc_u32_e32 v0, s12, v59
	v_add_f64 v[14:15], v[14:15], v[24:25]
	v_add_co_u32 v24, vcc_lo, s4, v52
	v_add_co_ci_u32_e32 v25, vcc_lo, s5, v53, vcc_lo
	v_add_co_u32 v52, vcc_lo, s6, v52
	v_add_co_ci_u32_e32 v53, vcc_lo, s7, v53, vcc_lo
	;; [unrolled: 2-line block ×4, first 2 shown]
	global_load_b64 v[24:25], v[24:25], off
	global_load_b64 v[52:53], v[52:53], off
	;; [unrolled: 1-line block ×4, first 2 shown]
	v_add_co_u32 v64, vcc_lo, s4, v26
	v_lshlrev_b64 v[66:67], 3, v[0:1]
	v_add_co_ci_u32_e32 v65, vcc_lo, s5, v27, vcc_lo
	v_add_co_u32 v26, vcc_lo, s6, v26
	v_add_co_ci_u32_e32 v27, vcc_lo, s7, v27, vcc_lo
	s_delay_alu instid0(VALU_DEP_4)
	v_add_co_u32 v68, vcc_lo, s4, v66
	v_add_co_ci_u32_e32 v69, vcc_lo, s5, v67, vcc_lo
	v_add_co_u32 v66, vcc_lo, s6, v66
	v_add_co_ci_u32_e32 v67, vcc_lo, s7, v67, vcc_lo
	global_load_b64 v[64:65], v[64:65], off
	global_load_b64 v[26:27], v[26:27], off
	;; [unrolled: 1-line block ×4, first 2 shown]
	v_mad_u64_u32 v[70:71], null, 0x49, s2, v[0:1]
	v_add_f64 v[14:15], v[14:15], v[34:35]
	s_delay_alu instid0(VALU_DEP_2) | instskip(SKIP_2) | instid1(VALU_DEP_3)
	v_dual_mov_b32 v71, v1 :: v_dual_add_nc_u32 v0, s3, v70
	s_waitcnt vmcnt(20)
	v_add_f64 v[38:39], v[40:41], -v[38:39]
	v_add_f64 v[14:15], v[34:35], v[14:15]
	v_add_co_u32 v34, vcc_lo, s4, v55
	v_add_co_ci_u32_e32 v35, vcc_lo, s5, v56, vcc_lo
	v_add_co_u32 v40, vcc_lo, s6, v55
	v_add_co_ci_u32_e32 v41, vcc_lo, s7, v56, vcc_lo
	global_load_b64 v[34:35], v[34:35], off
	global_load_b64 v[40:41], v[40:41], off
	v_mov_b32_e32 v55, v1
	s_delay_alu instid0(VALU_DEP_1) | instskip(SKIP_2) | instid1(VALU_DEP_2)
	v_lshlrev_b64 v[54:55], 3, v[54:55]
	s_waitcnt vmcnt(20)
	v_add_f64 v[22:23], v[32:33], -v[22:23]
	v_add_co_u32 v32, vcc_lo, s4, v54
	s_delay_alu instid0(VALU_DEP_3)
	v_add_co_ci_u32_e32 v33, vcc_lo, s5, v55, vcc_lo
	v_add_co_u32 v54, vcc_lo, s6, v54
	v_add_co_ci_u32_e32 v55, vcc_lo, s7, v55, vcc_lo
	v_add_f64 v[14:15], v[14:15], v[38:39]
	v_lshlrev_b64 v[38:39], 3, v[70:71]
	s_waitcnt vmcnt(18)
	v_add_f64 v[42:43], v[44:45], -v[42:43]
	v_lshlrev_b64 v[44:45], 3, v[0:1]
	s_delay_alu instid0(VALU_DEP_3) | instskip(NEXT) | instid1(VALU_DEP_4)
	v_add_co_u32 v71, vcc_lo, s4, v38
	v_add_co_ci_u32_e32 v72, vcc_lo, s5, v39, vcc_lo
	v_add_co_u32 v38, vcc_lo, s6, v38
	v_add_co_ci_u32_e32 v39, vcc_lo, s7, v39, vcc_lo
	global_load_b64 v[32:33], v[32:33], off
	global_load_b64 v[54:55], v[54:55], off
	;; [unrolled: 1-line block ×4, first 2 shown]
	v_add_f64 v[14:15], v[14:15], v[22:23]
	v_add_co_u32 v22, vcc_lo, s4, v62
	v_add_co_ci_u32_e32 v23, vcc_lo, s5, v63, vcc_lo
	v_add_co_u32 v62, vcc_lo, s6, v62
	v_add_co_ci_u32_e32 v63, vcc_lo, s7, v63, vcc_lo
	;; [unrolled: 2-line block ×4, first 2 shown]
	global_load_b64 v[22:23], v[22:23], off
	global_load_b64 v[62:63], v[62:63], off
	;; [unrolled: 1-line block ×4, first 2 shown]
	s_load_b128 s[4:7], s[0:1], 0x50
	s_waitcnt vmcnt(24)
	v_add_f64 v[16:17], v[20:21], -v[16:17]
	v_add_f64 v[14:15], v[14:15], v[42:43]
	s_waitcnt vmcnt(22)
	v_add_f64 v[4:5], v[48:49], -v[46:47]
	s_delay_alu instid0(VALU_DEP_2) | instskip(SKIP_2) | instid1(VALU_DEP_2)
	v_add_f64 v[14:15], v[14:15], v[16:17]
	s_waitcnt vmcnt(20)
	v_add_f64 v[6:7], v[28:29], -v[18:19]
	v_add_f64 v[4:5], v[14:15], v[4:5]
	s_waitcnt vmcnt(18)
	v_add_f64 v[8:9], v[30:31], -v[50:51]
	s_delay_alu instid0(VALU_DEP_2) | instskip(SKIP_2) | instid1(VALU_DEP_2)
	v_add_f64 v[4:5], v[4:5], v[6:7]
	s_waitcnt vmcnt(16)
	v_add_f64 v[6:7], v[24:25], -v[52:53]
	v_add_f64 v[4:5], v[4:5], v[8:9]
	s_waitcnt vmcnt(14)
	v_add_f64 v[8:9], v[60:61], -v[36:37]
	s_waitcnt vmcnt(12)
	v_add_f64 v[10:11], v[64:65], -v[26:27]
	;; [unrolled: 2-line block ×3, first 2 shown]
	s_delay_alu instid0(VALU_DEP_4) | instskip(NEXT) | instid1(VALU_DEP_4)
	v_add_f64 v[4:5], v[4:5], v[6:7]
	v_add_f64 v[2:3], v[2:3], v[8:9]
	s_waitcnt vmcnt(8)
	v_add_f64 v[6:7], v[34:35], -v[40:41]
	s_delay_alu instid0(VALU_DEP_3) | instskip(NEXT) | instid1(VALU_DEP_3)
	v_add_f64 v[4:5], v[4:5], v[10:11]
	v_add_f64 v[2:3], v[2:3], v[14:15]
	s_waitcnt vmcnt(6)
	v_add_f64 v[8:9], v[32:33], -v[54:55]
	s_waitcnt vmcnt(4)
	v_add_f64 v[10:11], v[71:72], -v[38:39]
	s_delay_alu instid0(VALU_DEP_4) | instskip(NEXT) | instid1(VALU_DEP_4)
	v_add_f64 v[4:5], v[4:5], v[6:7]
	v_add_f64 v[2:3], v[2:3], -v[12:13]
	s_waitcnt vmcnt(2)
	v_add_f64 v[6:7], v[22:23], -v[62:63]
	s_waitcnt vmcnt(0)
	v_add_f64 v[12:13], v[73:74], -v[44:45]
	s_delay_alu instid0(VALU_DEP_4) | instskip(NEXT) | instid1(VALU_DEP_4)
	v_add_f64 v[4:5], v[4:5], v[8:9]
	v_add_f64 v[2:3], v[2:3], v[10:11]
	s_delay_alu instid0(VALU_DEP_2) | instskip(NEXT) | instid1(VALU_DEP_2)
	v_add_f64 v[4:5], v[4:5], v[6:7]
	v_add_f64 v[2:3], v[2:3], v[12:13]
	v_mad_u64_u32 v[6:7], null, 0xffffff8a, s2, v[0:1]
	v_mov_b32_e32 v7, v1
	v_lshlrev_b64 v[0:1], 3, v[57:58]
	s_delay_alu instid0(VALU_DEP_2) | instskip(NEXT) | instid1(VALU_DEP_2)
	v_lshlrev_b64 v[6:7], 3, v[6:7]
	v_add_co_u32 v0, vcc_lo, s8, v0
	s_delay_alu instid0(VALU_DEP_3) | instskip(NEXT) | instid1(VALU_DEP_3)
	v_add_co_ci_u32_e32 v1, vcc_lo, s9, v1, vcc_lo
	v_add_co_u32 v6, vcc_lo, s8, v6
	s_delay_alu instid0(VALU_DEP_4) | instskip(SKIP_3) | instid1(VALU_DEP_2)
	v_add_co_ci_u32_e32 v7, vcc_lo, s9, v7, vcc_lo
	v_mul_f64 v[4:5], v[4:5], s[10:11]
	v_mul_f64 v[2:3], v[2:3], s[10:11]
	s_waitcnt lgkmcnt(0)
	v_mul_f64 v[4:5], s[4:5], v[4:5]
	s_delay_alu instid0(VALU_DEP_2)
	v_mul_f64 v[2:3], s[6:7], v[2:3]
	s_clause 0x1
	global_store_b64 v[0:1], v[4:5], off
	global_store_b64 v[6:7], v[2:3], off
	s_nop 0
	s_sendmsg sendmsg(MSG_DEALLOC_VGPRS)
	s_endpgm
	.section	.rodata,"a",@progbits
	.p2align	6, 0x0
	.amdhsa_kernel _Z14rdwdot6_kernelIdEvPKT_S2_PS0_S0_S2_
		.amdhsa_group_segment_fixed_size 0
		.amdhsa_private_segment_fixed_size 0
		.amdhsa_kernarg_size 296
		.amdhsa_user_sgpr_count 15
		.amdhsa_user_sgpr_dispatch_ptr 0
		.amdhsa_user_sgpr_queue_ptr 0
		.amdhsa_user_sgpr_kernarg_segment_ptr 1
		.amdhsa_user_sgpr_dispatch_id 0
		.amdhsa_user_sgpr_private_segment_size 0
		.amdhsa_wavefront_size32 1
		.amdhsa_uses_dynamic_stack 0
		.amdhsa_enable_private_segment 0
		.amdhsa_system_sgpr_workgroup_id_x 1
		.amdhsa_system_sgpr_workgroup_id_y 0
		.amdhsa_system_sgpr_workgroup_id_z 0
		.amdhsa_system_sgpr_workgroup_info 0
		.amdhsa_system_vgpr_workitem_id 0
		.amdhsa_next_free_vgpr 75
		.amdhsa_next_free_sgpr 16
		.amdhsa_reserve_vcc 1
		.amdhsa_float_round_mode_32 0
		.amdhsa_float_round_mode_16_64 0
		.amdhsa_float_denorm_mode_32 3
		.amdhsa_float_denorm_mode_16_64 3
		.amdhsa_dx10_clamp 1
		.amdhsa_ieee_mode 1
		.amdhsa_fp16_overflow 0
		.amdhsa_workgroup_processor_mode 1
		.amdhsa_memory_ordered 1
		.amdhsa_forward_progress 0
		.amdhsa_shared_vgpr_count 0
		.amdhsa_exception_fp_ieee_invalid_op 0
		.amdhsa_exception_fp_denorm_src 0
		.amdhsa_exception_fp_ieee_div_zero 0
		.amdhsa_exception_fp_ieee_overflow 0
		.amdhsa_exception_fp_ieee_underflow 0
		.amdhsa_exception_fp_ieee_inexact 0
		.amdhsa_exception_int_div_zero 0
	.end_amdhsa_kernel
	.section	.text._Z14rdwdot6_kernelIdEvPKT_S2_PS0_S0_S2_,"axG",@progbits,_Z14rdwdot6_kernelIdEvPKT_S2_PS0_S0_S2_,comdat
.Lfunc_end49:
	.size	_Z14rdwdot6_kernelIdEvPKT_S2_PS0_S0_S2_, .Lfunc_end49-_Z14rdwdot6_kernelIdEvPKT_S2_PS0_S0_S2_
                                        ; -- End function
	.section	.AMDGPU.csdata,"",@progbits
; Kernel info:
; codeLenInByte = 3604
; NumSgprs: 18
; NumVgprs: 75
; ScratchSize: 0
; MemoryBound: 0
; FloatMode: 240
; IeeeMode: 1
; LDSByteSize: 0 bytes/workgroup (compile time only)
; SGPRBlocks: 2
; VGPRBlocks: 9
; NumSGPRsForWavesPerEU: 18
; NumVGPRsForWavesPerEU: 75
; Occupancy: 16
; WaveLimiterHint : 0
; COMPUTE_PGM_RSRC2:SCRATCH_EN: 0
; COMPUTE_PGM_RSRC2:USER_SGPR: 15
; COMPUTE_PGM_RSRC2:TRAP_HANDLER: 0
; COMPUTE_PGM_RSRC2:TGID_X_EN: 1
; COMPUTE_PGM_RSRC2:TGID_Y_EN: 0
; COMPUTE_PGM_RSRC2:TGID_Z_EN: 0
; COMPUTE_PGM_RSRC2:TIDIG_COMP_CNT: 0
	.section	.text._Z14rdwdot7_kernelIdEvPKT_S2_PS0_S0_S2_,"axG",@progbits,_Z14rdwdot7_kernelIdEvPKT_S2_PS0_S0_S2_,comdat
	.protected	_Z14rdwdot7_kernelIdEvPKT_S2_PS0_S0_S2_ ; -- Begin function _Z14rdwdot7_kernelIdEvPKT_S2_PS0_S0_S2_
	.globl	_Z14rdwdot7_kernelIdEvPKT_S2_PS0_S0_S2_
	.p2align	8
	.type	_Z14rdwdot7_kernelIdEvPKT_S2_PS0_S0_S2_,@function
_Z14rdwdot7_kernelIdEvPKT_S2_PS0_S0_S2_: ; @_Z14rdwdot7_kernelIdEvPKT_S2_PS0_S0_S2_
; %bb.0:
	s_clause 0x3
	s_load_b32 s2, s[0:1], 0x34
	s_load_b32 s3, s[0:1], 0x28
	s_load_b256 s[4:11], s[0:1], 0x0
	s_load_b64 s[0:1], s[0:1], 0x20
	s_waitcnt lgkmcnt(0)
	s_and_b32 s12, s2, 0xffff
	s_delay_alu instid0(SALU_CYCLE_1)
	s_mul_i32 s2, s3, s12
	s_mul_i32 s15, s15, s12
	;; [unrolled: 1-line block ×4, first 2 shown]
	v_add3_u32 v0, s3, s15, v0
	v_mov_b32_e32 v1, 0
	s_lshl_b32 s3, s2, 1
	s_mul_i32 s13, s2, 7
	s_lshl_b32 s14, s2, 3
	s_delay_alu instid0(VALU_DEP_1) | instskip(SKIP_1) | instid1(VALU_DEP_1)
	v_lshlrev_b64 v[2:3], 3, v[0:1]
	v_add_nc_u32_e32 v0, s2, v0
	v_mad_u64_u32 v[10:11], null, s2, 15, v[0:1]
	v_lshlrev_b64 v[4:5], 3, v[0:1]
	s_delay_alu instid0(VALU_DEP_4)
	v_add_co_u32 v6, vcc_lo, s4, v2
	v_mov_b32_e32 v11, v1
	v_add_co_ci_u32_e32 v7, vcc_lo, s5, v3, vcc_lo
	v_add_co_u32 v2, vcc_lo, s6, v2
	v_add_co_ci_u32_e32 v3, vcc_lo, s7, v3, vcc_lo
	v_add_co_u32 v8, vcc_lo, s4, v4
	v_lshlrev_b64 v[11:12], 3, v[10:11]
	v_add_co_ci_u32_e32 v9, vcc_lo, s5, v5, vcc_lo
	v_add_co_u32 v4, vcc_lo, s6, v4
	v_add_co_ci_u32_e32 v5, vcc_lo, s7, v5, vcc_lo
	s_delay_alu instid0(VALU_DEP_4)
	v_add_co_u32 v13, vcc_lo, s4, v11
	v_add_co_ci_u32_e32 v14, vcc_lo, s5, v12, vcc_lo
	v_add_co_u32 v11, vcc_lo, s6, v11
	v_add_co_ci_u32_e32 v12, vcc_lo, s7, v12, vcc_lo
	global_load_b64 v[6:7], v[6:7], off
	global_load_b64 v[2:3], v[2:3], off
	;; [unrolled: 1-line block ×6, first 2 shown]
	s_waitcnt vmcnt(4)
	v_add_f64 v[2:3], v[6:7], -v[2:3]
	s_waitcnt vmcnt(2)
	v_add_f64 v[4:5], v[8:9], -v[4:5]
	s_waitcnt vmcnt(0)
	v_mad_u64_u32 v[15:16], null, s2, 14, v[10:11]
	v_mov_b32_e32 v16, v1
	v_add_f64 v[10:11], v[13:14], -v[11:12]
	s_delay_alu instid0(VALU_DEP_3) | instskip(NEXT) | instid1(VALU_DEP_3)
	v_add_nc_u32_e32 v0, s2, v15
	v_lshlrev_b64 v[16:17], 3, v[15:16]
	s_delay_alu instid0(VALU_DEP_2) | instskip(SKIP_1) | instid1(VALU_DEP_3)
	v_lshlrev_b64 v[20:21], 3, v[0:1]
	v_add_nc_u32_e32 v0, s2, v0
	v_add_co_u32 v18, vcc_lo, s4, v16
	s_delay_alu instid0(VALU_DEP_4)
	v_add_co_ci_u32_e32 v19, vcc_lo, s5, v17, vcc_lo
	v_add_co_u32 v16, vcc_lo, s6, v16
	v_add_co_ci_u32_e32 v17, vcc_lo, s7, v17, vcc_lo
	global_load_b64 v[18:19], v[18:19], off
	global_load_b64 v[16:17], v[16:17], off
	v_add_co_u32 v22, vcc_lo, s4, v20
	v_add_co_ci_u32_e32 v23, vcc_lo, s5, v21, vcc_lo
	v_add_co_u32 v20, vcc_lo, s6, v20
	v_add_co_ci_u32_e32 v21, vcc_lo, s7, v21, vcc_lo
	global_load_b64 v[22:23], v[22:23], off
	global_load_b64 v[20:21], v[20:21], off
	v_lshlrev_b64 v[24:25], 3, v[0:1]
	v_add_nc_u32_e32 v0, s2, v0
	v_add_f64 v[4:5], v[2:3], v[4:5]
	s_delay_alu instid0(VALU_DEP_3) | instskip(NEXT) | instid1(VALU_DEP_4)
	v_add_co_u32 v26, vcc_lo, s4, v24
	v_add_co_ci_u32_e32 v27, vcc_lo, s5, v25, vcc_lo
	v_add_co_u32 v24, vcc_lo, s6, v24
	v_add_co_ci_u32_e32 v25, vcc_lo, s7, v25, vcc_lo
	global_load_b64 v[26:27], v[26:27], off
	global_load_b64 v[24:25], v[24:25], off
	v_lshlrev_b64 v[28:29], 3, v[0:1]
	v_add_nc_u32_e32 v0, s2, v0
	s_delay_alu instid0(VALU_DEP_2) | instskip(NEXT) | instid1(VALU_DEP_3)
	v_add_co_u32 v30, vcc_lo, s4, v28
	v_add_co_ci_u32_e32 v31, vcc_lo, s5, v29, vcc_lo
	v_add_co_u32 v28, vcc_lo, s6, v28
	v_add_co_ci_u32_e32 v29, vcc_lo, s7, v29, vcc_lo
	global_load_b64 v[30:31], v[30:31], off
	global_load_b64 v[28:29], v[28:29], off
	v_lshlrev_b64 v[32:33], 3, v[0:1]
	v_add_nc_u32_e32 v0, s2, v0
	s_delay_alu instid0(VALU_DEP_2) | instskip(NEXT) | instid1(VALU_DEP_3)
	v_add_co_u32 v34, vcc_lo, s4, v32
	v_add_co_ci_u32_e32 v35, vcc_lo, s5, v33, vcc_lo
	v_add_co_u32 v32, vcc_lo, s6, v32
	v_add_co_ci_u32_e32 v33, vcc_lo, s7, v33, vcc_lo
	global_load_b64 v[34:35], v[34:35], off
	global_load_b64 v[32:33], v[32:33], off
	v_lshlrev_b64 v[36:37], 3, v[0:1]
	v_add_nc_u32_e32 v0, s2, v0
	v_add_f64 v[4:5], v[4:5], v[10:11]
	s_delay_alu instid0(VALU_DEP_3) | instskip(NEXT) | instid1(VALU_DEP_4)
	v_add_co_u32 v38, vcc_lo, s4, v36
	v_add_co_ci_u32_e32 v39, vcc_lo, s5, v37, vcc_lo
	v_add_co_u32 v36, vcc_lo, s6, v36
	v_add_co_ci_u32_e32 v37, vcc_lo, s7, v37, vcc_lo
	global_load_b64 v[38:39], v[38:39], off
	global_load_b64 v[36:37], v[36:37], off
	v_lshlrev_b64 v[40:41], 3, v[0:1]
	v_add_nc_u32_e32 v0, s2, v0
	s_delay_alu instid0(VALU_DEP_2) | instskip(NEXT) | instid1(VALU_DEP_3)
	v_add_co_u32 v42, vcc_lo, s4, v40
	v_add_co_ci_u32_e32 v43, vcc_lo, s5, v41, vcc_lo
	v_add_co_u32 v40, vcc_lo, s6, v40
	v_add_co_ci_u32_e32 v41, vcc_lo, s7, v41, vcc_lo
	global_load_b64 v[42:43], v[42:43], off
	global_load_b64 v[40:41], v[40:41], off
	v_lshlrev_b64 v[6:7], 3, v[0:1]
	v_add_nc_u32_e32 v0, s2, v0
	s_delay_alu instid0(VALU_DEP_2) | instskip(NEXT) | instid1(VALU_DEP_3)
	;; [unrolled: 9-line block ×3, first 2 shown]
	v_add_co_u32 v12, vcc_lo, s4, v2
	v_add_co_ci_u32_e32 v13, vcc_lo, s5, v3, vcc_lo
	v_add_co_u32 v2, vcc_lo, s6, v2
	v_add_co_ci_u32_e32 v3, vcc_lo, s7, v3, vcc_lo
	global_load_b64 v[12:13], v[12:13], off
	global_load_b64 v[14:15], v[2:3], off
	v_lshlrev_b64 v[10:11], 3, v[0:1]
	v_add_nc_u32_e32 v0, s2, v0
	s_waitcnt vmcnt(16)
	v_add_f64 v[2:3], v[18:19], -v[16:17]
	s_delay_alu instid0(VALU_DEP_3) | instskip(NEXT) | instid1(VALU_DEP_4)
	v_add_co_u32 v16, vcc_lo, s4, v10
	v_add_co_ci_u32_e32 v17, vcc_lo, s5, v11, vcc_lo
	v_add_co_u32 v10, vcc_lo, s6, v10
	v_add_co_ci_u32_e32 v11, vcc_lo, s7, v11, vcc_lo
	global_load_b64 v[16:17], v[16:17], off
	global_load_b64 v[10:11], v[10:11], off
	s_waitcnt vmcnt(16)
	v_add_f64 v[18:19], v[22:23], -v[20:21]
	v_lshlrev_b64 v[20:21], 3, v[0:1]
	v_add_nc_u32_e32 v0, s2, v0
	s_delay_alu instid0(VALU_DEP_2) | instskip(NEXT) | instid1(VALU_DEP_3)
	v_add_co_u32 v22, vcc_lo, s4, v20
	v_add_co_ci_u32_e32 v23, vcc_lo, s5, v21, vcc_lo
	v_add_co_u32 v20, vcc_lo, s6, v20
	v_add_co_ci_u32_e32 v21, vcc_lo, s7, v21, vcc_lo
	global_load_b64 v[22:23], v[22:23], off
	global_load_b64 v[20:21], v[20:21], off
	s_waitcnt vmcnt(16)
	v_add_f64 v[24:25], v[26:27], -v[24:25]
	v_add_f64 v[4:5], v[4:5], -v[2:3]
	s_waitcnt vmcnt(14)
	v_add_f64 v[28:29], v[30:31], -v[28:29]
	s_waitcnt vmcnt(12)
	v_add_f64 v[32:33], v[34:35], -v[32:33]
	s_delay_alu instid0(VALU_DEP_3) | instskip(SKIP_4) | instid1(VALU_DEP_3)
	v_add_f64 v[4:5], v[4:5], -v[18:19]
	v_lshlrev_b64 v[18:19], 3, v[0:1]
	v_add_nc_u32_e32 v0, s2, v0
	s_waitcnt vmcnt(10)
	v_add_f64 v[36:37], v[38:39], -v[36:37]
	v_add_co_u32 v26, vcc_lo, s4, v18
	s_delay_alu instid0(VALU_DEP_4)
	v_add_co_ci_u32_e32 v27, vcc_lo, s5, v19, vcc_lo
	v_add_co_u32 v18, vcc_lo, s6, v18
	v_add_co_ci_u32_e32 v19, vcc_lo, s7, v19, vcc_lo
	global_load_b64 v[26:27], v[26:27], off
	global_load_b64 v[18:19], v[18:19], off
	s_waitcnt vmcnt(8)
	v_add_f64 v[8:9], v[8:9], -v[6:7]
	v_add_f64 v[4:5], v[4:5], -v[24:25]
	v_lshlrev_b64 v[24:25], 3, v[0:1]
	v_add_nc_u32_e32 v0, s2, v0
	s_delay_alu instid0(VALU_DEP_2) | instskip(NEXT) | instid1(VALU_DEP_3)
	v_add_co_u32 v30, vcc_lo, s4, v24
	v_add_co_ci_u32_e32 v31, vcc_lo, s5, v25, vcc_lo
	v_add_co_u32 v24, vcc_lo, s6, v24
	v_add_co_ci_u32_e32 v25, vcc_lo, s7, v25, vcc_lo
	global_load_b64 v[30:31], v[30:31], off
	global_load_b64 v[24:25], v[24:25], off
	s_waitcnt vmcnt(8)
	v_add_f64 v[6:7], v[12:13], -v[14:15]
	v_add_f64 v[4:5], v[4:5], -v[28:29]
	v_lshlrev_b64 v[28:29], 3, v[0:1]
	v_add_nc_u32_e32 v0, s2, v0
	s_delay_alu instid0(VALU_DEP_2) | instskip(NEXT) | instid1(VALU_DEP_3)
	v_add_co_u32 v34, vcc_lo, s4, v28
	v_add_co_ci_u32_e32 v35, vcc_lo, s5, v29, vcc_lo
	v_add_co_u32 v28, vcc_lo, s6, v28
	v_add_co_ci_u32_e32 v29, vcc_lo, s7, v29, vcc_lo
	global_load_b64 v[34:35], v[34:35], off
	global_load_b64 v[28:29], v[28:29], off
	v_add_f64 v[32:33], v[4:5], -v[32:33]
	v_lshlrev_b64 v[4:5], 3, v[0:1]
	v_add_nc_u32_e32 v0, s2, v0
	s_delay_alu instid0(VALU_DEP_2) | instskip(NEXT) | instid1(VALU_DEP_3)
	v_add_co_u32 v38, vcc_lo, s4, v4
	v_add_co_ci_u32_e32 v39, vcc_lo, s5, v5, vcc_lo
	v_add_co_u32 v4, vcc_lo, s6, v4
	v_add_co_ci_u32_e32 v5, vcc_lo, s7, v5, vcc_lo
	global_load_b64 v[38:39], v[38:39], off
	global_load_b64 v[44:45], v[4:5], off
	v_add_f64 v[4:5], v[42:43], -v[40:41]
	v_add_f64 v[32:33], v[32:33], -v[36:37]
	v_lshlrev_b64 v[36:37], 3, v[0:1]
	v_add_nc_u32_e32 v0, s2, v0
	s_delay_alu instid0(VALU_DEP_2) | instskip(NEXT) | instid1(VALU_DEP_3)
	v_add_co_u32 v40, vcc_lo, s4, v36
	v_add_co_ci_u32_e32 v41, vcc_lo, s5, v37, vcc_lo
	v_add_co_u32 v36, vcc_lo, s6, v36
	v_add_co_ci_u32_e32 v37, vcc_lo, s7, v37, vcc_lo
	global_load_b64 v[40:41], v[40:41], off
	global_load_b64 v[36:37], v[36:37], off
	v_lshlrev_b64 v[12:13], 3, v[0:1]
	v_add_nc_u32_e32 v0, s2, v0
	v_add_f64 v[2:3], v[2:3], v[4:5]
	s_delay_alu instid0(VALU_DEP_3) | instskip(NEXT) | instid1(VALU_DEP_4)
	v_add_co_u32 v14, vcc_lo, s4, v12
	v_add_co_ci_u32_e32 v15, vcc_lo, s5, v13, vcc_lo
	v_add_co_u32 v12, vcc_lo, s6, v12
	v_add_co_ci_u32_e32 v13, vcc_lo, s7, v13, vcc_lo
	global_load_b64 v[14:15], v[14:15], off
	global_load_b64 v[12:13], v[12:13], off
	v_add_f64 v[32:33], v[32:33], -v[4:5]
	v_add_f64 v[2:3], v[2:3], v[6:7]
	s_delay_alu instid0(VALU_DEP_2) | instskip(SKIP_2) | instid1(VALU_DEP_2)
	v_add_f64 v[8:9], v[32:33], -v[8:9]
	s_waitcnt vmcnt(14)
	v_add_f64 v[10:11], v[16:17], -v[10:11]
	v_add_f64 v[16:17], v[8:9], -v[6:7]
	s_waitcnt vmcnt(12)
	v_add_f64 v[8:9], v[22:23], -v[20:21]
	s_delay_alu instid0(VALU_DEP_2) | instskip(SKIP_2) | instid1(VALU_DEP_2)
	v_add_f64 v[10:11], v[16:17], -v[10:11]
	v_lshlrev_b64 v[16:17], 3, v[0:1]
	v_add_nc_u32_e32 v0, s3, v0
	v_add_co_u32 v20, vcc_lo, s4, v16
	s_delay_alu instid0(VALU_DEP_3)
	v_add_co_ci_u32_e32 v21, vcc_lo, s5, v17, vcc_lo
	v_add_co_u32 v16, vcc_lo, s6, v16
	v_add_co_ci_u32_e32 v17, vcc_lo, s7, v17, vcc_lo
	global_load_b64 v[20:21], v[20:21], off
	global_load_b64 v[16:17], v[16:17], off
	v_add_f64 v[2:3], v[2:3], v[8:9]
	s_waitcnt vmcnt(12)
	v_add_f64 v[18:19], v[26:27], -v[18:19]
	v_add_f64 v[22:23], v[10:11], -v[8:9]
	v_lshlrev_b64 v[10:11], 3, v[0:1]
	v_add_nc_u32_e32 v0, s12, v0
	s_delay_alu instid0(VALU_DEP_2) | instskip(NEXT) | instid1(VALU_DEP_3)
	v_add_co_u32 v26, vcc_lo, s4, v10
	v_add_co_ci_u32_e32 v27, vcc_lo, s5, v11, vcc_lo
	v_add_co_u32 v10, vcc_lo, s6, v10
	v_add_co_ci_u32_e32 v11, vcc_lo, s7, v11, vcc_lo
	global_load_b64 v[26:27], v[26:27], off
	global_load_b64 v[32:33], v[10:11], off
	s_waitcnt vmcnt(12)
	v_add_f64 v[10:11], v[30:31], -v[24:25]
	v_add_f64 v[18:19], v[22:23], -v[18:19]
	v_lshlrev_b64 v[22:23], 3, v[0:1]
	v_add_nc_u32_e32 v0, s2, v0
	s_delay_alu instid0(VALU_DEP_2) | instskip(NEXT) | instid1(VALU_DEP_3)
	v_add_co_u32 v24, vcc_lo, s4, v22
	v_add_co_ci_u32_e32 v25, vcc_lo, s5, v23, vcc_lo
	v_add_co_u32 v22, vcc_lo, s6, v22
	v_add_co_ci_u32_e32 v23, vcc_lo, s7, v23, vcc_lo
	global_load_b64 v[24:25], v[24:25], off
	global_load_b64 v[22:23], v[22:23], off
	v_lshlrev_b64 v[30:31], 3, v[0:1]
	v_add_nc_u32_e32 v0, s2, v0
	s_waitcnt vmcnt(12)
	v_add_f64 v[28:29], v[34:35], -v[28:29]
	s_delay_alu instid0(VALU_DEP_3) | instskip(NEXT) | instid1(VALU_DEP_4)
	v_add_co_u32 v34, vcc_lo, s4, v30
	v_add_co_ci_u32_e32 v35, vcc_lo, s5, v31, vcc_lo
	v_add_f64 v[18:19], v[18:19], -v[10:11]
	v_add_co_u32 v30, vcc_lo, s6, v30
	v_add_co_ci_u32_e32 v31, vcc_lo, s7, v31, vcc_lo
	global_load_b64 v[34:35], v[34:35], off
	global_load_b64 v[30:31], v[30:31], off
	v_add_f64 v[2:3], v[2:3], v[10:11]
	s_waitcnt vmcnt(12)
	v_add_f64 v[38:39], v[38:39], -v[44:45]
	v_add_f64 v[18:19], v[18:19], -v[28:29]
	v_lshlrev_b64 v[28:29], 3, v[0:1]
	v_add_nc_u32_e32 v0, s3, v0
	s_delay_alu instid0(VALU_DEP_2) | instskip(NEXT) | instid1(VALU_DEP_3)
	v_add_co_u32 v42, vcc_lo, s4, v28
	v_add_co_ci_u32_e32 v43, vcc_lo, s5, v29, vcc_lo
	v_add_co_u32 v28, vcc_lo, s6, v28
	v_add_co_ci_u32_e32 v29, vcc_lo, s7, v29, vcc_lo
	global_load_b64 v[42:43], v[42:43], off
	global_load_b64 v[28:29], v[28:29], off
	s_waitcnt vmcnt(12)
	v_add_f64 v[36:37], v[40:41], -v[36:37]
	v_add_f64 v[18:19], v[18:19], -v[38:39]
	v_lshlrev_b64 v[38:39], 3, v[0:1]
	v_add_nc_u32_e32 v0, s2, v0
	s_delay_alu instid0(VALU_DEP_2) | instskip(NEXT) | instid1(VALU_DEP_3)
	v_add_co_u32 v40, vcc_lo, s4, v38
	v_add_co_ci_u32_e32 v41, vcc_lo, s5, v39, vcc_lo
	v_add_co_u32 v38, vcc_lo, s6, v38
	s_waitcnt vmcnt(10)
	v_add_f64 v[12:13], v[14:15], -v[12:13]
	v_add_co_ci_u32_e32 v39, vcc_lo, s7, v39, vcc_lo
	global_load_b64 v[40:41], v[40:41], off
	global_load_b64 v[38:39], v[38:39], off
	v_add_f64 v[18:19], v[18:19], -v[36:37]
	s_delay_alu instid0(VALU_DEP_1) | instskip(SKIP_1) | instid1(VALU_DEP_1)
	v_add_f64 v[14:15], v[18:19], -v[36:37]
	v_lshlrev_b64 v[18:19], 3, v[0:1]
	v_add_co_u32 v36, vcc_lo, s4, v18
	s_delay_alu instid0(VALU_DEP_2)
	v_add_co_ci_u32_e32 v37, vcc_lo, s5, v19, vcc_lo
	v_add_co_u32 v18, vcc_lo, s6, v18
	v_add_co_ci_u32_e32 v19, vcc_lo, s7, v19, vcc_lo
	global_load_b64 v[36:37], v[36:37], off
	global_load_b64 v[44:45], v[18:19], off
	v_mad_u64_u32 v[18:19], null, s2, 12, v[0:1]
	s_delay_alu instid0(VALU_DEP_1) | instskip(SKIP_3) | instid1(VALU_DEP_2)
	v_dual_mov_b32 v19, v1 :: v_dual_add_nc_u32 v0, s3, v18
	v_add_f64 v[14:15], v[14:15], -v[12:13]
	s_waitcnt vmcnt(12)
	v_add_f64 v[16:17], v[20:21], -v[16:17]
	v_add_f64 v[12:13], v[14:15], -v[12:13]
	v_lshlrev_b64 v[14:15], 3, v[18:19]
	s_delay_alu instid0(VALU_DEP_1) | instskip(NEXT) | instid1(VALU_DEP_2)
	v_add_co_u32 v19, vcc_lo, s4, v14
	v_add_co_ci_u32_e32 v20, vcc_lo, s5, v15, vcc_lo
	v_add_co_u32 v14, vcc_lo, s6, v14
	v_add_co_ci_u32_e32 v15, vcc_lo, s7, v15, vcc_lo
	global_load_b64 v[46:47], v[19:20], off
	global_load_b64 v[48:49], v[14:15], off
	v_lshlrev_b64 v[14:15], 3, v[0:1]
	v_add_nc_u32_e32 v0, s13, v0
	s_waitcnt vmcnt(12)
	v_add_f64 v[18:19], v[26:27], -v[32:33]
	v_add_f64 v[12:13], v[12:13], -v[16:17]
	s_delay_alu instid0(VALU_DEP_4)
	v_add_co_u32 v16, vcc_lo, s4, v14
	v_add_co_ci_u32_e32 v17, vcc_lo, s5, v15, vcc_lo
	v_add_co_u32 v14, vcc_lo, s6, v14
	v_add_co_ci_u32_e32 v15, vcc_lo, s7, v15, vcc_lo
	global_load_b64 v[26:27], v[16:17], off
	global_load_b64 v[32:33], v[14:15], off
	s_waitcnt vmcnt(12)
	v_add_f64 v[14:15], v[24:25], -v[22:23]
	v_add_f64 v[16:17], v[12:13], v[18:19]
	v_lshlrev_b64 v[12:13], 3, v[0:1]
	v_add_nc_u32_e32 v0, s14, v0
	s_delay_alu instid0(VALU_DEP_2) | instskip(NEXT) | instid1(VALU_DEP_3)
	v_add_co_u32 v18, vcc_lo, s4, v12
	v_add_co_ci_u32_e32 v19, vcc_lo, s5, v13, vcc_lo
	v_add_co_u32 v12, vcc_lo, s6, v12
	v_add_co_ci_u32_e32 v13, vcc_lo, s7, v13, vcc_lo
	global_load_b64 v[22:23], v[18:19], off
	global_load_b64 v[24:25], v[12:13], off
	s_waitcnt vmcnt(12)
	v_add_f64 v[12:13], v[34:35], -v[30:31]
	v_add_f64 v[2:3], v[2:3], -v[14:15]
	v_add_f64 v[18:19], v[16:17], v[14:15]
	v_lshlrev_b64 v[16:17], 3, v[0:1]
	v_add_nc_u32_e32 v0, s14, v0
	s_mul_i32 s14, s2, 6
	s_delay_alu instid0(VALU_DEP_2) | instskip(NEXT) | instid1(VALU_DEP_3)
	v_add_co_u32 v20, vcc_lo, s4, v16
	v_add_co_ci_u32_e32 v21, vcc_lo, s5, v17, vcc_lo
	v_add_co_u32 v16, vcc_lo, s6, v16
	v_add_co_ci_u32_e32 v17, vcc_lo, s7, v17, vcc_lo
	global_load_b64 v[30:31], v[20:21], off
	global_load_b64 v[34:35], v[16:17], off
	s_waitcnt vmcnt(12)
	v_add_f64 v[16:17], v[42:43], -v[28:29]
	v_add_f64 v[2:3], v[2:3], -v[12:13]
	v_add_f64 v[20:21], v[18:19], v[12:13]
	v_lshlrev_b64 v[18:19], 3, v[0:1]
	v_add_nc_u32_e32 v0, s2, v0
	s_delay_alu instid0(VALU_DEP_2) | instskip(NEXT) | instid1(VALU_DEP_3)
	v_add_co_u32 v28, vcc_lo, s4, v18
	v_add_co_ci_u32_e32 v29, vcc_lo, s5, v19, vcc_lo
	v_add_co_u32 v18, vcc_lo, s6, v18
	v_add_co_ci_u32_e32 v19, vcc_lo, s7, v19, vcc_lo
	global_load_b64 v[28:29], v[28:29], off
	global_load_b64 v[42:43], v[18:19], off
	s_waitcnt vmcnt(12)
	v_add_f64 v[18:19], v[40:41], -v[38:39]
	v_lshlrev_b64 v[38:39], 3, v[0:1]
	v_add_nc_u32_e32 v0, s2, v0
	v_add_f64 v[2:3], v[2:3], -v[16:17]
	v_add_f64 v[20:21], v[20:21], v[16:17]
	s_delay_alu instid0(VALU_DEP_4)
	v_add_co_u32 v40, vcc_lo, s4, v38
	v_add_co_ci_u32_e32 v41, vcc_lo, s5, v39, vcc_lo
	v_add_co_u32 v38, vcc_lo, s6, v38
	v_add_co_ci_u32_e32 v39, vcc_lo, s7, v39, vcc_lo
	global_load_b64 v[40:41], v[40:41], off
	global_load_b64 v[38:39], v[38:39], off
	v_add_f64 v[50:51], v[20:21], v[18:19]
	v_lshlrev_b64 v[20:21], 3, v[0:1]
	v_add_nc_u32_e32 v0, s2, v0
	s_delay_alu instid0(VALU_DEP_2) | instskip(NEXT) | instid1(VALU_DEP_3)
	v_add_co_u32 v52, vcc_lo, s4, v20
	v_add_co_ci_u32_e32 v53, vcc_lo, s5, v21, vcc_lo
	v_add_co_u32 v20, vcc_lo, s6, v20
	v_add_co_ci_u32_e32 v21, vcc_lo, s7, v21, vcc_lo
	global_load_b64 v[52:53], v[52:53], off
	global_load_b64 v[54:55], v[20:21], off
	s_waitcnt vmcnt(14)
	v_add_f64 v[20:21], v[36:37], -v[44:45]
	v_lshlrev_b64 v[44:45], 3, v[0:1]
	v_add_nc_u32_e32 v0, s3, v0
	v_add_f64 v[36:37], v[18:19], v[50:51]
	s_delay_alu instid0(VALU_DEP_2) | instskip(NEXT) | instid1(VALU_DEP_4)
	v_mad_u64_u32 v[60:61], null, s2, 10, v[0:1]
	v_add_co_u32 v50, vcc_lo, s4, v44
	v_lshlrev_b64 v[56:57], 3, v[0:1]
	v_mov_b32_e32 v61, v1
	v_add_co_ci_u32_e32 v51, vcc_lo, s5, v45, vcc_lo
	v_add_co_u32 v44, vcc_lo, s6, v44
	v_add_co_ci_u32_e32 v45, vcc_lo, s7, v45, vcc_lo
	v_add_co_u32 v58, vcc_lo, s4, v56
	;; [unrolled: 2-line block ×3, first 2 shown]
	v_add_co_ci_u32_e32 v57, vcc_lo, s7, v57, vcc_lo
	global_load_b64 v[50:51], v[50:51], off
	global_load_b64 v[44:45], v[44:45], off
	;; [unrolled: 1-line block ×4, first 2 shown]
	v_add_f64 v[36:37], v[36:37], v[20:21]
	s_waitcnt vmcnt(16)
	v_add_f64 v[46:47], v[46:47], -v[48:49]
	v_lshlrev_b64 v[48:49], 3, v[60:61]
	s_delay_alu instid0(VALU_DEP_3) | instskip(NEXT) | instid1(VALU_DEP_2)
	v_add_f64 v[36:37], v[20:21], v[36:37]
	v_add_co_u32 v61, vcc_lo, s4, v48
	s_delay_alu instid0(VALU_DEP_3)
	v_add_co_ci_u32_e32 v62, vcc_lo, s5, v49, vcc_lo
	v_add_co_u32 v48, vcc_lo, s6, v48
	v_add_co_ci_u32_e32 v49, vcc_lo, s7, v49, vcc_lo
	global_load_b64 v[61:62], v[61:62], off
	global_load_b64 v[48:49], v[48:49], off
	s_waitcnt vmcnt(16)
	v_add_f64 v[26:27], v[26:27], -v[32:33]
	v_add_f64 v[32:33], v[36:37], v[46:47]
	s_waitcnt vmcnt(14)
	v_add_f64 v[22:23], v[22:23], -v[24:25]
	s_delay_alu instid0(VALU_DEP_2) | instskip(SKIP_2) | instid1(VALU_DEP_2)
	v_add_f64 v[24:25], v[32:33], -v[26:27]
	s_waitcnt vmcnt(12)
	v_add_f64 v[30:31], v[30:31], -v[34:35]
	v_add_f64 v[22:23], v[24:25], v[22:23]
	s_waitcnt vmcnt(10)
	v_add_f64 v[28:29], v[28:29], -v[42:43]
	s_delay_alu instid0(VALU_DEP_2) | instskip(SKIP_2) | instid1(VALU_DEP_2)
	v_add_f64 v[22:23], v[22:23], v[30:31]
	s_waitcnt vmcnt(8)
	v_add_f64 v[38:39], v[40:41], -v[38:39]
	v_add_f64 v[22:23], v[22:23], -v[28:29]
	s_waitcnt vmcnt(6)
	v_add_f64 v[4:5], v[52:53], -v[54:55]
	s_delay_alu instid0(VALU_DEP_2) | instskip(SKIP_2) | instid1(VALU_DEP_2)
	v_add_f64 v[22:23], v[22:23], -v[38:39]
	s_waitcnt vmcnt(4)
	v_add_f64 v[6:7], v[50:51], -v[44:45]
	v_add_f64 v[4:5], v[22:23], -v[4:5]
	s_waitcnt vmcnt(2)
	v_add_f64 v[8:9], v[58:59], -v[56:57]
	s_delay_alu instid0(VALU_DEP_2)
	v_add_f64 v[4:5], v[4:5], v[6:7]
	s_waitcnt vmcnt(1)
	v_mad_u64_u32 v[63:64], null, s2, 9, v[60:61]
	v_mov_b32_e32 v64, v1
	s_waitcnt vmcnt(0)
	v_add_f64 v[48:49], v[61:62], -v[48:49]
	s_delay_alu instid0(VALU_DEP_3) | instskip(NEXT) | instid1(VALU_DEP_3)
	v_add_nc_u32_e32 v0, s2, v63
	v_lshlrev_b64 v[36:37], 3, v[63:64]
	v_add_f64 v[4:5], v[4:5], v[8:9]
	s_delay_alu instid0(VALU_DEP_3) | instskip(SKIP_1) | instid1(VALU_DEP_4)
	v_mad_u64_u32 v[46:47], null, s2, 3, v[0:1]
	v_lshlrev_b64 v[63:64], 3, v[0:1]
	v_add_co_u32 v65, vcc_lo, s4, v36
	v_mov_b32_e32 v47, v1
	v_add_co_ci_u32_e32 v66, vcc_lo, s5, v37, vcc_lo
	v_add_nc_u32_e32 v0, s12, v46
	v_add_co_u32 v36, vcc_lo, s6, v36
	v_add_co_ci_u32_e32 v37, vcc_lo, s7, v37, vcc_lo
	s_delay_alu instid0(VALU_DEP_3) | instskip(SKIP_4) | instid1(VALU_DEP_4)
	v_lshlrev_b64 v[67:68], 3, v[0:1]
	v_add_nc_u32_e32 v0, s14, v0
	v_add_co_u32 v32, vcc_lo, s4, v63
	v_lshlrev_b64 v[46:47], 3, v[46:47]
	v_add_co_ci_u32_e32 v33, vcc_lo, s5, v64, vcc_lo
	v_lshlrev_b64 v[69:70], 3, v[0:1]
	v_add_nc_u32_e32 v0, s2, v0
	v_add_co_u32 v63, vcc_lo, s6, v63
	v_add_co_ci_u32_e32 v64, vcc_lo, s7, v64, vcc_lo
	s_delay_alu instid0(VALU_DEP_3) | instskip(SKIP_3) | instid1(VALU_DEP_3)
	v_lshlrev_b64 v[71:72], 3, v[0:1]
	v_add_nc_u32_e32 v0, s13, v0
	v_add_co_u32 v24, vcc_lo, s4, v46
	v_add_co_ci_u32_e32 v25, vcc_lo, s5, v47, vcc_lo
	v_lshlrev_b64 v[73:74], 3, v[0:1]
	v_add_nc_u32_e32 v0, s3, v0
	v_add_co_u32 v46, vcc_lo, s6, v46
	v_add_co_ci_u32_e32 v47, vcc_lo, s7, v47, vcc_lo
	s_delay_alu instid0(VALU_DEP_3)
	v_lshlrev_b64 v[26:27], 3, v[0:1]
	v_add_nc_u32_e32 v0, s12, v0
	global_load_b64 v[65:66], v[65:66], off
	global_load_b64 v[36:37], v[36:37], off
	;; [unrolled: 1-line block ×4, first 2 shown]
	v_add_f64 v[4:5], v[4:5], v[48:49]
	v_lshlrev_b64 v[75:76], 3, v[0:1]
	v_add_nc_u32_e32 v0, s2, v0
	s_delay_alu instid0(VALU_DEP_1) | instskip(SKIP_1) | instid1(VALU_DEP_1)
	v_lshlrev_b64 v[77:78], 3, v[0:1]
	v_add_nc_u32_e32 v0, s14, v0
	v_lshlrev_b64 v[79:80], 3, v[0:1]
	v_add_nc_u32_e32 v0, s2, v0
	s_delay_alu instid0(VALU_DEP_1) | instskip(SKIP_2) | instid1(VALU_DEP_2)
	v_mad_u64_u32 v[81:82], null, 0xffffff3b, s2, v[0:1]
	v_mov_b32_e32 v82, v1
	v_lshlrev_b64 v[16:17], 3, v[0:1]
	v_mad_u64_u32 v[83:84], null, 0x60, s2, v[81:82]
	v_mov_b32_e32 v84, v1
	s_delay_alu instid0(VALU_DEP_1) | instskip(NEXT) | instid1(VALU_DEP_1)
	v_lshlrev_b64 v[34:35], 3, v[83:84]
	v_add_co_u32 v84, vcc_lo, s4, v34
	s_delay_alu instid0(VALU_DEP_2)
	v_add_co_ci_u32_e32 v85, vcc_lo, s5, v35, vcc_lo
	v_add_co_u32 v34, vcc_lo, s6, v34
	v_add_co_ci_u32_e32 v35, vcc_lo, s7, v35, vcc_lo
	global_load_b64 v[24:25], v[24:25], off
	global_load_b64 v[46:47], v[46:47], off
	;; [unrolled: 1-line block ×4, first 2 shown]
	v_add_co_u32 v30, vcc_lo, s4, v67
	v_add_co_ci_u32_e32 v31, vcc_lo, s5, v68, vcc_lo
	v_add_co_u32 v42, vcc_lo, s6, v67
	v_add_co_ci_u32_e32 v43, vcc_lo, s7, v68, vcc_lo
	global_load_b64 v[30:31], v[30:31], off
	global_load_b64 v[42:43], v[42:43], off
	v_add_co_u32 v40, vcc_lo, s4, v69
	v_add_co_ci_u32_e32 v41, vcc_lo, s5, v70, vcc_lo
	v_add_co_u32 v67, vcc_lo, s6, v69
	v_add_co_ci_u32_e32 v68, vcc_lo, s7, v70, vcc_lo
	global_load_b64 v[40:41], v[40:41], off
	global_load_b64 v[67:68], v[67:68], off
	;; [unrolled: 6-line block ×3, first 2 shown]
	v_add_co_u32 v22, vcc_lo, s4, v73
	v_add_co_ci_u32_e32 v23, vcc_lo, s5, v74, vcc_lo
	v_add_co_u32 v50, vcc_lo, s6, v73
	v_add_co_ci_u32_e32 v51, vcc_lo, s7, v74, vcc_lo
	s_waitcnt vmcnt(12)
	v_add_f64 v[36:37], v[65:66], -v[36:37]
	s_waitcnt vmcnt(10)
	v_add_f64 v[32:33], v[32:33], -v[63:64]
	s_delay_alu instid0(VALU_DEP_2)
	v_add_f64 v[4:5], v[4:5], -v[36:37]
	s_waitcnt vmcnt(8)
	v_add_f64 v[24:25], v[24:25], -v[46:47]
	s_waitcnt vmcnt(7)
	v_mad_u64_u32 v[54:55], null, s2, 61, v[83:84]
	v_mov_b32_e32 v55, v1
	s_waitcnt vmcnt(6)
	v_add_f64 v[34:35], v[84:85], -v[34:35]
	s_delay_alu instid0(VALU_DEP_2) | instskip(SKIP_4) | instid1(VALU_DEP_4)
	v_lshlrev_b64 v[44:45], 3, v[54:55]
	v_mad_u64_u32 v[55:56], null, s2, 20, v[54:55]
	v_mov_b32_e32 v56, v1
	s_waitcnt vmcnt(4)
	v_add_f64 v[30:31], v[30:31], -v[42:43]
	v_add_co_u32 v69, vcc_lo, s4, v44
	v_add_co_ci_u32_e32 v70, vcc_lo, s5, v45, vcc_lo
	v_add_co_u32 v44, vcc_lo, s6, v44
	v_add_co_ci_u32_e32 v45, vcc_lo, s7, v45, vcc_lo
	global_load_b64 v[22:23], v[22:23], off
	global_load_b64 v[50:51], v[50:51], off
	;; [unrolled: 1-line block ×4, first 2 shown]
	v_add_co_u32 v6, vcc_lo, s4, v26
	v_add_co_ci_u32_e32 v7, vcc_lo, s5, v27, vcc_lo
	v_add_co_u32 v26, vcc_lo, s6, v26
	v_add_co_ci_u32_e32 v27, vcc_lo, s7, v27, vcc_lo
	global_load_b64 v[6:7], v[6:7], off
	global_load_b64 v[26:27], v[26:27], off
	v_add_co_u32 v8, vcc_lo, s4, v75
	v_add_co_ci_u32_e32 v9, vcc_lo, s5, v76, vcc_lo
	v_add_co_u32 v10, vcc_lo, s6, v75
	v_add_co_ci_u32_e32 v11, vcc_lo, s7, v76, vcc_lo
	global_load_b64 v[8:9], v[8:9], off
	global_load_b64 v[10:11], v[10:11], off
	v_add_co_u32 v14, vcc_lo, s4, v77
	v_lshlrev_b64 v[48:49], 3, v[55:56]
	v_add_co_ci_u32_e32 v15, vcc_lo, s5, v78, vcc_lo
	v_add_co_u32 v56, vcc_lo, s6, v77
	v_add_co_ci_u32_e32 v57, vcc_lo, s7, v78, vcc_lo
	s_delay_alu instid0(VALU_DEP_4)
	v_add_co_u32 v58, vcc_lo, s4, v48
	v_add_co_ci_u32_e32 v59, vcc_lo, s5, v49, vcc_lo
	v_add_co_u32 v48, vcc_lo, s6, v48
	v_add_co_ci_u32_e32 v49, vcc_lo, s7, v49, vcc_lo
	global_load_b64 v[14:15], v[14:15], off
	global_load_b64 v[56:57], v[56:57], off
	;; [unrolled: 1-line block ×4, first 2 shown]
	v_add_co_u32 v12, vcc_lo, s4, v79
	v_add_co_ci_u32_e32 v13, vcc_lo, s5, v80, vcc_lo
	v_add_co_u32 v60, vcc_lo, s6, v79
	v_add_co_ci_u32_e32 v61, vcc_lo, s7, v80, vcc_lo
	global_load_b64 v[12:13], v[12:13], off
	global_load_b64 v[60:61], v[60:61], off
	v_add_f64 v[4:5], v[4:5], -v[32:33]
	v_add_co_u32 v32, vcc_lo, s4, v16
	v_add_co_ci_u32_e32 v33, vcc_lo, s5, v17, vcc_lo
	v_add_co_u32 v16, vcc_lo, s6, v16
	v_add_co_ci_u32_e32 v17, vcc_lo, s7, v17, vcc_lo
	global_load_b64 v[32:33], v[32:33], off
	global_load_b64 v[16:17], v[16:17], off
	v_add_f64 v[2:3], v[2:3], -v[34:35]
	s_load_b128 s[4:7], s[0:1], 0x40
	v_add_f64 v[4:5], v[4:5], v[24:25]
	s_waitcnt vmcnt(18)
	v_add_f64 v[24:25], v[40:41], -v[67:68]
	s_delay_alu instid0(VALU_DEP_3) | instskip(SKIP_2) | instid1(VALU_DEP_4)
	v_add_f64 v[2:3], v[2:3], -v[18:19]
	s_waitcnt vmcnt(16)
	v_add_f64 v[18:19], v[38:39], -v[52:53]
	v_add_f64 v[4:5], v[4:5], v[30:31]
	s_delay_alu instid0(VALU_DEP_3) | instskip(NEXT) | instid1(VALU_DEP_2)
	v_add_f64 v[2:3], v[2:3], -v[20:21]
	v_add_f64 v[4:5], v[4:5], v[24:25]
	s_delay_alu instid0(VALU_DEP_2) | instskip(NEXT) | instid1(VALU_DEP_2)
	v_add_f64 v[2:3], v[28:29], v[2:3]
	v_add_f64 v[4:5], v[4:5], -v[18:19]
	s_waitcnt vmcnt(14)
	v_add_f64 v[20:21], v[22:23], -v[50:51]
	s_waitcnt vmcnt(12)
	v_add_f64 v[22:23], v[69:70], -v[44:45]
	s_waitcnt vmcnt(10)
	v_add_f64 v[6:7], v[6:7], -v[26:27]
	s_waitcnt vmcnt(8)
	v_add_f64 v[8:9], v[8:9], -v[10:11]
	s_delay_alu instid0(VALU_DEP_4) | instskip(NEXT) | instid1(VALU_DEP_4)
	v_add_f64 v[4:5], v[4:5], v[20:21]
	v_add_f64 v[2:3], v[22:23], v[2:3]
	s_waitcnt vmcnt(4)
	v_add_f64 v[10:11], v[58:59], -v[48:49]
	s_waitcnt vmcnt(2)
	v_add_f64 v[12:13], v[12:13], -v[60:61]
	s_delay_alu instid0(VALU_DEP_4) | instskip(SKIP_2) | instid1(VALU_DEP_3)
	v_add_f64 v[4:5], v[4:5], v[6:7]
	v_add_f64 v[6:7], v[14:15], -v[56:57]
	v_add_f64 v[2:3], v[36:37], v[2:3]
	v_add_f64 v[4:5], v[4:5], -v[8:9]
	s_delay_alu instid0(VALU_DEP_2) | instskip(NEXT) | instid1(VALU_DEP_2)
	v_add_f64 v[2:3], v[18:19], v[2:3]
	v_add_f64 v[4:5], v[4:5], v[6:7]
	s_waitcnt vmcnt(0)
	v_add_f64 v[6:7], v[32:33], -v[16:17]
	s_delay_alu instid0(VALU_DEP_3) | instskip(NEXT) | instid1(VALU_DEP_3)
	v_add_f64 v[2:3], v[10:11], v[2:3]
	v_add_f64 v[4:5], v[4:5], -v[12:13]
	s_delay_alu instid0(VALU_DEP_2) | instskip(NEXT) | instid1(VALU_DEP_2)
	v_add_f64 v[2:3], v[8:9], v[2:3]
	v_add_f64 v[4:5], v[4:5], v[6:7]
	v_mad_u64_u32 v[6:7], null, 0xffffff50, s2, v[55:56]
	v_mov_b32_e32 v7, v1
	s_delay_alu instid0(VALU_DEP_4) | instskip(SKIP_1) | instid1(VALU_DEP_3)
	v_add_f64 v[2:3], v[12:13], v[2:3]
	v_lshlrev_b64 v[0:1], 3, v[81:82]
	v_lshlrev_b64 v[6:7], 3, v[6:7]
	s_delay_alu instid0(VALU_DEP_2) | instskip(NEXT) | instid1(VALU_DEP_3)
	v_add_co_u32 v0, vcc_lo, s8, v0
	v_add_co_ci_u32_e32 v1, vcc_lo, s9, v1, vcc_lo
	s_delay_alu instid0(VALU_DEP_3) | instskip(NEXT) | instid1(VALU_DEP_4)
	v_add_co_u32 v6, vcc_lo, s8, v6
	v_add_co_ci_u32_e32 v7, vcc_lo, s9, v7, vcc_lo
	v_mul_f64 v[4:5], v[4:5], s[10:11]
	v_mul_f64 v[2:3], v[2:3], s[10:11]
	s_waitcnt lgkmcnt(0)
	s_delay_alu instid0(VALU_DEP_2) | instskip(NEXT) | instid1(VALU_DEP_2)
	v_mul_f64 v[4:5], s[4:5], v[4:5]
	v_mul_f64 v[2:3], s[6:7], v[2:3]
	s_clause 0x1
	global_store_b64 v[0:1], v[4:5], off
	global_store_b64 v[6:7], v[2:3], off
	s_nop 0
	s_sendmsg sendmsg(MSG_DEALLOC_VGPRS)
	s_endpgm
	.section	.rodata,"a",@progbits
	.p2align	6, 0x0
	.amdhsa_kernel _Z14rdwdot7_kernelIdEvPKT_S2_PS0_S0_S2_
		.amdhsa_group_segment_fixed_size 0
		.amdhsa_private_segment_fixed_size 0
		.amdhsa_kernarg_size 296
		.amdhsa_user_sgpr_count 15
		.amdhsa_user_sgpr_dispatch_ptr 0
		.amdhsa_user_sgpr_queue_ptr 0
		.amdhsa_user_sgpr_kernarg_segment_ptr 1
		.amdhsa_user_sgpr_dispatch_id 0
		.amdhsa_user_sgpr_private_segment_size 0
		.amdhsa_wavefront_size32 1
		.amdhsa_uses_dynamic_stack 0
		.amdhsa_enable_private_segment 0
		.amdhsa_system_sgpr_workgroup_id_x 1
		.amdhsa_system_sgpr_workgroup_id_y 0
		.amdhsa_system_sgpr_workgroup_id_z 0
		.amdhsa_system_sgpr_workgroup_info 0
		.amdhsa_system_vgpr_workitem_id 0
		.amdhsa_next_free_vgpr 86
		.amdhsa_next_free_sgpr 16
		.amdhsa_reserve_vcc 1
		.amdhsa_float_round_mode_32 0
		.amdhsa_float_round_mode_16_64 0
		.amdhsa_float_denorm_mode_32 3
		.amdhsa_float_denorm_mode_16_64 3
		.amdhsa_dx10_clamp 1
		.amdhsa_ieee_mode 1
		.amdhsa_fp16_overflow 0
		.amdhsa_workgroup_processor_mode 1
		.amdhsa_memory_ordered 1
		.amdhsa_forward_progress 0
		.amdhsa_shared_vgpr_count 0
		.amdhsa_exception_fp_ieee_invalid_op 0
		.amdhsa_exception_fp_denorm_src 0
		.amdhsa_exception_fp_ieee_div_zero 0
		.amdhsa_exception_fp_ieee_overflow 0
		.amdhsa_exception_fp_ieee_underflow 0
		.amdhsa_exception_fp_ieee_inexact 0
		.amdhsa_exception_int_div_zero 0
	.end_amdhsa_kernel
	.section	.text._Z14rdwdot7_kernelIdEvPKT_S2_PS0_S0_S2_,"axG",@progbits,_Z14rdwdot7_kernelIdEvPKT_S2_PS0_S0_S2_,comdat
.Lfunc_end50:
	.size	_Z14rdwdot7_kernelIdEvPKT_S2_PS0_S0_S2_, .Lfunc_end50-_Z14rdwdot7_kernelIdEvPKT_S2_PS0_S0_S2_
                                        ; -- End function
	.section	.AMDGPU.csdata,"",@progbits
; Kernel info:
; codeLenInByte = 4480
; NumSgprs: 18
; NumVgprs: 86
; ScratchSize: 0
; MemoryBound: 0
; FloatMode: 240
; IeeeMode: 1
; LDSByteSize: 0 bytes/workgroup (compile time only)
; SGPRBlocks: 2
; VGPRBlocks: 10
; NumSGPRsForWavesPerEU: 18
; NumVGPRsForWavesPerEU: 86
; Occupancy: 16
; WaveLimiterHint : 0
; COMPUTE_PGM_RSRC2:SCRATCH_EN: 0
; COMPUTE_PGM_RSRC2:USER_SGPR: 15
; COMPUTE_PGM_RSRC2:TRAP_HANDLER: 0
; COMPUTE_PGM_RSRC2:TGID_X_EN: 1
; COMPUTE_PGM_RSRC2:TGID_Y_EN: 0
; COMPUTE_PGM_RSRC2:TGID_Z_EN: 0
; COMPUTE_PGM_RSRC2:TIDIG_COMP_CNT: 0
	.section	.text._Z14rdwdot8_kernelIdEvPKT_S2_PS0_S0_S2_,"axG",@progbits,_Z14rdwdot8_kernelIdEvPKT_S2_PS0_S0_S2_,comdat
	.protected	_Z14rdwdot8_kernelIdEvPKT_S2_PS0_S0_S2_ ; -- Begin function _Z14rdwdot8_kernelIdEvPKT_S2_PS0_S0_S2_
	.globl	_Z14rdwdot8_kernelIdEvPKT_S2_PS0_S0_S2_
	.p2align	8
	.type	_Z14rdwdot8_kernelIdEvPKT_S2_PS0_S0_S2_,@function
_Z14rdwdot8_kernelIdEvPKT_S2_PS0_S0_S2_: ; @_Z14rdwdot8_kernelIdEvPKT_S2_PS0_S0_S2_
; %bb.0:
	s_clause 0x3
	s_load_b32 s2, s[0:1], 0x34
	s_load_b32 s3, s[0:1], 0x28
	s_load_b256 s[4:11], s[0:1], 0x0
	s_load_b64 s[0:1], s[0:1], 0x20
	s_waitcnt lgkmcnt(0)
	s_and_b32 s12, s2, 0xffff
	s_delay_alu instid0(SALU_CYCLE_1)
	s_mul_i32 s2, s3, s12
	s_mul_i32 s15, s15, s12
	;; [unrolled: 1-line block ×4, first 2 shown]
	v_add3_u32 v0, s3, s15, v0
	v_mov_b32_e32 v1, 0
	s_mul_i32 s12, s2, 3
	s_delay_alu instid0(VALU_DEP_1) | instskip(SKIP_1) | instid1(VALU_DEP_1)
	v_lshlrev_b64 v[2:3], 3, v[0:1]
	v_add_nc_u32_e32 v0, s2, v0
	v_lshlrev_b64 v[4:5], 3, v[0:1]
	s_delay_alu instid0(VALU_DEP_3) | instskip(NEXT) | instid1(VALU_DEP_4)
	v_add_co_u32 v6, vcc_lo, s4, v2
	v_add_co_ci_u32_e32 v7, vcc_lo, s5, v3, vcc_lo
	v_add_co_u32 v2, vcc_lo, s6, v2
	v_add_co_ci_u32_e32 v3, vcc_lo, s7, v3, vcc_lo
	;; [unrolled: 2-line block ×4, first 2 shown]
	global_load_b64 v[6:7], v[6:7], off
	global_load_b64 v[2:3], v[2:3], off
	;; [unrolled: 1-line block ×4, first 2 shown]
	v_add_nc_u32_e32 v0, s2, v0
	s_delay_alu instid0(VALU_DEP_1) | instskip(SKIP_1) | instid1(VALU_DEP_2)
	v_lshlrev_b64 v[10:11], 3, v[0:1]
	v_add_nc_u32_e32 v0, s2, v0
	v_add_co_u32 v12, vcc_lo, s4, v10
	s_delay_alu instid0(VALU_DEP_3)
	v_add_co_ci_u32_e32 v13, vcc_lo, s5, v11, vcc_lo
	v_add_co_u32 v10, vcc_lo, s6, v10
	v_add_co_ci_u32_e32 v11, vcc_lo, s7, v11, vcc_lo
	global_load_b64 v[12:13], v[12:13], off
	global_load_b64 v[10:11], v[10:11], off
	v_lshlrev_b64 v[14:15], 3, v[0:1]
	v_add_nc_u32_e32 v0, s13, v0
	s_delay_alu instid0(VALU_DEP_2) | instskip(NEXT) | instid1(VALU_DEP_3)
	v_add_co_u32 v16, vcc_lo, s4, v14
	v_add_co_ci_u32_e32 v17, vcc_lo, s5, v15, vcc_lo
	v_add_co_u32 v14, vcc_lo, s6, v14
	v_add_co_ci_u32_e32 v15, vcc_lo, s7, v15, vcc_lo
	v_lshlrev_b64 v[18:19], 3, v[0:1]
	v_add_nc_u32_e32 v0, s2, v0
	global_load_b64 v[16:17], v[16:17], off
	global_load_b64 v[14:15], v[14:15], off
	v_lshlrev_b64 v[20:21], 3, v[0:1]
	v_lshl_add_u32 v0, s2, 2, v0
	s_delay_alu instid0(VALU_DEP_1) | instskip(SKIP_1) | instid1(VALU_DEP_1)
	v_lshlrev_b64 v[22:23], 3, v[0:1]
	v_add_nc_u32_e32 v0, s2, v0
	v_mad_u64_u32 v[24:25], null, s2, -11, v[0:1]
	v_mov_b32_e32 v25, v1
	v_lshlrev_b64 v[29:30], 3, v[0:1]
	s_delay_alu instid0(VALU_DEP_2) | instskip(SKIP_1) | instid1(VALU_DEP_2)
	v_lshlrev_b64 v[25:26], 3, v[24:25]
	v_add_nc_u32_e32 v0, s2, v24
	v_add_co_u32 v27, vcc_lo, s4, v25
	s_delay_alu instid0(VALU_DEP_3)
	v_add_co_ci_u32_e32 v28, vcc_lo, s5, v26, vcc_lo
	v_add_co_u32 v25, vcc_lo, s6, v25
	v_add_co_ci_u32_e32 v26, vcc_lo, s7, v26, vcc_lo
	global_load_b64 v[27:28], v[27:28], off
	global_load_b64 v[25:26], v[25:26], off
	v_lshlrev_b64 v[31:32], 3, v[0:1]
	v_add_nc_u32_e32 v0, s2, v0
	s_delay_alu instid0(VALU_DEP_2) | instskip(NEXT) | instid1(VALU_DEP_3)
	v_add_co_u32 v33, vcc_lo, s4, v31
	v_add_co_ci_u32_e32 v34, vcc_lo, s5, v32, vcc_lo
	v_add_co_u32 v31, vcc_lo, s6, v31
	v_add_co_ci_u32_e32 v32, vcc_lo, s7, v32, vcc_lo
	global_load_b64 v[33:34], v[33:34], off
	global_load_b64 v[31:32], v[31:32], off
	v_lshlrev_b64 v[35:36], 3, v[0:1]
	v_add_nc_u32_e32 v0, s2, v0
	s_delay_alu instid0(VALU_DEP_2) | instskip(NEXT) | instid1(VALU_DEP_3)
	v_add_co_u32 v37, vcc_lo, s4, v35
	;; [unrolled: 9-line block ×3, first 2 shown]
	v_add_co_ci_u32_e32 v42, vcc_lo, s5, v40, vcc_lo
	v_add_co_u32 v39, vcc_lo, s6, v39
	v_add_co_ci_u32_e32 v40, vcc_lo, s7, v40, vcc_lo
	global_load_b64 v[41:42], v[41:42], off
	global_load_b64 v[39:40], v[39:40], off
	v_add_co_u32 v43, vcc_lo, s4, v18
	v_add_co_ci_u32_e32 v44, vcc_lo, s5, v19, vcc_lo
	v_add_co_u32 v18, vcc_lo, s6, v18
	v_add_co_ci_u32_e32 v19, vcc_lo, s7, v19, vcc_lo
	v_add_co_u32 v45, vcc_lo, s4, v20
	v_lshlrev_b64 v[47:48], 3, v[0:1]
	v_add_co_ci_u32_e32 v46, vcc_lo, s5, v21, vcc_lo
	v_add_co_u32 v20, vcc_lo, s6, v20
	v_add_co_ci_u32_e32 v21, vcc_lo, s7, v21, vcc_lo
	s_delay_alu instid0(VALU_DEP_4)
	v_add_co_u32 v49, vcc_lo, s4, v47
	v_add_co_ci_u32_e32 v50, vcc_lo, s5, v48, vcc_lo
	v_add_co_u32 v47, vcc_lo, s6, v47
	v_add_co_ci_u32_e32 v48, vcc_lo, s7, v48, vcc_lo
	global_load_b64 v[43:44], v[43:44], off
	global_load_b64 v[18:19], v[18:19], off
	;; [unrolled: 1-line block ×6, first 2 shown]
	v_add_nc_u32_e32 v0, s12, v0
	s_waitcnt vmcnt(20)
	v_add_f64 v[2:3], v[6:7], -v[2:3]
	s_waitcnt vmcnt(18)
	v_add_f64 v[4:5], v[8:9], -v[4:5]
	;; [unrolled: 2-line block ×3, first 2 shown]
	s_delay_alu instid0(VALU_DEP_2) | instskip(SKIP_4) | instid1(VALU_DEP_3)
	v_add_f64 v[2:3], v[2:3], v[4:5]
	v_lshlrev_b64 v[4:5], 3, v[0:1]
	s_waitcnt vmcnt(14)
	v_add_f64 v[14:15], v[16:17], -v[14:15]
	v_lshl_add_u32 v0, s2, 1, v0
	v_add_co_u32 v8, vcc_lo, s4, v4
	s_delay_alu instid0(VALU_DEP_4)
	v_add_co_ci_u32_e32 v9, vcc_lo, s5, v5, vcc_lo
	v_add_co_u32 v4, vcc_lo, s6, v4
	v_add_co_ci_u32_e32 v5, vcc_lo, s7, v5, vcc_lo
	global_load_b64 v[8:9], v[8:9], off
	global_load_b64 v[4:5], v[4:5], off
	v_add_co_u32 v10, vcc_lo, s4, v22
	v_add_co_ci_u32_e32 v11, vcc_lo, s5, v23, vcc_lo
	v_add_co_u32 v12, vcc_lo, s6, v22
	v_add_co_ci_u32_e32 v13, vcc_lo, s7, v23, vcc_lo
	v_lshlrev_b64 v[16:17], 3, v[0:1]
	global_load_b64 v[10:11], v[10:11], off
	v_add_nc_u32_e32 v0, s13, v0
	s_lshl_b32 s13, s2, 3
	v_add_f64 v[2:3], v[2:3], v[6:7]
	v_add_co_u32 v6, vcc_lo, s4, v29
	v_add_co_ci_u32_e32 v7, vcc_lo, s5, v30, vcc_lo
	v_add_co_u32 v22, vcc_lo, s6, v29
	v_add_co_ci_u32_e32 v23, vcc_lo, s7, v30, vcc_lo
	;; [unrolled: 2-line block ×4, first 2 shown]
	global_load_b64 v[12:13], v[12:13], off
	global_load_b64 v[6:7], v[6:7], off
	;; [unrolled: 1-line block ×5, first 2 shown]
	s_waitcnt vmcnt(20)
	v_add_f64 v[24:25], v[27:28], -v[25:26]
	v_add_f64 v[2:3], v[2:3], v[14:15]
	s_waitcnt vmcnt(18)
	v_add_f64 v[14:15], v[33:34], -v[31:32]
	v_mad_u64_u32 v[31:32], null, s2, 14, v[0:1]
	s_waitcnt vmcnt(16)
	v_add_f64 v[33:34], v[37:38], -v[35:36]
	v_mov_b32_e32 v32, v1
	v_add_f64 v[2:3], v[2:3], -v[24:25]
	v_lshlrev_b64 v[24:25], 3, v[0:1]
	v_add_nc_u32_e32 v0, s13, v31
	s_waitcnt vmcnt(10)
	v_add_f64 v[20:21], v[45:46], -v[20:21]
	v_add_f64 v[18:19], v[43:44], -v[18:19]
	s_delay_alu instid0(VALU_DEP_4)
	v_add_co_u32 v26, vcc_lo, s4, v24
	v_add_co_ci_u32_e32 v27, vcc_lo, s5, v25, vcc_lo
	v_add_co_u32 v24, vcc_lo, s6, v24
	v_add_co_ci_u32_e32 v25, vcc_lo, s7, v25, vcc_lo
	global_load_b64 v[26:27], v[26:27], off
	global_load_b64 v[24:25], v[24:25], off
	v_add_f64 v[2:3], v[2:3], -v[14:15]
	v_lshlrev_b64 v[14:15], 3, v[31:32]
	v_add_f64 v[31:32], v[41:42], -v[39:40]
	v_mad_u64_u32 v[39:40], null, s2, 20, v[0:1]
	s_waitcnt vmcnt(10)
	v_add_f64 v[41:42], v[49:50], -v[47:48]
	v_mov_b32_e32 v40, v1
	v_add_co_u32 v35, vcc_lo, s4, v14
	v_add_co_ci_u32_e32 v36, vcc_lo, s5, v15, vcc_lo
	v_add_co_u32 v14, vcc_lo, s6, v14
	v_add_co_ci_u32_e32 v15, vcc_lo, s7, v15, vcc_lo
	global_load_b64 v[35:36], v[35:36], off
	global_load_b64 v[14:15], v[14:15], off
	v_add_f64 v[2:3], v[2:3], -v[33:34]
	v_lshlrev_b64 v[33:34], 3, v[0:1]
	v_add_nc_u32_e32 v0, s2, v39
	s_delay_alu instid0(VALU_DEP_2) | instskip(NEXT) | instid1(VALU_DEP_3)
	v_add_co_u32 v37, vcc_lo, s4, v33
	v_add_co_ci_u32_e32 v38, vcc_lo, s5, v34, vcc_lo
	v_add_co_u32 v33, vcc_lo, s6, v33
	v_add_co_ci_u32_e32 v34, vcc_lo, s7, v34, vcc_lo
	global_load_b64 v[37:38], v[37:38], off
	global_load_b64 v[33:34], v[33:34], off
	v_add_f64 v[31:32], v[2:3], -v[31:32]
	v_lshlrev_b64 v[2:3], 3, v[39:40]
	s_delay_alu instid0(VALU_DEP_1) | instskip(NEXT) | instid1(VALU_DEP_2)
	v_add_co_u32 v43, vcc_lo, s4, v2
	v_add_co_ci_u32_e32 v44, vcc_lo, s5, v3, vcc_lo
	v_add_co_u32 v2, vcc_lo, s6, v2
	v_add_co_ci_u32_e32 v3, vcc_lo, s7, v3, vcc_lo
	global_load_b64 v[43:44], v[43:44], off
	global_load_b64 v[45:46], v[2:3], off
	v_add_f64 v[2:3], v[18:19], v[20:21]
	v_lshlrev_b64 v[20:21], 3, v[0:1]
	v_add_nc_u32_e32 v0, s13, v0
	s_delay_alu instid0(VALU_DEP_1)
	v_lshlrev_b64 v[39:40], 3, v[0:1]
	v_add_nc_u32_e32 v0, s2, v0
	v_add_f64 v[18:19], v[31:32], -v[41:42]
	v_add_co_u32 v31, vcc_lo, s4, v20
	v_add_co_ci_u32_e32 v32, vcc_lo, s5, v21, vcc_lo
	v_add_co_u32 v20, vcc_lo, s6, v20
	v_add_co_ci_u32_e32 v21, vcc_lo, s7, v21, vcc_lo
	global_load_b64 v[31:32], v[31:32], off
	global_load_b64 v[20:21], v[20:21], off
	v_add_co_u32 v41, vcc_lo, s4, v39
	v_add_co_ci_u32_e32 v42, vcc_lo, s5, v40, vcc_lo
	v_add_co_u32 v39, vcc_lo, s6, v39
	v_add_co_ci_u32_e32 v40, vcc_lo, s7, v40, vcc_lo
	global_load_b64 v[41:42], v[41:42], off
	global_load_b64 v[39:40], v[39:40], off
	v_add_f64 v[18:19], v[18:19], -v[2:3]
	s_waitcnt vmcnt(18)
	v_add_f64 v[4:5], v[8:9], -v[4:5]
	s_delay_alu instid0(VALU_DEP_2) | instskip(SKIP_2) | instid1(VALU_DEP_2)
	v_add_f64 v[8:9], v[18:19], -v[2:3]
	v_lshlrev_b64 v[18:19], 3, v[0:1]
	v_add_nc_u32_e32 v0, s2, v0
	v_add_co_u32 v47, vcc_lo, s4, v18
	s_delay_alu instid0(VALU_DEP_3)
	v_add_co_ci_u32_e32 v48, vcc_lo, s5, v19, vcc_lo
	v_add_co_u32 v18, vcc_lo, s6, v18
	v_add_co_ci_u32_e32 v19, vcc_lo, s7, v19, vcc_lo
	global_load_b64 v[47:48], v[47:48], off
	global_load_b64 v[18:19], v[18:19], off
	v_mad_u64_u32 v[49:50], null, s2, 15, v[0:1]
	v_mov_b32_e32 v50, v1
	s_waitcnt vmcnt(18)
	v_add_f64 v[10:11], v[10:11], -v[12:13]
	s_waitcnt vmcnt(16)
	v_add_f64 v[12:13], v[6:7], -v[22:23]
	;; [unrolled: 2-line block ×3, first 2 shown]
	v_add_f64 v[16:17], v[4:5], v[8:9]
	v_lshlrev_b64 v[8:9], 3, v[0:1]
	s_delay_alu instid0(VALU_DEP_1) | instskip(NEXT) | instid1(VALU_DEP_2)
	v_add_co_u32 v22, vcc_lo, s4, v8
	v_add_co_ci_u32_e32 v23, vcc_lo, s5, v9, vcc_lo
	v_add_co_u32 v8, vcc_lo, s6, v8
	v_add_co_ci_u32_e32 v9, vcc_lo, s7, v9, vcc_lo
	global_load_b64 v[22:23], v[22:23], off
	global_load_b64 v[28:29], v[8:9], off
	v_add_f64 v[8:9], v[10:11], v[12:13]
	v_lshlrev_b64 v[12:13], 3, v[49:50]
	v_mad_u64_u32 v[50:51], null, s2, 37, v[49:50]
	v_mov_b32_e32 v51, v1
	v_add_f64 v[10:11], v[16:17], v[6:7]
	s_delay_alu instid0(VALU_DEP_4)
	v_add_co_u32 v16, vcc_lo, s4, v12
	v_add_co_ci_u32_e32 v17, vcc_lo, s5, v13, vcc_lo
	v_add_co_u32 v12, vcc_lo, s6, v12
	v_add_co_ci_u32_e32 v13, vcc_lo, s7, v13, vcc_lo
	global_load_b64 v[16:17], v[16:17], off
	global_load_b64 v[12:13], v[12:13], off
	v_add_nc_u32_e32 v0, s12, v50
	s_mul_i32 s12, s2, 9
	s_waitcnt vmcnt(16)
	v_add_f64 v[24:25], v[26:27], -v[24:25]
	v_lshlrev_b64 v[26:27], 3, v[50:51]
	v_add_f64 v[10:11], v[8:9], v[10:11]
	s_delay_alu instid0(VALU_DEP_2) | instskip(NEXT) | instid1(VALU_DEP_3)
	v_add_co_u32 v51, vcc_lo, s4, v26
	v_add_co_ci_u32_e32 v52, vcc_lo, s5, v27, vcc_lo
	v_add_co_u32 v26, vcc_lo, s6, v26
	v_add_co_ci_u32_e32 v27, vcc_lo, s7, v27, vcc_lo
	global_load_b64 v[51:52], v[51:52], off
	global_load_b64 v[26:27], v[26:27], off
	s_waitcnt vmcnt(16)
	v_add_f64 v[14:15], v[35:36], -v[14:15]
	v_add_f64 v[10:11], v[10:11], -v[24:25]
	v_lshlrev_b64 v[24:25], 3, v[0:1]
	v_add_nc_u32_e32 v0, s2, v0
	s_delay_alu instid0(VALU_DEP_2) | instskip(NEXT) | instid1(VALU_DEP_3)
	v_add_co_u32 v35, vcc_lo, s4, v24
	v_add_co_ci_u32_e32 v36, vcc_lo, s5, v25, vcc_lo
	v_add_co_u32 v24, vcc_lo, s6, v24
	v_add_co_ci_u32_e32 v25, vcc_lo, s7, v25, vcc_lo
	global_load_b64 v[35:36], v[35:36], off
	global_load_b64 v[24:25], v[24:25], off
	s_waitcnt vmcnt(16)
	v_add_f64 v[33:34], v[37:38], -v[33:34]
	v_add_f64 v[10:11], v[10:11], v[14:15]
	v_lshlrev_b64 v[14:15], 3, v[0:1]
	v_add_nc_u32_e32 v0, s3, v0
	s_delay_alu instid0(VALU_DEP_2) | instskip(NEXT) | instid1(VALU_DEP_3)
	v_add_co_u32 v37, vcc_lo, s4, v14
	v_add_co_ci_u32_e32 v38, vcc_lo, s5, v15, vcc_lo
	v_add_co_u32 v14, vcc_lo, s6, v14
	v_add_co_ci_u32_e32 v15, vcc_lo, s7, v15, vcc_lo
	global_load_b64 v[37:38], v[37:38], off
	global_load_b64 v[14:15], v[14:15], off
	v_lshlrev_b64 v[49:50], 3, v[0:1]
	v_add_nc_u32_e32 v0, s12, v0
	s_delay_alu instid0(VALU_DEP_1)
	v_lshlrev_b64 v[53:54], 3, v[0:1]
	v_add_nc_u32_e32 v0, s2, v0
	s_waitcnt vmcnt(16)
	v_add_f64 v[43:44], v[43:44], -v[45:46]
	v_add_co_u32 v45, vcc_lo, s4, v49
	v_add_co_ci_u32_e32 v46, vcc_lo, s5, v50, vcc_lo
	v_add_f64 v[10:11], v[10:11], -v[33:34]
	v_add_co_u32 v49, vcc_lo, s6, v49
	v_add_co_ci_u32_e32 v50, vcc_lo, s7, v50, vcc_lo
	v_lshlrev_b64 v[33:34], 3, v[0:1]
	v_add_nc_u32_e32 v0, s3, v0
	global_load_b64 v[45:46], v[45:46], off
	global_load_b64 v[49:50], v[49:50], off
	v_lshlrev_b64 v[55:56], 3, v[0:1]
	v_add_nc_u32_e32 v0, s2, v0
	s_delay_alu instid0(VALU_DEP_1) | instskip(SKIP_1) | instid1(VALU_DEP_1)
	v_lshlrev_b64 v[57:58], 3, v[0:1]
	v_add_nc_u32_e32 v0, s2, v0
	v_lshlrev_b64 v[59:60], 3, v[0:1]
	v_add_nc_u32_e32 v0, s2, v0
	s_waitcnt vmcnt(16)
	v_add_f64 v[20:21], v[31:32], -v[20:21]
	s_delay_alu instid0(VALU_DEP_2) | instskip(SKIP_1) | instid1(VALU_DEP_1)
	v_lshlrev_b64 v[61:62], 3, v[0:1]
	v_add_nc_u32_e32 v0, s2, v0
	v_lshlrev_b64 v[63:64], 3, v[0:1]
	v_add_nc_u32_e32 v0, s12, v0
	v_add_f64 v[10:11], v[10:11], v[43:44]
	v_add_co_u32 v43, vcc_lo, s4, v53
	s_delay_alu instid0(VALU_DEP_3) | instskip(SKIP_3) | instid1(VALU_DEP_3)
	v_lshlrev_b64 v[30:31], 3, v[0:1]
	v_add_nc_u32_e32 v0, s2, v0
	v_add_co_ci_u32_e32 v44, vcc_lo, s5, v54, vcc_lo
	v_add_co_u32 v53, vcc_lo, s6, v53
	v_lshlrev_b64 v[65:66], 3, v[0:1]
	v_add_nc_u32_e32 v0, s12, v0
	v_add_co_ci_u32_e32 v54, vcc_lo, s7, v54, vcc_lo
	global_load_b64 v[43:44], v[43:44], off
	global_load_b64 v[53:54], v[53:54], off
	v_mad_u64_u32 v[67:68], null, s2, 6, v[0:1]
	v_lshlrev_b64 v[68:69], 3, v[0:1]
	s_waitcnt vmcnt(16)
	v_add_f64 v[39:40], v[41:42], -v[39:40]
	s_delay_alu instid0(VALU_DEP_3) | instskip(NEXT) | instid1(VALU_DEP_1)
	v_add_nc_u32_e32 v0, s2, v67
	v_mad_u64_u32 v[70:71], null, 0xffffff3b, s2, v[0:1]
	v_lshlrev_b64 v[41:42], 3, v[0:1]
	v_add_co_u32 v71, vcc_lo, s4, v33
	v_add_co_ci_u32_e32 v72, vcc_lo, s5, v34, vcc_lo
	v_add_co_u32 v32, vcc_lo, s6, v33
	v_add_f64 v[10:11], v[10:11], -v[20:21]
	v_add_nc_u32_e32 v0, s12, v70
	v_add_co_ci_u32_e32 v33, vcc_lo, s7, v34, vcc_lo
	s_delay_alu instid0(VALU_DEP_2) | instskip(SKIP_1) | instid1(VALU_DEP_2)
	v_lshlrev_b64 v[73:74], 3, v[0:1]
	v_add_nc_u32_e32 v0, s12, v0
	v_add_co_u32 v75, vcc_lo, s4, v73
	s_delay_alu instid0(VALU_DEP_3)
	v_add_co_ci_u32_e32 v76, vcc_lo, s5, v74, vcc_lo
	v_add_co_u32 v73, vcc_lo, s6, v73
	v_add_co_ci_u32_e32 v74, vcc_lo, s7, v74, vcc_lo
	global_load_b64 v[71:72], v[71:72], off
	global_load_b64 v[32:33], v[32:33], off
	;; [unrolled: 1-line block ×4, first 2 shown]
	s_waitcnt vmcnt(18)
	v_add_f64 v[18:19], v[47:48], -v[18:19]
	v_add_f64 v[10:11], v[10:11], -v[39:40]
	v_add_co_u32 v39, vcc_lo, s4, v55
	v_add_co_ci_u32_e32 v40, vcc_lo, s5, v56, vcc_lo
	v_add_co_u32 v47, vcc_lo, s6, v55
	v_add_co_ci_u32_e32 v48, vcc_lo, s7, v56, vcc_lo
	global_load_b64 v[39:40], v[39:40], off
	global_load_b64 v[47:48], v[47:48], off
	s_waitcnt vmcnt(18)
	v_add_f64 v[22:23], v[22:23], -v[28:29]
	v_lshlrev_b64 v[28:29], 3, v[0:1]
	v_add_f64 v[10:11], v[10:11], -v[18:19]
	v_add_co_u32 v18, vcc_lo, s4, v57
	v_add_co_ci_u32_e32 v19, vcc_lo, s5, v58, vcc_lo
	v_add_co_u32 v55, vcc_lo, s6, v57
	v_add_co_ci_u32_e32 v56, vcc_lo, s7, v58, vcc_lo
	v_add_co_u32 v57, vcc_lo, s4, v28
	v_add_co_ci_u32_e32 v58, vcc_lo, s5, v29, vcc_lo
	v_add_co_u32 v28, vcc_lo, s6, v28
	v_add_co_ci_u32_e32 v29, vcc_lo, s7, v29, vcc_lo
	global_load_b64 v[18:19], v[18:19], off
	global_load_b64 v[55:56], v[55:56], off
	;; [unrolled: 1-line block ×4, first 2 shown]
	s_waitcnt vmcnt(20)
	v_add_f64 v[12:13], v[16:17], -v[12:13]
	v_add_co_u32 v16, vcc_lo, s4, v59
	v_add_co_ci_u32_e32 v17, vcc_lo, s5, v60, vcc_lo
	v_add_co_u32 v59, vcc_lo, s6, v59
	v_add_co_ci_u32_e32 v60, vcc_lo, s7, v60, vcc_lo
	global_load_b64 v[16:17], v[16:17], off
	global_load_b64 v[59:60], v[59:60], off
	v_add_f64 v[10:11], v[10:11], v[22:23]
	s_waitcnt vmcnt(20)
	v_add_f64 v[26:27], v[51:52], -v[26:27]
	s_delay_alu instid0(VALU_DEP_2)
	v_add_f64 v[10:11], v[10:11], v[12:13]
	v_add_co_u32 v12, vcc_lo, s4, v61
	v_add_co_ci_u32_e32 v13, vcc_lo, s5, v62, vcc_lo
	v_add_co_u32 v51, vcc_lo, s6, v61
	v_add_co_ci_u32_e32 v52, vcc_lo, s7, v62, vcc_lo
	global_load_b64 v[12:13], v[12:13], off
	global_load_b64 v[51:52], v[51:52], off
	s_waitcnt vmcnt(20)
	v_add_f64 v[24:25], v[35:36], -v[24:25]
	v_add_f64 v[10:11], v[10:11], v[26:27]
	v_add_co_u32 v26, vcc_lo, s4, v63
	v_add_co_ci_u32_e32 v27, vcc_lo, s5, v64, vcc_lo
	v_add_co_u32 v34, vcc_lo, s6, v63
	v_add_co_ci_u32_e32 v35, vcc_lo, s7, v64, vcc_lo
	global_load_b64 v[26:27], v[26:27], off
	global_load_b64 v[34:35], v[34:35], off
	s_waitcnt vmcnt(20)
	v_add_f64 v[14:15], v[37:38], -v[14:15]
	v_add_f64 v[10:11], v[10:11], -v[24:25]
	v_add_co_u32 v24, vcc_lo, s4, v30
	v_add_co_ci_u32_e32 v25, vcc_lo, s5, v31, vcc_lo
	v_add_co_u32 v30, vcc_lo, s6, v30
	v_add_co_ci_u32_e32 v31, vcc_lo, s7, v31, vcc_lo
	global_load_b64 v[24:25], v[24:25], off
	global_load_b64 v[30:31], v[30:31], off
	s_waitcnt vmcnt(20)
	v_add_f64 v[36:37], v[45:46], -v[49:50]
	v_add_co_u32 v45, vcc_lo, s4, v65
	v_add_co_ci_u32_e32 v46, vcc_lo, s5, v66, vcc_lo
	v_add_co_u32 v49, vcc_lo, s6, v65
	v_add_co_ci_u32_e32 v50, vcc_lo, s7, v66, vcc_lo
	global_load_b64 v[45:46], v[45:46], off
	global_load_b64 v[49:50], v[49:50], off
	v_add_f64 v[10:11], v[10:11], v[14:15]
	s_waitcnt vmcnt(20)
	v_add_f64 v[43:44], v[43:44], -v[53:54]
	s_delay_alu instid0(VALU_DEP_2)
	v_add_f64 v[10:11], v[10:11], v[36:37]
	v_add_co_u32 v36, vcc_lo, s4, v68
	v_add_co_ci_u32_e32 v37, vcc_lo, s5, v69, vcc_lo
	v_add_co_u32 v53, vcc_lo, s6, v68
	v_add_co_ci_u32_e32 v54, vcc_lo, s7, v69, vcc_lo
	global_load_b64 v[36:37], v[36:37], off
	global_load_b64 v[53:54], v[53:54], off
	v_mov_b32_e32 v68, v1
	s_delay_alu instid0(VALU_DEP_1) | instskip(NEXT) | instid1(VALU_DEP_1)
	v_lshlrev_b64 v[61:62], 3, v[67:68]
	v_add_co_u32 v63, vcc_lo, s4, v61
	s_delay_alu instid0(VALU_DEP_2)
	v_add_co_ci_u32_e32 v64, vcc_lo, s5, v62, vcc_lo
	v_add_co_u32 v61, vcc_lo, s6, v61
	v_add_co_ci_u32_e32 v62, vcc_lo, s7, v62, vcc_lo
	global_load_b64 v[63:64], v[63:64], off
	global_load_b64 v[61:62], v[61:62], off
	s_waitcnt vmcnt(22)
	v_add_f64 v[32:33], v[71:72], -v[32:33]
	v_mov_b32_e32 v71, v1
	v_add_f64 v[10:11], v[10:11], v[43:44]
	s_waitcnt vmcnt(20)
	v_add_f64 v[43:44], v[75:76], -v[73:74]
	s_waitcnt vmcnt(18)
	v_add_f64 v[38:39], v[39:40], -v[47:48]
	s_delay_alu instid0(VALU_DEP_3) | instskip(NEXT) | instid1(VALU_DEP_3)
	v_add_f64 v[10:11], v[10:11], -v[32:33]
	v_add_f64 v[2:3], v[2:3], v[43:44]
	v_add_co_u32 v32, vcc_lo, s4, v41
	v_add_co_ci_u32_e32 v33, vcc_lo, s5, v42, vcc_lo
	v_add_co_u32 v40, vcc_lo, s6, v41
	v_add_co_ci_u32_e32 v41, vcc_lo, s7, v42, vcc_lo
	global_load_b64 v[32:33], v[32:33], off
	global_load_b64 v[40:41], v[40:41], off
	s_load_b128 s[4:7], s[0:1], 0x30
	s_waitcnt vmcnt(18)
	v_add_f64 v[18:19], v[18:19], -v[55:56]
	s_waitcnt vmcnt(16)
	v_add_f64 v[28:29], v[57:58], -v[28:29]
	v_add_f64 v[10:11], v[10:11], v[38:39]
	v_add_f64 v[2:3], v[2:3], -v[4:5]
	s_waitcnt vmcnt(14)
	v_add_f64 v[4:5], v[16:17], -v[59:60]
	s_delay_alu instid0(VALU_DEP_3) | instskip(NEXT) | instid1(VALU_DEP_3)
	v_add_f64 v[10:11], v[10:11], -v[18:19]
	v_add_f64 v[2:3], v[2:3], -v[28:29]
	s_waitcnt vmcnt(12)
	v_add_f64 v[12:13], v[12:13], -v[51:52]
	s_delay_alu instid0(VALU_DEP_3) | instskip(NEXT) | instid1(VALU_DEP_3)
	v_add_f64 v[10:11], v[10:11], -v[4:5]
	;; [unrolled: 5-line block ×3, first 2 shown]
	v_add_f64 v[2:3], v[2:3], -v[8:9]
	s_waitcnt vmcnt(8)
	v_add_f64 v[8:9], v[24:25], -v[30:31]
	s_delay_alu instid0(VALU_DEP_3) | instskip(NEXT) | instid1(VALU_DEP_3)
	v_add_f64 v[10:11], v[10:11], v[6:7]
	v_add_f64 v[2:3], v[20:21], v[2:3]
	s_waitcnt vmcnt(6)
	v_add_f64 v[12:13], v[45:46], -v[49:50]
	s_delay_alu instid0(VALU_DEP_3) | instskip(NEXT) | instid1(VALU_DEP_3)
	v_add_f64 v[8:9], v[10:11], -v[8:9]
	v_add_f64 v[2:3], v[2:3], -v[22:23]
	s_waitcnt vmcnt(4)
	v_add_f64 v[10:11], v[36:37], -v[53:54]
	s_delay_alu instid0(VALU_DEP_3) | instskip(NEXT) | instid1(VALU_DEP_3)
	v_add_f64 v[8:9], v[8:9], -v[12:13]
	v_add_f64 v[2:3], v[2:3], -v[14:15]
	s_waitcnt vmcnt(2)
	v_add_f64 v[12:13], v[63:64], -v[61:62]
	s_delay_alu instid0(VALU_DEP_3) | instskip(NEXT) | instid1(VALU_DEP_3)
	v_add_f64 v[8:9], v[8:9], -v[10:11]
	v_add_f64 v[2:3], v[4:5], v[2:3]
	s_waitcnt vmcnt(0)
	v_add_f64 v[4:5], v[32:33], -v[40:41]
	s_delay_alu instid0(VALU_DEP_3) | instskip(NEXT) | instid1(VALU_DEP_3)
	v_add_f64 v[8:9], v[8:9], v[12:13]
	v_add_f64 v[2:3], v[2:3], -v[6:7]
	v_mad_u64_u32 v[6:7], null, 0xffffffef, s2, v[0:1]
	v_mov_b32_e32 v7, v1
	v_lshlrev_b64 v[0:1], 3, v[70:71]
	s_delay_alu instid0(VALU_DEP_2) | instskip(NEXT) | instid1(VALU_DEP_2)
	v_lshlrev_b64 v[6:7], 3, v[6:7]
	v_add_co_u32 v0, vcc_lo, s8, v0
	s_delay_alu instid0(VALU_DEP_3) | instskip(NEXT) | instid1(VALU_DEP_3)
	v_add_co_ci_u32_e32 v1, vcc_lo, s9, v1, vcc_lo
	v_add_co_u32 v6, vcc_lo, s8, v6
	s_delay_alu instid0(VALU_DEP_4) | instskip(SKIP_2) | instid1(VALU_DEP_2)
	v_add_co_ci_u32_e32 v7, vcc_lo, s9, v7, vcc_lo
	v_add_f64 v[4:5], v[8:9], -v[4:5]
	v_add_f64 v[2:3], v[10:11], v[2:3]
	v_mul_f64 v[4:5], v[4:5], s[10:11]
	s_delay_alu instid0(VALU_DEP_2) | instskip(SKIP_1) | instid1(VALU_DEP_2)
	v_mul_f64 v[2:3], v[2:3], s[10:11]
	s_waitcnt lgkmcnt(0)
	v_mul_f64 v[4:5], s[4:5], v[4:5]
	s_delay_alu instid0(VALU_DEP_2)
	v_mul_f64 v[2:3], s[6:7], v[2:3]
	s_clause 0x1
	global_store_b64 v[0:1], v[4:5], off
	global_store_b64 v[6:7], v[2:3], off
	s_nop 0
	s_sendmsg sendmsg(MSG_DEALLOC_VGPRS)
	s_endpgm
	.section	.rodata,"a",@progbits
	.p2align	6, 0x0
	.amdhsa_kernel _Z14rdwdot8_kernelIdEvPKT_S2_PS0_S0_S2_
		.amdhsa_group_segment_fixed_size 0
		.amdhsa_private_segment_fixed_size 0
		.amdhsa_kernarg_size 296
		.amdhsa_user_sgpr_count 15
		.amdhsa_user_sgpr_dispatch_ptr 0
		.amdhsa_user_sgpr_queue_ptr 0
		.amdhsa_user_sgpr_kernarg_segment_ptr 1
		.amdhsa_user_sgpr_dispatch_id 0
		.amdhsa_user_sgpr_private_segment_size 0
		.amdhsa_wavefront_size32 1
		.amdhsa_uses_dynamic_stack 0
		.amdhsa_enable_private_segment 0
		.amdhsa_system_sgpr_workgroup_id_x 1
		.amdhsa_system_sgpr_workgroup_id_y 0
		.amdhsa_system_sgpr_workgroup_id_z 0
		.amdhsa_system_sgpr_workgroup_info 0
		.amdhsa_system_vgpr_workitem_id 0
		.amdhsa_next_free_vgpr 77
		.amdhsa_next_free_sgpr 16
		.amdhsa_reserve_vcc 1
		.amdhsa_float_round_mode_32 0
		.amdhsa_float_round_mode_16_64 0
		.amdhsa_float_denorm_mode_32 3
		.amdhsa_float_denorm_mode_16_64 3
		.amdhsa_dx10_clamp 1
		.amdhsa_ieee_mode 1
		.amdhsa_fp16_overflow 0
		.amdhsa_workgroup_processor_mode 1
		.amdhsa_memory_ordered 1
		.amdhsa_forward_progress 0
		.amdhsa_shared_vgpr_count 0
		.amdhsa_exception_fp_ieee_invalid_op 0
		.amdhsa_exception_fp_denorm_src 0
		.amdhsa_exception_fp_ieee_div_zero 0
		.amdhsa_exception_fp_ieee_overflow 0
		.amdhsa_exception_fp_ieee_underflow 0
		.amdhsa_exception_fp_ieee_inexact 0
		.amdhsa_exception_int_div_zero 0
	.end_amdhsa_kernel
	.section	.text._Z14rdwdot8_kernelIdEvPKT_S2_PS0_S0_S2_,"axG",@progbits,_Z14rdwdot8_kernelIdEvPKT_S2_PS0_S0_S2_,comdat
.Lfunc_end51:
	.size	_Z14rdwdot8_kernelIdEvPKT_S2_PS0_S0_S2_, .Lfunc_end51-_Z14rdwdot8_kernelIdEvPKT_S2_PS0_S0_S2_
                                        ; -- End function
	.section	.AMDGPU.csdata,"",@progbits
; Kernel info:
; codeLenInByte = 3580
; NumSgprs: 18
; NumVgprs: 77
; ScratchSize: 0
; MemoryBound: 0
; FloatMode: 240
; IeeeMode: 1
; LDSByteSize: 0 bytes/workgroup (compile time only)
; SGPRBlocks: 2
; VGPRBlocks: 9
; NumSGPRsForWavesPerEU: 18
; NumVGPRsForWavesPerEU: 77
; Occupancy: 16
; WaveLimiterHint : 0
; COMPUTE_PGM_RSRC2:SCRATCH_EN: 0
; COMPUTE_PGM_RSRC2:USER_SGPR: 15
; COMPUTE_PGM_RSRC2:TRAP_HANDLER: 0
; COMPUTE_PGM_RSRC2:TGID_X_EN: 1
; COMPUTE_PGM_RSRC2:TGID_Y_EN: 0
; COMPUTE_PGM_RSRC2:TGID_Z_EN: 0
; COMPUTE_PGM_RSRC2:TIDIG_COMP_CNT: 0
	.section	.text._Z14rdwdot9_kernelIdEvPKT_S2_PS0_S0_S2_,"axG",@progbits,_Z14rdwdot9_kernelIdEvPKT_S2_PS0_S0_S2_,comdat
	.protected	_Z14rdwdot9_kernelIdEvPKT_S2_PS0_S0_S2_ ; -- Begin function _Z14rdwdot9_kernelIdEvPKT_S2_PS0_S0_S2_
	.globl	_Z14rdwdot9_kernelIdEvPKT_S2_PS0_S0_S2_
	.p2align	8
	.type	_Z14rdwdot9_kernelIdEvPKT_S2_PS0_S0_S2_,@function
_Z14rdwdot9_kernelIdEvPKT_S2_PS0_S0_S2_: ; @_Z14rdwdot9_kernelIdEvPKT_S2_PS0_S0_S2_
; %bb.0:
	s_clause 0x3
	s_load_b32 s2, s[0:1], 0x34
	s_load_b32 s3, s[0:1], 0x28
	s_load_b256 s[4:11], s[0:1], 0x0
	s_load_b64 s[0:1], s[0:1], 0x20
	s_waitcnt lgkmcnt(0)
	s_and_b32 s2, s2, 0xffff
	s_delay_alu instid0(SALU_CYCLE_1) | instskip(SKIP_1) | instid1(SALU_CYCLE_1)
	v_mad_u64_u32 v[2:3], null, s15, s2, v[0:1]
	s_mul_i32 s2, s3, s2
	s_mul_i32 s15, s2, 5
	;; [unrolled: 1-line block ×4, first 2 shown]
	s_lshl_b32 s14, s2, 2
	s_delay_alu instid0(VALU_DEP_1) | instskip(SKIP_3) | instid1(VALU_DEP_1)
	v_mad_u64_u32 v[0:1], null, s2, 26, v[2:3]
	v_mov_b32_e32 v1, 0
	s_lshl_b32 s12, s2, 1
	s_lshl_b32 s16, s2, 3
	v_lshlrev_b64 v[4:5], 3, v[0:1]
	v_dual_mov_b32 v3, v1 :: v_dual_add_nc_u32 v0, s2, v0
	s_delay_alu instid0(VALU_DEP_1) | instskip(SKIP_1) | instid1(VALU_DEP_3)
	v_lshlrev_b64 v[8:9], 3, v[0:1]
	v_add_nc_u32_e32 v0, s2, v2
	v_lshlrev_b64 v[6:7], 3, v[2:3]
	s_delay_alu instid0(VALU_DEP_2) | instskip(SKIP_1) | instid1(VALU_DEP_3)
	v_lshlrev_b64 v[10:11], 3, v[0:1]
	v_add_nc_u32_e32 v0, s2, v0
	v_add_co_u32 v2, vcc_lo, s4, v6
	s_delay_alu instid0(VALU_DEP_4)
	v_add_co_ci_u32_e32 v3, vcc_lo, s5, v7, vcc_lo
	v_add_co_u32 v6, vcc_lo, s6, v6
	v_add_co_ci_u32_e32 v7, vcc_lo, s7, v7, vcc_lo
	v_add_co_u32 v12, vcc_lo, s4, v10
	;; [unrolled: 2-line block ×3, first 2 shown]
	v_add_co_ci_u32_e32 v11, vcc_lo, s7, v11, vcc_lo
	global_load_b64 v[2:3], v[2:3], off
	global_load_b64 v[6:7], v[6:7], off
	;; [unrolled: 1-line block ×4, first 2 shown]
	v_lshlrev_b64 v[14:15], 3, v[0:1]
	v_add_nc_u32_e32 v0, s2, v0
	s_delay_alu instid0(VALU_DEP_2) | instskip(NEXT) | instid1(VALU_DEP_3)
	v_add_co_u32 v16, vcc_lo, s4, v14
	v_add_co_ci_u32_e32 v17, vcc_lo, s5, v15, vcc_lo
	v_add_co_u32 v14, vcc_lo, s6, v14
	v_add_co_ci_u32_e32 v15, vcc_lo, s7, v15, vcc_lo
	global_load_b64 v[16:17], v[16:17], off
	global_load_b64 v[14:15], v[14:15], off
	v_lshlrev_b64 v[18:19], 3, v[0:1]
	v_add_nc_u32_e32 v0, s15, v0
	s_delay_alu instid0(VALU_DEP_2) | instskip(NEXT) | instid1(VALU_DEP_3)
	v_add_co_u32 v20, vcc_lo, s4, v18
	v_add_co_ci_u32_e32 v21, vcc_lo, s5, v19, vcc_lo
	v_add_co_u32 v18, vcc_lo, s6, v18
	v_add_co_ci_u32_e32 v19, vcc_lo, s7, v19, vcc_lo
	global_load_b64 v[20:21], v[20:21], off
	global_load_b64 v[18:19], v[18:19], off
	;; [unrolled: 9-line block ×6, first 2 shown]
	s_waitcnt vmcnt(14)
	v_add_f64 v[2:3], v[2:3], -v[6:7]
	s_waitcnt vmcnt(12)
	v_add_f64 v[6:7], v[12:13], -v[10:11]
	;; [unrolled: 2-line block ×4, first 2 shown]
	s_delay_alu instid0(VALU_DEP_3) | instskip(SKIP_2) | instid1(VALU_DEP_2)
	v_add_f64 v[2:3], v[2:3], v[6:7]
	v_lshlrev_b64 v[6:7], 3, v[0:1]
	v_add_nc_u32_e32 v0, s2, v0
	v_add_co_u32 v12, vcc_lo, s4, v6
	s_delay_alu instid0(VALU_DEP_3)
	v_add_co_ci_u32_e32 v13, vcc_lo, s5, v7, vcc_lo
	v_add_co_u32 v6, vcc_lo, s6, v6
	v_add_co_ci_u32_e32 v7, vcc_lo, s7, v7, vcc_lo
	global_load_b64 v[12:13], v[12:13], off
	global_load_b64 v[6:7], v[6:7], off
	s_waitcnt vmcnt(8)
	v_add_f64 v[22:23], v[24:25], -v[22:23]
	s_waitcnt vmcnt(6)
	v_add_f64 v[26:27], v[28:29], -v[26:27]
	v_add_f64 v[2:3], v[2:3], -v[10:11]
	v_lshlrev_b64 v[10:11], 3, v[0:1]
	v_add_nc_u32_e32 v0, s14, v0
	s_delay_alu instid0(VALU_DEP_2) | instskip(NEXT) | instid1(VALU_DEP_3)
	v_add_co_u32 v16, vcc_lo, s4, v10
	v_add_co_ci_u32_e32 v17, vcc_lo, s5, v11, vcc_lo
	v_add_co_u32 v10, vcc_lo, s6, v10
	v_add_co_ci_u32_e32 v11, vcc_lo, s7, v11, vcc_lo
	global_load_b64 v[16:17], v[16:17], off
	global_load_b64 v[10:11], v[10:11], off
	v_lshlrev_b64 v[18:19], 3, v[0:1]
	v_add_nc_u32_e32 v0, s2, v0
	s_delay_alu instid0(VALU_DEP_2) | instskip(NEXT) | instid1(VALU_DEP_3)
	v_add_co_u32 v20, vcc_lo, s4, v18
	v_add_co_ci_u32_e32 v21, vcc_lo, s5, v19, vcc_lo
	v_add_co_u32 v18, vcc_lo, s6, v18
	v_add_co_ci_u32_e32 v19, vcc_lo, s7, v19, vcc_lo
	global_load_b64 v[20:21], v[20:21], off
	global_load_b64 v[18:19], v[18:19], off
	v_add_co_u32 v38, vcc_lo, s4, v4
	v_add_co_ci_u32_e32 v39, vcc_lo, s5, v5, vcc_lo
	v_add_f64 v[2:3], v[2:3], -v[14:15]
	v_add_co_u32 v4, vcc_lo, s6, v4
	v_add_co_ci_u32_e32 v5, vcc_lo, s7, v5, vcc_lo
	v_lshlrev_b64 v[24:25], 3, v[0:1]
	global_load_b64 v[38:39], v[38:39], off
	v_add_nc_u32_e32 v0, s14, v0
	s_waitcnt vmcnt(7)
	v_add_f64 v[34:35], v[36:37], -v[34:35]
	v_add_f64 v[2:3], v[2:3], -v[14:15]
	v_add_co_u32 v14, vcc_lo, s4, v8
	v_add_co_ci_u32_e32 v15, vcc_lo, s5, v9, vcc_lo
	v_add_co_u32 v8, vcc_lo, s6, v8
	v_add_co_ci_u32_e32 v9, vcc_lo, s7, v9, vcc_lo
	;; [unrolled: 2-line block ×4, first 2 shown]
	global_load_b64 v[4:5], v[4:5], off
	global_load_b64 v[14:15], v[14:15], off
	;; [unrolled: 1-line block ×5, first 2 shown]
	v_add_f64 v[2:3], v[2:3], -v[22:23]
	v_add_f64 v[22:23], v[32:33], -v[30:31]
	s_delay_alu instid0(VALU_DEP_2) | instskip(SKIP_2) | instid1(VALU_DEP_2)
	v_add_f64 v[2:3], v[2:3], v[26:27]
	v_lshlrev_b64 v[26:27], 3, v[0:1]
	v_add_nc_u32_e32 v0, s13, v0
	v_add_co_u32 v28, vcc_lo, s4, v26
	s_delay_alu instid0(VALU_DEP_3)
	v_add_co_ci_u32_e32 v29, vcc_lo, s5, v27, vcc_lo
	v_add_co_u32 v26, vcc_lo, s6, v26
	v_add_co_ci_u32_e32 v27, vcc_lo, s7, v27, vcc_lo
	global_load_b64 v[28:29], v[28:29], off
	global_load_b64 v[26:27], v[26:27], off
	v_lshlrev_b64 v[30:31], 3, v[0:1]
	v_add_nc_u32_e32 v0, s12, v0
	s_delay_alu instid0(VALU_DEP_2) | instskip(NEXT) | instid1(VALU_DEP_3)
	v_add_co_u32 v32, vcc_lo, s4, v30
	v_add_co_ci_u32_e32 v33, vcc_lo, s5, v31, vcc_lo
	v_add_co_u32 v30, vcc_lo, s6, v30
	v_add_co_ci_u32_e32 v31, vcc_lo, s7, v31, vcc_lo
	global_load_b64 v[32:33], v[32:33], off
	global_load_b64 v[30:31], v[30:31], off
	v_add_f64 v[2:3], v[2:3], -v[22:23]
	s_delay_alu instid0(VALU_DEP_1) | instskip(SKIP_2) | instid1(VALU_DEP_2)
	v_add_f64 v[2:3], v[2:3], -v[22:23]
	v_lshlrev_b64 v[22:23], 3, v[0:1]
	v_add_nc_u32_e32 v0, s16, v0
	v_add_co_u32 v36, vcc_lo, s4, v22
	s_delay_alu instid0(VALU_DEP_3)
	v_add_co_ci_u32_e32 v37, vcc_lo, s5, v23, vcc_lo
	v_add_co_u32 v22, vcc_lo, s6, v22
	v_add_co_ci_u32_e32 v23, vcc_lo, s7, v23, vcc_lo
	global_load_b64 v[36:37], v[36:37], off
	global_load_b64 v[22:23], v[22:23], off
	v_lshlrev_b64 v[42:43], 3, v[0:1]
	v_add_nc_u32_e32 v0, s12, v0
	s_delay_alu instid0(VALU_DEP_2) | instskip(NEXT) | instid1(VALU_DEP_3)
	v_add_co_u32 v44, vcc_lo, s4, v42
	v_add_co_ci_u32_e32 v45, vcc_lo, s5, v43, vcc_lo
	v_add_co_u32 v42, vcc_lo, s6, v42
	v_add_co_ci_u32_e32 v43, vcc_lo, s7, v43, vcc_lo
	global_load_b64 v[44:45], v[44:45], off
	global_load_b64 v[42:43], v[42:43], off
	v_add_f64 v[2:3], v[2:3], v[34:35]
	s_waitcnt vmcnt(18)
	v_add_f64 v[6:7], v[12:13], -v[6:7]
	v_lshlrev_b64 v[12:13], 3, v[0:1]
	v_add_nc_u32_e32 v0, s3, v0
	s_delay_alu instid0(VALU_DEP_4) | instskip(NEXT) | instid1(VALU_DEP_3)
	v_add_f64 v[2:3], v[34:35], v[2:3]
	v_add_co_u32 v34, vcc_lo, s4, v12
	s_delay_alu instid0(VALU_DEP_4)
	v_add_co_ci_u32_e32 v35, vcc_lo, s5, v13, vcc_lo
	v_add_co_u32 v12, vcc_lo, s6, v12
	v_add_co_ci_u32_e32 v13, vcc_lo, s7, v13, vcc_lo
	global_load_b64 v[34:35], v[34:35], off
	global_load_b64 v[12:13], v[12:13], off
	s_waitcnt vmcnt(18)
	v_add_f64 v[10:11], v[16:17], -v[10:11]
	v_add_f64 v[2:3], v[2:3], v[6:7]
	v_lshlrev_b64 v[6:7], 3, v[0:1]
	v_add_nc_u32_e32 v0, s12, v0
	s_delay_alu instid0(VALU_DEP_2) | instskip(NEXT) | instid1(VALU_DEP_3)
	v_add_co_u32 v16, vcc_lo, s4, v6
	v_add_co_ci_u32_e32 v17, vcc_lo, s5, v7, vcc_lo
	v_add_co_u32 v6, vcc_lo, s6, v6
	v_add_co_ci_u32_e32 v7, vcc_lo, s7, v7, vcc_lo
	global_load_b64 v[16:17], v[16:17], off
	global_load_b64 v[6:7], v[6:7], off
	s_waitcnt vmcnt(18)
	v_add_f64 v[18:19], v[20:21], -v[18:19]
	v_add_f64 v[2:3], v[2:3], -v[10:11]
	v_lshlrev_b64 v[10:11], 3, v[0:1]
	v_add_nc_u32_e32 v0, s2, v0
	s_delay_alu instid0(VALU_DEP_2) | instskip(NEXT) | instid1(VALU_DEP_3)
	v_add_co_u32 v20, vcc_lo, s4, v10
	v_add_co_ci_u32_e32 v21, vcc_lo, s5, v11, vcc_lo
	v_add_co_u32 v10, vcc_lo, s6, v10
	v_add_co_ci_u32_e32 v11, vcc_lo, s7, v11, vcc_lo
	global_load_b64 v[20:21], v[20:21], off
	global_load_b64 v[10:11], v[10:11], off
	s_waitcnt vmcnt(18)
	v_add_f64 v[4:5], v[38:39], -v[4:5]
	s_waitcnt vmcnt(16)
	v_add_f64 v[8:9], v[14:15], -v[8:9]
	;; [unrolled: 2-line block ×3, first 2 shown]
	v_add_f64 v[2:3], v[2:3], v[18:19]
	v_lshlrev_b64 v[18:19], 3, v[0:1]
	v_add_nc_u32_e32 v0, s2, v0
	s_delay_alu instid0(VALU_DEP_2) | instskip(NEXT) | instid1(VALU_DEP_3)
	v_add_co_u32 v24, vcc_lo, s4, v18
	v_add_co_ci_u32_e32 v25, vcc_lo, s5, v19, vcc_lo
	v_add_co_u32 v18, vcc_lo, s6, v18
	v_add_co_ci_u32_e32 v19, vcc_lo, s7, v19, vcc_lo
	global_load_b64 v[24:25], v[24:25], off
	global_load_b64 v[18:19], v[18:19], off
	v_add_f64 v[4:5], v[4:5], v[8:9]
	v_lshlrev_b64 v[8:9], 3, v[0:1]
	v_add_nc_u32_e32 v0, s16, v0
	v_add_f64 v[2:3], v[2:3], v[14:15]
	s_delay_alu instid0(VALU_DEP_3) | instskip(NEXT) | instid1(VALU_DEP_4)
	v_add_co_u32 v14, vcc_lo, s4, v8
	v_add_co_ci_u32_e32 v15, vcc_lo, s5, v9, vcc_lo
	v_add_co_u32 v8, vcc_lo, s6, v8
	v_add_co_ci_u32_e32 v9, vcc_lo, s7, v9, vcc_lo
	global_load_b64 v[14:15], v[14:15], off
	global_load_b64 v[8:9], v[8:9], off
	s_waitcnt vmcnt(16)
	v_add_f64 v[26:27], v[28:29], -v[26:27]
	v_add_f64 v[2:3], v[2:3], -v[4:5]
	v_lshlrev_b64 v[4:5], 3, v[0:1]
	v_add_nc_u32_e32 v0, s12, v0
	s_delay_alu instid0(VALU_DEP_2) | instskip(NEXT) | instid1(VALU_DEP_3)
	v_add_co_u32 v28, vcc_lo, s4, v4
	v_add_co_ci_u32_e32 v29, vcc_lo, s5, v5, vcc_lo
	v_add_co_u32 v4, vcc_lo, s6, v4
	v_add_co_ci_u32_e32 v5, vcc_lo, s7, v5, vcc_lo
	global_load_b64 v[28:29], v[28:29], off
	global_load_b64 v[4:5], v[4:5], off
	s_waitcnt vmcnt(16)
	v_add_f64 v[30:31], v[32:33], -v[30:31]
	v_add_f64 v[2:3], v[2:3], -v[26:27]
	v_lshlrev_b64 v[26:27], 3, v[0:1]
	v_add_nc_u32_e32 v0, s16, v0
	s_delay_alu instid0(VALU_DEP_2) | instskip(NEXT) | instid1(VALU_DEP_3)
	v_add_co_u32 v32, vcc_lo, s4, v26
	v_add_co_ci_u32_e32 v33, vcc_lo, s5, v27, vcc_lo
	v_add_co_u32 v26, vcc_lo, s6, v26
	v_add_co_ci_u32_e32 v27, vcc_lo, s7, v27, vcc_lo
	global_load_b64 v[32:33], v[32:33], off
	global_load_b64 v[26:27], v[26:27], off
	s_waitcnt vmcnt(16)
	v_add_f64 v[22:23], v[36:37], -v[22:23]
	v_add_f64 v[2:3], v[2:3], v[30:31]
	v_lshlrev_b64 v[30:31], 3, v[0:1]
	v_add_nc_u32_e32 v0, s2, v0
	s_delay_alu instid0(VALU_DEP_2) | instskip(NEXT) | instid1(VALU_DEP_3)
	v_add_co_u32 v36, vcc_lo, s4, v30
	v_add_co_ci_u32_e32 v37, vcc_lo, s5, v31, vcc_lo
	v_add_co_u32 v30, vcc_lo, s6, v30
	v_add_co_ci_u32_e32 v31, vcc_lo, s7, v31, vcc_lo
	global_load_b64 v[36:37], v[36:37], off
	global_load_b64 v[30:31], v[30:31], off
	s_waitcnt vmcnt(16)
	v_add_f64 v[38:39], v[44:45], -v[42:43]
	v_add_f64 v[2:3], v[2:3], -v[22:23]
	v_lshlrev_b64 v[22:23], 3, v[0:1]
	v_add_nc_u32_e32 v0, s3, v0
	s_delay_alu instid0(VALU_DEP_2) | instskip(NEXT) | instid1(VALU_DEP_3)
	v_add_co_u32 v40, vcc_lo, s4, v22
	v_add_co_ci_u32_e32 v41, vcc_lo, s5, v23, vcc_lo
	v_add_co_u32 v22, vcc_lo, s6, v22
	v_add_co_ci_u32_e32 v23, vcc_lo, s7, v23, vcc_lo
	global_load_b64 v[40:41], v[40:41], off
	global_load_b64 v[22:23], v[22:23], off
	s_waitcnt vmcnt(16)
	v_add_f64 v[12:13], v[34:35], -v[12:13]
	v_lshlrev_b64 v[34:35], 3, v[0:1]
	v_add_nc_u32_e32 v0, s2, v0
	v_add_f64 v[2:3], v[2:3], v[38:39]
	s_delay_alu instid0(VALU_DEP_3) | instskip(NEXT) | instid1(VALU_DEP_4)
	v_add_co_u32 v38, vcc_lo, s4, v34
	v_add_co_ci_u32_e32 v39, vcc_lo, s5, v35, vcc_lo
	v_add_co_u32 v34, vcc_lo, s6, v34
	v_add_co_ci_u32_e32 v35, vcc_lo, s7, v35, vcc_lo
	global_load_b64 v[38:39], v[38:39], off
	global_load_b64 v[34:35], v[34:35], off
	s_waitcnt vmcnt(16)
	v_add_f64 v[6:7], v[16:17], -v[6:7]
	v_add_f64 v[2:3], v[2:3], -v[12:13]
	v_lshlrev_b64 v[12:13], 3, v[0:1]
	v_add_nc_u32_e32 v0, s12, v0
	s_delay_alu instid0(VALU_DEP_2) | instskip(NEXT) | instid1(VALU_DEP_3)
	v_add_co_u32 v16, vcc_lo, s4, v12
	v_add_co_ci_u32_e32 v17, vcc_lo, s5, v13, vcc_lo
	v_add_co_u32 v12, vcc_lo, s6, v12
	v_add_co_ci_u32_e32 v13, vcc_lo, s7, v13, vcc_lo
	global_load_b64 v[16:17], v[16:17], off
	global_load_b64 v[12:13], v[12:13], off
	s_waitcnt vmcnt(16)
	v_add_f64 v[10:11], v[20:21], -v[10:11]
	v_add_f64 v[2:3], v[2:3], v[6:7]
	v_lshlrev_b64 v[6:7], 3, v[0:1]
	v_add_nc_u32_e32 v0, s12, v0
	s_delay_alu instid0(VALU_DEP_2) | instskip(NEXT) | instid1(VALU_DEP_3)
	v_add_co_u32 v20, vcc_lo, s4, v6
	v_add_co_ci_u32_e32 v21, vcc_lo, s5, v7, vcc_lo
	v_add_co_u32 v6, vcc_lo, s6, v6
	v_add_co_ci_u32_e32 v7, vcc_lo, s7, v7, vcc_lo
	global_load_b64 v[20:21], v[20:21], off
	global_load_b64 v[6:7], v[6:7], off
	v_mad_u64_u32 v[42:43], null, s2, 12, v[0:1]
	v_mov_b32_e32 v43, v1
	s_waitcnt vmcnt(16)
	v_add_f64 v[18:19], v[24:25], -v[18:19]
	v_add_f64 v[2:3], v[2:3], -v[10:11]
	v_lshlrev_b64 v[10:11], 3, v[0:1]
	v_add_nc_u32_e32 v0, s12, v42
	s_delay_alu instid0(VALU_DEP_2) | instskip(NEXT) | instid1(VALU_DEP_3)
	v_add_co_u32 v24, vcc_lo, s4, v10
	v_add_co_ci_u32_e32 v25, vcc_lo, s5, v11, vcc_lo
	v_add_co_u32 v10, vcc_lo, s6, v10
	v_add_co_ci_u32_e32 v11, vcc_lo, s7, v11, vcc_lo
	global_load_b64 v[24:25], v[24:25], off
	global_load_b64 v[10:11], v[10:11], off
	s_waitcnt vmcnt(16)
	v_add_f64 v[8:9], v[14:15], -v[8:9]
	v_lshlrev_b64 v[14:15], 3, v[42:43]
	v_add_f64 v[2:3], v[2:3], -v[18:19]
	s_delay_alu instid0(VALU_DEP_2) | instskip(NEXT) | instid1(VALU_DEP_3)
	v_add_co_u32 v18, vcc_lo, s4, v14
	v_add_co_ci_u32_e32 v19, vcc_lo, s5, v15, vcc_lo
	v_add_co_u32 v14, vcc_lo, s6, v14
	v_add_co_ci_u32_e32 v15, vcc_lo, s7, v15, vcc_lo
	global_load_b64 v[18:19], v[18:19], off
	global_load_b64 v[14:15], v[14:15], off
	s_waitcnt vmcnt(16)
	v_add_f64 v[4:5], v[28:29], -v[4:5]
	v_add_f64 v[2:3], v[2:3], v[8:9]
	v_lshlrev_b64 v[8:9], 3, v[0:1]
	v_add_nc_u32_e32 v0, s2, v0
	s_delay_alu instid0(VALU_DEP_2) | instskip(NEXT) | instid1(VALU_DEP_3)
	v_add_co_u32 v28, vcc_lo, s4, v8
	v_add_co_ci_u32_e32 v29, vcc_lo, s5, v9, vcc_lo
	v_add_co_u32 v8, vcc_lo, s6, v8
	v_add_co_ci_u32_e32 v9, vcc_lo, s7, v9, vcc_lo
	global_load_b64 v[28:29], v[28:29], off
	global_load_b64 v[8:9], v[8:9], off
	s_waitcnt vmcnt(16)
	v_add_f64 v[26:27], v[32:33], -v[26:27]
	v_add_f64 v[2:3], v[2:3], -v[4:5]
	v_lshlrev_b64 v[4:5], 3, v[0:1]
	v_add_nc_u32_e32 v0, s13, v0
	s_delay_alu instid0(VALU_DEP_2) | instskip(NEXT) | instid1(VALU_DEP_3)
	v_add_co_u32 v32, vcc_lo, s4, v4
	v_add_co_ci_u32_e32 v33, vcc_lo, s5, v5, vcc_lo
	v_add_co_u32 v4, vcc_lo, s6, v4
	v_add_co_ci_u32_e32 v5, vcc_lo, s7, v5, vcc_lo
	global_load_b64 v[32:33], v[32:33], off
	global_load_b64 v[4:5], v[4:5], off
	s_waitcnt vmcnt(16)
	v_add_f64 v[30:31], v[36:37], -v[30:31]
	v_add_f64 v[2:3], v[2:3], v[26:27]
	v_lshlrev_b64 v[26:27], 3, v[0:1]
	v_add_nc_u32_e32 v0, s2, v0
	s_delay_alu instid0(VALU_DEP_2) | instskip(NEXT) | instid1(VALU_DEP_3)
	v_add_co_u32 v36, vcc_lo, s4, v26
	v_add_co_ci_u32_e32 v37, vcc_lo, s5, v27, vcc_lo
	v_add_co_u32 v26, vcc_lo, s6, v26
	v_add_co_ci_u32_e32 v27, vcc_lo, s7, v27, vcc_lo
	global_load_b64 v[36:37], v[36:37], off
	global_load_b64 v[26:27], v[26:27], off
	s_waitcnt vmcnt(16)
	v_add_f64 v[22:23], v[40:41], -v[22:23]
	v_add_f64 v[2:3], v[2:3], v[30:31]
	v_lshlrev_b64 v[30:31], 3, v[0:1]
	v_add_nc_u32_e32 v0, s3, v0
	s_delay_alu instid0(VALU_DEP_2) | instskip(NEXT) | instid1(VALU_DEP_3)
	v_add_co_u32 v40, vcc_lo, s4, v30
	v_add_co_ci_u32_e32 v41, vcc_lo, s5, v31, vcc_lo
	v_add_co_u32 v30, vcc_lo, s6, v30
	v_add_co_ci_u32_e32 v31, vcc_lo, s7, v31, vcc_lo
	global_load_b64 v[40:41], v[40:41], off
	global_load_b64 v[30:31], v[30:31], off
	s_waitcnt vmcnt(16)
	v_add_f64 v[34:35], v[38:39], -v[34:35]
	v_add_f64 v[2:3], v[2:3], -v[22:23]
	v_lshlrev_b64 v[22:23], 3, v[0:1]
	v_add_nc_u32_e32 v0, s16, v0
	s_delay_alu instid0(VALU_DEP_2) | instskip(NEXT) | instid1(VALU_DEP_3)
	v_add_co_u32 v38, vcc_lo, s4, v22
	v_add_co_ci_u32_e32 v39, vcc_lo, s5, v23, vcc_lo
	v_add_co_u32 v22, vcc_lo, s6, v22
	v_add_co_ci_u32_e32 v23, vcc_lo, s7, v23, vcc_lo
	global_load_b64 v[38:39], v[38:39], off
	global_load_b64 v[22:23], v[22:23], off
	s_waitcnt vmcnt(16)
	v_add_f64 v[12:13], v[16:17], -v[12:13]
	v_lshlrev_b64 v[16:17], 3, v[0:1]
	v_add_nc_u32_e32 v0, s2, v0
	v_add_f64 v[2:3], v[2:3], -v[34:35]
	s_delay_alu instid0(VALU_DEP_3) | instskip(NEXT) | instid1(VALU_DEP_4)
	v_add_co_u32 v34, vcc_lo, s4, v16
	v_add_co_ci_u32_e32 v35, vcc_lo, s5, v17, vcc_lo
	v_add_co_u32 v16, vcc_lo, s6, v16
	v_add_co_ci_u32_e32 v17, vcc_lo, s7, v17, vcc_lo
	global_load_b64 v[34:35], v[34:35], off
	global_load_b64 v[16:17], v[16:17], off
	s_waitcnt vmcnt(16)
	v_add_f64 v[6:7], v[20:21], -v[6:7]
	v_add_f64 v[2:3], v[2:3], -v[12:13]
	v_lshlrev_b64 v[12:13], 3, v[0:1]
	v_add_nc_u32_e32 v0, s15, v0
	s_delay_alu instid0(VALU_DEP_2) | instskip(NEXT) | instid1(VALU_DEP_3)
	v_add_co_u32 v20, vcc_lo, s4, v12
	v_add_co_ci_u32_e32 v21, vcc_lo, s5, v13, vcc_lo
	v_add_co_u32 v12, vcc_lo, s6, v12
	v_add_co_ci_u32_e32 v13, vcc_lo, s7, v13, vcc_lo
	global_load_b64 v[20:21], v[20:21], off
	global_load_b64 v[12:13], v[12:13], off
	s_waitcnt vmcnt(16)
	v_add_f64 v[10:11], v[24:25], -v[10:11]
	v_add_f64 v[2:3], v[2:3], v[6:7]
	v_lshlrev_b64 v[6:7], 3, v[0:1]
	v_add_nc_u32_e32 v0, s15, v0
	s_delay_alu instid0(VALU_DEP_2) | instskip(NEXT) | instid1(VALU_DEP_3)
	v_add_co_u32 v24, vcc_lo, s4, v6
	v_add_co_ci_u32_e32 v25, vcc_lo, s5, v7, vcc_lo
	v_add_co_u32 v6, vcc_lo, s6, v6
	v_add_co_ci_u32_e32 v7, vcc_lo, s7, v7, vcc_lo
	global_load_b64 v[24:25], v[24:25], off
	global_load_b64 v[6:7], v[6:7], off
	s_waitcnt vmcnt(16)
	v_add_f64 v[14:15], v[18:19], -v[14:15]
	v_add_f64 v[2:3], v[2:3], v[10:11]
	;; [unrolled: 12-line block ×4, first 2 shown]
	v_lshlrev_b64 v[8:9], 3, v[0:1]
	v_add_nc_u32_e32 v0, s14, v0
	s_delay_alu instid0(VALU_DEP_2) | instskip(NEXT) | instid1(VALU_DEP_3)
	v_add_co_u32 v32, vcc_lo, s4, v8
	v_add_co_ci_u32_e32 v33, vcc_lo, s5, v9, vcc_lo
	v_add_co_u32 v8, vcc_lo, s6, v8
	v_add_co_ci_u32_e32 v9, vcc_lo, s7, v9, vcc_lo
	global_load_b64 v[32:33], v[32:33], off
	global_load_b64 v[8:9], v[8:9], off
	v_mad_u64_u32 v[42:43], null, s2, 10, v[0:1]
	v_mov_b32_e32 v43, v1
	s_waitcnt vmcnt(16)
	v_add_f64 v[26:27], v[36:37], -v[26:27]
	v_add_f64 v[2:3], v[2:3], -v[4:5]
	v_lshlrev_b64 v[4:5], 3, v[0:1]
	v_add_nc_u32_e32 v0, s2, v42
	s_delay_alu instid0(VALU_DEP_2) | instskip(NEXT) | instid1(VALU_DEP_3)
	v_add_co_u32 v36, vcc_lo, s4, v4
	v_add_co_ci_u32_e32 v37, vcc_lo, s5, v5, vcc_lo
	v_add_co_u32 v4, vcc_lo, s6, v4
	v_add_co_ci_u32_e32 v5, vcc_lo, s7, v5, vcc_lo
	global_load_b64 v[36:37], v[36:37], off
	global_load_b64 v[4:5], v[4:5], off
	s_waitcnt vmcnt(16)
	v_add_f64 v[30:31], v[40:41], -v[30:31]
	v_add_f64 v[2:3], v[2:3], v[26:27]
	v_lshlrev_b64 v[26:27], 3, v[42:43]
	s_delay_alu instid0(VALU_DEP_1) | instskip(NEXT) | instid1(VALU_DEP_2)
	v_add_co_u32 v40, vcc_lo, s4, v26
	v_add_co_ci_u32_e32 v41, vcc_lo, s5, v27, vcc_lo
	v_add_co_u32 v26, vcc_lo, s6, v26
	v_add_co_ci_u32_e32 v27, vcc_lo, s7, v27, vcc_lo
	global_load_b64 v[40:41], v[40:41], off
	global_load_b64 v[26:27], v[26:27], off
	s_waitcnt vmcnt(16)
	v_add_f64 v[22:23], v[38:39], -v[22:23]
	v_add_f64 v[2:3], v[2:3], -v[30:31]
	v_lshlrev_b64 v[30:31], 3, v[0:1]
	v_add_nc_u32_e32 v0, s12, v0
	s_delay_alu instid0(VALU_DEP_2) | instskip(NEXT) | instid1(VALU_DEP_3)
	v_add_co_u32 v38, vcc_lo, s4, v30
	v_add_co_ci_u32_e32 v39, vcc_lo, s5, v31, vcc_lo
	v_add_co_u32 v30, vcc_lo, s6, v30
	v_add_co_ci_u32_e32 v31, vcc_lo, s7, v31, vcc_lo
	global_load_b64 v[38:39], v[38:39], off
	global_load_b64 v[30:31], v[30:31], off
	s_waitcnt vmcnt(16)
	v_add_f64 v[16:17], v[34:35], -v[16:17]
	v_add_f64 v[2:3], v[2:3], v[22:23]
	v_lshlrev_b64 v[22:23], 3, v[0:1]
	v_add_nc_u32_e32 v0, s14, v0
	s_delay_alu instid0(VALU_DEP_2) | instskip(NEXT) | instid1(VALU_DEP_3)
	v_add_co_u32 v34, vcc_lo, s4, v22
	v_add_co_ci_u32_e32 v35, vcc_lo, s5, v23, vcc_lo
	v_add_co_u32 v22, vcc_lo, s6, v22
	v_add_co_ci_u32_e32 v23, vcc_lo, s7, v23, vcc_lo
	global_load_b64 v[34:35], v[34:35], off
	global_load_b64 v[22:23], v[22:23], off
	s_waitcnt vmcnt(16)
	v_add_f64 v[12:13], v[20:21], -v[12:13]
	v_add_f64 v[2:3], v[2:3], -v[16:17]
	v_lshlrev_b64 v[16:17], 3, v[0:1]
	v_add_nc_u32_e32 v0, s13, v0
	s_delay_alu instid0(VALU_DEP_2) | instskip(NEXT) | instid1(VALU_DEP_3)
	v_add_co_u32 v20, vcc_lo, s4, v16
	v_add_co_ci_u32_e32 v21, vcc_lo, s5, v17, vcc_lo
	v_add_co_u32 v16, vcc_lo, s6, v16
	v_add_co_ci_u32_e32 v17, vcc_lo, s7, v17, vcc_lo
	global_load_b64 v[20:21], v[20:21], off
	global_load_b64 v[16:17], v[16:17], off
	s_waitcnt vmcnt(16)
	v_add_f64 v[6:7], v[24:25], -v[6:7]
	v_add_f64 v[2:3], v[2:3], -v[12:13]
	v_lshlrev_b64 v[12:13], 3, v[0:1]
	v_add_nc_u32_e32 v0, s12, v0
	s_delay_alu instid0(VALU_DEP_2) | instskip(NEXT) | instid1(VALU_DEP_3)
	v_add_co_u32 v24, vcc_lo, s4, v12
	v_add_co_ci_u32_e32 v25, vcc_lo, s5, v13, vcc_lo
	v_add_co_u32 v12, vcc_lo, s6, v12
	v_add_co_ci_u32_e32 v13, vcc_lo, s7, v13, vcc_lo
	global_load_b64 v[24:25], v[24:25], off
	global_load_b64 v[12:13], v[12:13], off
	v_mad_u64_u32 v[42:43], null, s2, 14, v[0:1]
	v_mov_b32_e32 v43, v1
	s_waitcnt vmcnt(16)
	v_add_f64 v[10:11], v[18:19], -v[10:11]
	v_add_f64 v[2:3], v[2:3], -v[6:7]
	v_lshlrev_b64 v[6:7], 3, v[0:1]
	v_add_nc_u32_e32 v0, s14, v42
	s_delay_alu instid0(VALU_DEP_2) | instskip(NEXT) | instid1(VALU_DEP_3)
	v_add_co_u32 v18, vcc_lo, s4, v6
	v_add_co_ci_u32_e32 v19, vcc_lo, s5, v7, vcc_lo
	v_add_co_u32 v6, vcc_lo, s6, v6
	v_add_co_ci_u32_e32 v7, vcc_lo, s7, v7, vcc_lo
	global_load_b64 v[18:19], v[18:19], off
	global_load_b64 v[6:7], v[6:7], off
	s_waitcnt vmcnt(16)
	v_add_f64 v[14:15], v[28:29], -v[14:15]
	v_add_f64 v[2:3], v[2:3], v[10:11]
	v_lshlrev_b64 v[10:11], 3, v[42:43]
	s_delay_alu instid0(VALU_DEP_1) | instskip(NEXT) | instid1(VALU_DEP_2)
	v_add_co_u32 v28, vcc_lo, s4, v10
	v_add_co_ci_u32_e32 v29, vcc_lo, s5, v11, vcc_lo
	v_add_co_u32 v10, vcc_lo, s6, v10
	v_add_co_ci_u32_e32 v11, vcc_lo, s7, v11, vcc_lo
	global_load_b64 v[28:29], v[28:29], off
	global_load_b64 v[10:11], v[10:11], off
	s_waitcnt vmcnt(16)
	v_add_f64 v[8:9], v[32:33], -v[8:9]
	v_add_f64 v[2:3], v[2:3], -v[14:15]
	v_lshlrev_b64 v[14:15], 3, v[0:1]
	v_add_nc_u32_e32 v0, s2, v0
	s_delay_alu instid0(VALU_DEP_2) | instskip(NEXT) | instid1(VALU_DEP_3)
	v_add_co_u32 v32, vcc_lo, s4, v14
	v_add_co_ci_u32_e32 v33, vcc_lo, s5, v15, vcc_lo
	v_add_co_u32 v14, vcc_lo, s6, v14
	v_add_co_ci_u32_e32 v15, vcc_lo, s7, v15, vcc_lo
	global_load_b64 v[32:33], v[32:33], off
	global_load_b64 v[14:15], v[14:15], off
	s_waitcnt vmcnt(16)
	v_add_f64 v[4:5], v[36:37], -v[4:5]
	v_add_f64 v[2:3], v[2:3], -v[8:9]
	v_lshlrev_b64 v[8:9], 3, v[0:1]
	v_add_nc_u32_e32 v0, s3, v0
	s_delay_alu instid0(VALU_DEP_2) | instskip(NEXT) | instid1(VALU_DEP_3)
	v_add_co_u32 v36, vcc_lo, s4, v8
	v_add_co_ci_u32_e32 v37, vcc_lo, s5, v9, vcc_lo
	v_add_co_u32 v8, vcc_lo, s6, v8
	v_add_co_ci_u32_e32 v9, vcc_lo, s7, v9, vcc_lo
	global_load_b64 v[36:37], v[36:37], off
	global_load_b64 v[8:9], v[8:9], off
	v_mad_u64_u32 v[42:43], null, s2, 7, v[0:1]
	v_mov_b32_e32 v43, v1
	s_waitcnt vmcnt(16)
	v_add_f64 v[26:27], v[40:41], -v[26:27]
	v_add_f64 v[2:3], v[2:3], v[4:5]
	v_lshlrev_b64 v[4:5], 3, v[0:1]
	v_add_nc_u32_e32 v0, s2, v42
	s_delay_alu instid0(VALU_DEP_2) | instskip(NEXT) | instid1(VALU_DEP_3)
	v_add_co_u32 v40, vcc_lo, s4, v4
	v_add_co_ci_u32_e32 v41, vcc_lo, s5, v5, vcc_lo
	v_add_co_u32 v4, vcc_lo, s6, v4
	v_add_co_ci_u32_e32 v5, vcc_lo, s7, v5, vcc_lo
	global_load_b64 v[40:41], v[40:41], off
	global_load_b64 v[4:5], v[4:5], off
	s_waitcnt vmcnt(16)
	v_add_f64 v[30:31], v[38:39], -v[30:31]
	v_add_f64 v[2:3], v[2:3], v[26:27]
	v_lshlrev_b64 v[26:27], 3, v[42:43]
	s_delay_alu instid0(VALU_DEP_1) | instskip(NEXT) | instid1(VALU_DEP_2)
	v_add_co_u32 v38, vcc_lo, s4, v26
	v_add_co_ci_u32_e32 v39, vcc_lo, s5, v27, vcc_lo
	v_add_co_u32 v26, vcc_lo, s6, v26
	v_add_co_ci_u32_e32 v27, vcc_lo, s7, v27, vcc_lo
	global_load_b64 v[38:39], v[38:39], off
	global_load_b64 v[26:27], v[26:27], off
	s_waitcnt vmcnt(16)
	v_add_f64 v[22:23], v[34:35], -v[22:23]
	v_add_f64 v[2:3], v[2:3], -v[30:31]
	v_lshlrev_b64 v[30:31], 3, v[0:1]
	v_add_nc_u32_e32 v0, s3, v0
	s_delay_alu instid0(VALU_DEP_2) | instskip(NEXT) | instid1(VALU_DEP_3)
	v_add_co_u32 v34, vcc_lo, s4, v30
	v_add_co_ci_u32_e32 v35, vcc_lo, s5, v31, vcc_lo
	v_add_co_u32 v30, vcc_lo, s6, v30
	v_add_co_ci_u32_e32 v31, vcc_lo, s7, v31, vcc_lo
	global_load_b64 v[34:35], v[34:35], off
	global_load_b64 v[30:31], v[30:31], off
	s_waitcnt vmcnt(16)
	v_add_f64 v[16:17], v[20:21], -v[16:17]
	v_lshlrev_b64 v[20:21], 3, v[0:1]
	v_add_nc_u32_e32 v0, s12, v0
	v_add_f64 v[2:3], v[2:3], v[22:23]
	s_delay_alu instid0(VALU_DEP_3) | instskip(NEXT) | instid1(VALU_DEP_4)
	v_add_co_u32 v22, vcc_lo, s4, v20
	v_add_co_ci_u32_e32 v23, vcc_lo, s5, v21, vcc_lo
	v_add_co_u32 v20, vcc_lo, s6, v20
	v_add_co_ci_u32_e32 v21, vcc_lo, s7, v21, vcc_lo
	global_load_b64 v[22:23], v[22:23], off
	global_load_b64 v[20:21], v[20:21], off
	s_waitcnt vmcnt(16)
	v_add_f64 v[12:13], v[24:25], -v[12:13]
	v_add_f64 v[2:3], v[2:3], v[16:17]
	v_lshlrev_b64 v[16:17], 3, v[0:1]
	s_delay_alu instid0(VALU_DEP_1) | instskip(NEXT) | instid1(VALU_DEP_2)
	v_add_co_u32 v24, vcc_lo, s4, v16
	v_add_co_ci_u32_e32 v25, vcc_lo, s5, v17, vcc_lo
	v_add_co_u32 v16, vcc_lo, s6, v16
	v_add_co_ci_u32_e32 v17, vcc_lo, s7, v17, vcc_lo
	global_load_b64 v[24:25], v[24:25], off
	global_load_b64 v[16:17], v[16:17], off
	s_load_b64 s[0:1], s[0:1], 0x20
	s_waitcnt vmcnt(16)
	v_add_f64 v[6:7], v[18:19], -v[6:7]
	v_add_f64 v[2:3], v[2:3], -v[12:13]
	s_waitcnt vmcnt(14)
	v_add_f64 v[10:11], v[28:29], -v[10:11]
	s_delay_alu instid0(VALU_DEP_2) | instskip(SKIP_2) | instid1(VALU_DEP_2)
	v_add_f64 v[2:3], v[2:3], v[6:7]
	s_waitcnt vmcnt(12)
	v_add_f64 v[6:7], v[32:33], -v[14:15]
	v_add_f64 v[2:3], v[2:3], v[10:11]
	s_waitcnt vmcnt(10)
	v_add_f64 v[8:9], v[36:37], -v[8:9]
	s_delay_alu instid0(VALU_DEP_2) | instskip(SKIP_2) | instid1(VALU_DEP_2)
	v_add_f64 v[2:3], v[2:3], v[6:7]
	s_waitcnt vmcnt(8)
	v_add_f64 v[4:5], v[40:41], -v[4:5]
	v_add_f64 v[2:3], v[2:3], -v[8:9]
	s_waitcnt vmcnt(6)
	v_add_f64 v[6:7], v[38:39], -v[26:27]
	s_delay_alu instid0(VALU_DEP_2) | instskip(SKIP_2) | instid1(VALU_DEP_2)
	v_add_f64 v[2:3], v[2:3], v[4:5]
	s_waitcnt vmcnt(4)
	v_add_f64 v[4:5], v[34:35], -v[30:31]
	v_add_f64 v[2:3], v[2:3], v[6:7]
	s_waitcnt vmcnt(2)
	v_add_f64 v[6:7], v[22:23], -v[20:21]
	s_delay_alu instid0(VALU_DEP_2) | instskip(SKIP_2) | instid1(VALU_DEP_2)
	v_add_f64 v[2:3], v[2:3], -v[4:5]
	s_waitcnt vmcnt(0)
	v_add_f64 v[4:5], v[24:25], -v[16:17]
	v_add_f64 v[2:3], v[2:3], -v[6:7]
	s_delay_alu instid0(VALU_DEP_1) | instskip(SKIP_2) | instid1(VALU_DEP_1)
	v_add_f64 v[2:3], v[2:3], v[4:5]
	v_mad_u64_u32 v[4:5], null, 0xffffff39, s2, v[0:1]
	v_mov_b32_e32 v5, v1
	v_lshlrev_b64 v[0:1], 3, v[4:5]
	s_delay_alu instid0(VALU_DEP_1) | instskip(NEXT) | instid1(VALU_DEP_2)
	v_add_co_u32 v0, vcc_lo, s8, v0
	v_add_co_ci_u32_e32 v1, vcc_lo, s9, v1, vcc_lo
	v_mul_f64 v[2:3], v[2:3], s[10:11]
	s_waitcnt lgkmcnt(0)
	s_delay_alu instid0(VALU_DEP_1)
	v_mul_f64 v[2:3], s[0:1], v[2:3]
	global_store_b64 v[0:1], v[2:3], off
	s_nop 0
	s_sendmsg sendmsg(MSG_DEALLOC_VGPRS)
	s_endpgm
	.section	.rodata,"a",@progbits
	.p2align	6, 0x0
	.amdhsa_kernel _Z14rdwdot9_kernelIdEvPKT_S2_PS0_S0_S2_
		.amdhsa_group_segment_fixed_size 0
		.amdhsa_private_segment_fixed_size 0
		.amdhsa_kernarg_size 296
		.amdhsa_user_sgpr_count 15
		.amdhsa_user_sgpr_dispatch_ptr 0
		.amdhsa_user_sgpr_queue_ptr 0
		.amdhsa_user_sgpr_kernarg_segment_ptr 1
		.amdhsa_user_sgpr_dispatch_id 0
		.amdhsa_user_sgpr_private_segment_size 0
		.amdhsa_wavefront_size32 1
		.amdhsa_uses_dynamic_stack 0
		.amdhsa_enable_private_segment 0
		.amdhsa_system_sgpr_workgroup_id_x 1
		.amdhsa_system_sgpr_workgroup_id_y 0
		.amdhsa_system_sgpr_workgroup_id_z 0
		.amdhsa_system_sgpr_workgroup_info 0
		.amdhsa_system_vgpr_workitem_id 0
		.amdhsa_next_free_vgpr 46
		.amdhsa_next_free_sgpr 17
		.amdhsa_reserve_vcc 1
		.amdhsa_float_round_mode_32 0
		.amdhsa_float_round_mode_16_64 0
		.amdhsa_float_denorm_mode_32 3
		.amdhsa_float_denorm_mode_16_64 3
		.amdhsa_dx10_clamp 1
		.amdhsa_ieee_mode 1
		.amdhsa_fp16_overflow 0
		.amdhsa_workgroup_processor_mode 1
		.amdhsa_memory_ordered 1
		.amdhsa_forward_progress 0
		.amdhsa_shared_vgpr_count 0
		.amdhsa_exception_fp_ieee_invalid_op 0
		.amdhsa_exception_fp_denorm_src 0
		.amdhsa_exception_fp_ieee_div_zero 0
		.amdhsa_exception_fp_ieee_overflow 0
		.amdhsa_exception_fp_ieee_underflow 0
		.amdhsa_exception_fp_ieee_inexact 0
		.amdhsa_exception_int_div_zero 0
	.end_amdhsa_kernel
	.section	.text._Z14rdwdot9_kernelIdEvPKT_S2_PS0_S0_S2_,"axG",@progbits,_Z14rdwdot9_kernelIdEvPKT_S2_PS0_S0_S2_,comdat
.Lfunc_end52:
	.size	_Z14rdwdot9_kernelIdEvPKT_S2_PS0_S0_S2_, .Lfunc_end52-_Z14rdwdot9_kernelIdEvPKT_S2_PS0_S0_S2_
                                        ; -- End function
	.section	.AMDGPU.csdata,"",@progbits
; Kernel info:
; codeLenInByte = 4672
; NumSgprs: 19
; NumVgprs: 46
; ScratchSize: 0
; MemoryBound: 0
; FloatMode: 240
; IeeeMode: 1
; LDSByteSize: 0 bytes/workgroup (compile time only)
; SGPRBlocks: 2
; VGPRBlocks: 5
; NumSGPRsForWavesPerEU: 19
; NumVGPRsForWavesPerEU: 46
; Occupancy: 16
; WaveLimiterHint : 0
; COMPUTE_PGM_RSRC2:SCRATCH_EN: 0
; COMPUTE_PGM_RSRC2:USER_SGPR: 15
; COMPUTE_PGM_RSRC2:TRAP_HANDLER: 0
; COMPUTE_PGM_RSRC2:TGID_X_EN: 1
; COMPUTE_PGM_RSRC2:TGID_Y_EN: 0
; COMPUTE_PGM_RSRC2:TGID_Z_EN: 0
; COMPUTE_PGM_RSRC2:TIDIG_COMP_CNT: 0
	.section	.text._Z15rdwdot10_kernelIdEvPKT_S2_PS0_S0_S2_,"axG",@progbits,_Z15rdwdot10_kernelIdEvPKT_S2_PS0_S0_S2_,comdat
	.protected	_Z15rdwdot10_kernelIdEvPKT_S2_PS0_S0_S2_ ; -- Begin function _Z15rdwdot10_kernelIdEvPKT_S2_PS0_S0_S2_
	.globl	_Z15rdwdot10_kernelIdEvPKT_S2_PS0_S0_S2_
	.p2align	8
	.type	_Z15rdwdot10_kernelIdEvPKT_S2_PS0_S0_S2_,@function
_Z15rdwdot10_kernelIdEvPKT_S2_PS0_S0_S2_: ; @_Z15rdwdot10_kernelIdEvPKT_S2_PS0_S0_S2_
; %bb.0:
	s_clause 0x3
	s_load_b256 s[4:11], s[0:1], 0x0
	s_load_b64 s[12:13], s[0:1], 0x20
	s_load_b32 s14, s[0:1], 0x28
	s_load_b32 s0, s[0:1], 0x34
	s_waitcnt lgkmcnt(0)
	s_load_b64 s[24:25], s[12:13], 0x0
	s_and_b32 s0, s0, 0xffff
	s_delay_alu instid0(SALU_CYCLE_1)
	v_mad_u64_u32 v[16:17], null, s15, s0, v[0:1]
	s_mul_i32 s14, s14, s0
	v_mov_b32_e32 v1, 0
	s_mul_i32 s1, s14, 11
	s_mul_i32 s0, s14, 7
	s_lshl_b32 s17, s14, 2
	s_mul_i32 s16, s14, 15
	s_delay_alu instid0(VALU_DEP_2)
	v_add_nc_u32_e32 v0, s1, v16
	s_mul_i32 s15, s14, 6
	s_mul_i32 s2, s14, 5
	;; [unrolled: 1-line block ×3, first 2 shown]
	s_lshl_b32 s20, s14, 1
	v_lshlrev_b64 v[2:3], 3, v[0:1]
	v_add_nc_u32_e32 v0, s14, v0
	s_mul_i32 s3, s14, 3
	s_lshl_b32 s21, s14, 3
	s_lshl_b32 s22, s14, 4
	s_mul_i32 s19, s14, 14
	v_add_co_u32 v4, vcc_lo, s4, v2
	v_add_co_ci_u32_e32 v5, vcc_lo, s5, v3, vcc_lo
	v_add_co_u32 v2, vcc_lo, s6, v2
	v_add_co_ci_u32_e32 v3, vcc_lo, s7, v3, vcc_lo
	global_load_b64 v[4:5], v[4:5], off
	s_mul_i32 s23, s14, 12
	v_mov_b32_e32 v17, v1
	global_load_b64 v[2:3], v[2:3], off
	s_waitcnt vmcnt(0)
	v_add_f64 v[2:3], v[4:5], -v[2:3]
	v_lshlrev_b64 v[4:5], 3, v[0:1]
	v_add_nc_u32_e32 v0, s14, v0
	s_delay_alu instid0(VALU_DEP_2) | instskip(NEXT) | instid1(VALU_DEP_3)
	v_add_co_u32 v6, vcc_lo, s4, v4
	v_add_co_ci_u32_e32 v7, vcc_lo, s5, v5, vcc_lo
	v_add_co_u32 v4, vcc_lo, s6, v4
	v_add_co_ci_u32_e32 v5, vcc_lo, s7, v5, vcc_lo
	global_load_b64 v[6:7], v[6:7], off
	global_load_b64 v[4:5], v[4:5], off
	s_waitcnt vmcnt(0)
	v_add_f64 v[4:5], v[6:7], -v[4:5]
	s_delay_alu instid0(VALU_DEP_1) | instskip(SKIP_2) | instid1(VALU_DEP_2)
	v_add_f64 v[2:3], v[2:3], v[4:5]
	v_lshlrev_b64 v[4:5], 3, v[0:1]
	v_add_nc_u32_e32 v0, s14, v0
	v_add_co_u32 v6, vcc_lo, s4, v4
	s_delay_alu instid0(VALU_DEP_3)
	v_add_co_ci_u32_e32 v7, vcc_lo, s5, v5, vcc_lo
	v_add_co_u32 v4, vcc_lo, s6, v4
	v_add_co_ci_u32_e32 v5, vcc_lo, s7, v5, vcc_lo
	global_load_b64 v[6:7], v[6:7], off
	global_load_b64 v[4:5], v[4:5], off
	s_waitcnt vmcnt(0)
	v_add_f64 v[4:5], v[6:7], -v[4:5]
	s_delay_alu instid0(VALU_DEP_1) | instskip(SKIP_2) | instid1(VALU_DEP_2)
	v_add_f64 v[2:3], v[2:3], v[4:5]
	v_lshlrev_b64 v[4:5], 3, v[0:1]
	v_add_nc_u32_e32 v0, s0, v0
	v_add_co_u32 v6, vcc_lo, s4, v4
	s_delay_alu instid0(VALU_DEP_3)
	;; [unrolled: 13-line block ×3, first 2 shown]
	v_add_co_ci_u32_e32 v5, vcc_lo, s5, v3, vcc_lo
	v_add_co_u32 v2, vcc_lo, s6, v2
	v_add_co_ci_u32_e32 v3, vcc_lo, s7, v3, vcc_lo
	global_load_b64 v[4:5], v[4:5], off
	global_load_b64 v[2:3], v[2:3], off
	s_waitcnt vmcnt(0)
	v_add_f64 v[2:3], v[4:5], -v[2:3]
	v_lshlrev_b64 v[4:5], 3, v[0:1]
	v_add_nc_u32_e32 v0, s17, v0
	s_delay_alu instid0(VALU_DEP_2) | instskip(NEXT) | instid1(VALU_DEP_3)
	v_add_co_u32 v6, vcc_lo, s4, v4
	v_add_co_ci_u32_e32 v7, vcc_lo, s5, v5, vcc_lo
	v_add_co_u32 v4, vcc_lo, s6, v4
	v_add_co_ci_u32_e32 v5, vcc_lo, s7, v5, vcc_lo
	global_load_b64 v[6:7], v[6:7], off
	global_load_b64 v[4:5], v[4:5], off
	s_waitcnt vmcnt(0)
	v_add_f64 v[4:5], v[6:7], -v[4:5]
	s_delay_alu instid0(VALU_DEP_1) | instskip(SKIP_2) | instid1(VALU_DEP_2)
	v_add_f64 v[8:9], v[2:3], v[4:5]
	v_lshlrev_b64 v[2:3], 3, v[0:1]
	v_add_nc_u32_e32 v0, s14, v0
	v_add_co_u32 v4, vcc_lo, s4, v2
	s_delay_alu instid0(VALU_DEP_3)
	v_add_co_ci_u32_e32 v5, vcc_lo, s5, v3, vcc_lo
	v_add_co_u32 v2, vcc_lo, s6, v2
	v_add_co_ci_u32_e32 v3, vcc_lo, s7, v3, vcc_lo
	global_load_b64 v[4:5], v[4:5], off
	global_load_b64 v[2:3], v[2:3], off
	s_waitcnt vmcnt(0)
	v_add_f64 v[2:3], v[4:5], -v[2:3]
	v_lshlrev_b64 v[4:5], 3, v[0:1]
	s_delay_alu instid0(VALU_DEP_1) | instskip(NEXT) | instid1(VALU_DEP_2)
	v_add_co_u32 v6, vcc_lo, s4, v4
	v_add_co_ci_u32_e32 v7, vcc_lo, s5, v5, vcc_lo
	v_add_co_u32 v4, vcc_lo, s6, v4
	v_add_co_ci_u32_e32 v5, vcc_lo, s7, v5, vcc_lo
	global_load_b64 v[6:7], v[6:7], off
	global_load_b64 v[4:5], v[4:5], off
	s_waitcnt vmcnt(0)
	v_add_f64 v[4:5], v[6:7], -v[4:5]
	s_delay_alu instid0(VALU_DEP_1) | instskip(SKIP_2) | instid1(VALU_DEP_1)
	v_add_f64 v[4:5], v[2:3], v[4:5]
	v_mad_u64_u32 v[2:3], null, 0xffffffe9, s14, v[0:1]
	v_mov_b32_e32 v3, v1
	v_lshlrev_b64 v[6:7], 3, v[2:3]
	v_add_nc_u32_e32 v0, s14, v2
	s_delay_alu instid0(VALU_DEP_2) | instskip(NEXT) | instid1(VALU_DEP_3)
	v_add_co_u32 v12, vcc_lo, s4, v6
	v_add_co_ci_u32_e32 v13, vcc_lo, s5, v7, vcc_lo
	v_add_co_u32 v6, vcc_lo, s6, v6
	v_add_co_ci_u32_e32 v7, vcc_lo, s7, v7, vcc_lo
	global_load_b64 v[12:13], v[12:13], off
	v_lshlrev_b64 v[2:3], 3, v[0:1]
	v_add_nc_u32_e32 v0, s14, v0
	global_load_b64 v[6:7], v[6:7], off
	s_waitcnt vmcnt(0)
	v_add_f64 v[6:7], v[12:13], -v[6:7]
	v_add_co_u32 v12, vcc_lo, s4, v2
	v_add_co_ci_u32_e32 v13, vcc_lo, s5, v3, vcc_lo
	v_add_co_u32 v14, vcc_lo, s6, v2
	v_add_co_ci_u32_e32 v15, vcc_lo, s7, v3, vcc_lo
	global_load_b64 v[12:13], v[12:13], off
	global_load_b64 v[14:15], v[14:15], off
	s_waitcnt vmcnt(0)
	v_add_f64 v[12:13], v[12:13], -v[14:15]
	s_delay_alu instid0(VALU_DEP_1) | instskip(SKIP_2) | instid1(VALU_DEP_2)
	v_add_f64 v[6:7], v[6:7], v[12:13]
	v_lshlrev_b64 v[12:13], 3, v[0:1]
	v_add_nc_u32_e32 v0, s14, v0
	v_add_co_u32 v14, vcc_lo, s4, v12
	s_delay_alu instid0(VALU_DEP_3)
	v_add_co_ci_u32_e32 v15, vcc_lo, s5, v13, vcc_lo
	v_add_co_u32 v12, vcc_lo, s6, v12
	v_add_co_ci_u32_e32 v13, vcc_lo, s7, v13, vcc_lo
	global_load_b64 v[14:15], v[14:15], off
	global_load_b64 v[12:13], v[12:13], off
	s_waitcnt vmcnt(0)
	v_add_f64 v[12:13], v[14:15], -v[12:13]
	s_delay_alu instid0(VALU_DEP_1) | instskip(SKIP_3) | instid1(VALU_DEP_3)
	v_add_f64 v[6:7], v[6:7], v[12:13]
	v_lshlrev_b64 v[12:13], 3, v[0:1]
	v_add_nc_u32_e32 v0, s14, v16
	v_lshlrev_b64 v[16:17], 3, v[16:17]
	v_add_co_u32 v14, vcc_lo, s4, v12
	s_delay_alu instid0(VALU_DEP_4)
	v_add_co_ci_u32_e32 v15, vcc_lo, s5, v13, vcc_lo
	v_add_co_u32 v12, vcc_lo, s6, v12
	v_add_co_ci_u32_e32 v13, vcc_lo, s7, v13, vcc_lo
	global_load_b64 v[14:15], v[14:15], off
	global_load_b64 v[12:13], v[12:13], off
	s_waitcnt vmcnt(0)
	v_add_f64 v[12:13], v[14:15], -v[12:13]
	s_delay_alu instid0(VALU_DEP_1) | instskip(SKIP_2) | instid1(VALU_DEP_2)
	v_add_f64 v[14:15], v[6:7], v[12:13]
	v_lshlrev_b64 v[6:7], 3, v[0:1]
	v_add_nc_u32_e32 v0, s14, v0
	v_add_co_u32 v12, vcc_lo, s4, v6
	s_delay_alu instid0(VALU_DEP_3)
	v_add_co_ci_u32_e32 v13, vcc_lo, s5, v7, vcc_lo
	v_add_co_u32 v6, vcc_lo, s6, v6
	v_add_co_ci_u32_e32 v7, vcc_lo, s7, v7, vcc_lo
	global_load_b64 v[12:13], v[12:13], off
	global_load_b64 v[6:7], v[6:7], off
	s_waitcnt vmcnt(0)
	v_add_f64 v[18:19], v[12:13], -v[6:7]
	v_lshlrev_b64 v[12:13], 3, v[0:1]
	v_add_nc_u32_e32 v0, s16, v0
	s_delay_alu instid0(VALU_DEP_2) | instskip(NEXT) | instid1(VALU_DEP_3)
	v_add_co_u32 v6, vcc_lo, s4, v12
	v_add_co_ci_u32_e32 v7, vcc_lo, s5, v13, vcc_lo
	v_add_co_u32 v20, vcc_lo, s6, v12
	v_add_co_ci_u32_e32 v21, vcc_lo, s7, v13, vcc_lo
	global_load_b64 v[6:7], v[6:7], off
	global_load_b64 v[20:21], v[20:21], off
	s_waitcnt vmcnt(0)
	v_add_f64 v[6:7], v[6:7], -v[20:21]
	s_delay_alu instid0(VALU_DEP_1) | instskip(NEXT) | instid1(VALU_DEP_1)
	v_add_f64 v[20:21], -v[18:19], -v[6:7]
	v_add_f64 v[20:21], v[14:15], v[20:21]
	v_lshlrev_b64 v[14:15], 3, v[0:1]
	v_add_nc_u32_e32 v0, s15, v0
	s_delay_alu instid0(VALU_DEP_2) | instskip(NEXT) | instid1(VALU_DEP_3)
	v_add_co_u32 v22, vcc_lo, s4, v14
	v_add_co_ci_u32_e32 v23, vcc_lo, s5, v15, vcc_lo
	v_add_co_u32 v14, vcc_lo, s6, v14
	v_add_co_ci_u32_e32 v15, vcc_lo, s7, v15, vcc_lo
	global_load_b64 v[22:23], v[22:23], off
	global_load_b64 v[14:15], v[14:15], off
	s_waitcnt vmcnt(0)
	v_add_f64 v[14:15], v[22:23], -v[14:15]
	v_lshlrev_b64 v[22:23], 3, v[0:1]
	v_add_nc_u32_e32 v0, s0, v0
	s_delay_alu instid0(VALU_DEP_2) | instskip(NEXT) | instid1(VALU_DEP_3)
	v_add_co_u32 v24, vcc_lo, s4, v22
	v_add_co_ci_u32_e32 v25, vcc_lo, s5, v23, vcc_lo
	v_add_co_u32 v22, vcc_lo, s6, v22
	v_add_co_ci_u32_e32 v23, vcc_lo, s7, v23, vcc_lo
	global_load_b64 v[24:25], v[24:25], off
	global_load_b64 v[22:23], v[22:23], off
	v_add_f64 v[20:21], v[20:21], v[14:15]
	s_waitcnt vmcnt(0)
	v_add_f64 v[22:23], v[24:25], -v[22:23]
	s_delay_alu instid0(VALU_DEP_1) | instskip(SKIP_2) | instid1(VALU_DEP_2)
	v_add_f64 v[20:21], v[20:21], v[22:23]
	v_lshlrev_b64 v[22:23], 3, v[0:1]
	v_add_nc_u32_e32 v0, s2, v0
	v_add_co_u32 v24, vcc_lo, s4, v22
	s_delay_alu instid0(VALU_DEP_3)
	v_add_co_ci_u32_e32 v25, vcc_lo, s5, v23, vcc_lo
	v_add_co_u32 v22, vcc_lo, s6, v22
	v_add_co_ci_u32_e32 v23, vcc_lo, s7, v23, vcc_lo
	global_load_b64 v[24:25], v[24:25], off
	global_load_b64 v[22:23], v[22:23], off
	s_waitcnt vmcnt(0)
	v_add_f64 v[22:23], v[24:25], -v[22:23]
	s_delay_alu instid0(VALU_DEP_1) | instskip(SKIP_2) | instid1(VALU_DEP_2)
	v_add_f64 v[20:21], v[20:21], -v[22:23]
	v_lshlrev_b64 v[22:23], 3, v[0:1]
	v_add_nc_u32_e32 v0, s15, v0
	v_add_co_u32 v24, vcc_lo, s4, v22
	s_delay_alu instid0(VALU_DEP_3)
	v_add_co_ci_u32_e32 v25, vcc_lo, s5, v23, vcc_lo
	v_add_co_u32 v22, vcc_lo, s6, v22
	v_add_co_ci_u32_e32 v23, vcc_lo, s7, v23, vcc_lo
	global_load_b64 v[24:25], v[24:25], off
	global_load_b64 v[22:23], v[22:23], off
	s_waitcnt vmcnt(0)
	v_add_f64 v[22:23], v[24:25], -v[22:23]
	s_delay_alu instid0(VALU_DEP_1) | instskip(SKIP_2) | instid1(VALU_DEP_2)
	v_add_f64 v[20:21], v[20:21], -v[22:23]
	v_lshlrev_b64 v[22:23], 3, v[0:1]
	v_add_nc_u32_e32 v0, s0, v0
	v_add_co_u32 v24, vcc_lo, s4, v22
	s_delay_alu instid0(VALU_DEP_3)
	v_add_co_ci_u32_e32 v25, vcc_lo, s5, v23, vcc_lo
	v_add_co_u32 v22, vcc_lo, s6, v22
	v_add_co_ci_u32_e32 v23, vcc_lo, s7, v23, vcc_lo
	global_load_b64 v[24:25], v[24:25], off
	global_load_b64 v[22:23], v[22:23], off
	s_waitcnt vmcnt(0)
	v_add_f64 v[22:23], v[24:25], -v[22:23]
	s_delay_alu instid0(VALU_DEP_1) | instskip(SKIP_2) | instid1(VALU_DEP_2)
	v_add_f64 v[20:21], v[20:21], v[22:23]
	v_lshlrev_b64 v[22:23], 3, v[0:1]
	v_add_nc_u32_e32 v0, s18, v0
	v_add_co_u32 v24, vcc_lo, s4, v22
	s_delay_alu instid0(VALU_DEP_3)
	v_add_co_ci_u32_e32 v25, vcc_lo, s5, v23, vcc_lo
	v_add_co_u32 v22, vcc_lo, s6, v22
	v_add_co_ci_u32_e32 v23, vcc_lo, s7, v23, vcc_lo
	global_load_b64 v[24:25], v[24:25], off
	global_load_b64 v[22:23], v[22:23], off
	s_waitcnt vmcnt(0)
	v_add_f64 v[22:23], v[24:25], -v[22:23]
	s_delay_alu instid0(VALU_DEP_1) | instskip(SKIP_2) | instid1(VALU_DEP_2)
	v_add_f64 v[20:21], v[20:21], -v[22:23]
	v_lshlrev_b64 v[22:23], 3, v[0:1]
	v_add_nc_u32_e32 v0, s20, v0
	v_add_co_u32 v24, vcc_lo, s4, v22
	s_delay_alu instid0(VALU_DEP_3)
	v_add_co_ci_u32_e32 v25, vcc_lo, s5, v23, vcc_lo
	v_add_co_u32 v22, vcc_lo, s6, v22
	v_add_co_ci_u32_e32 v23, vcc_lo, s7, v23, vcc_lo
	global_load_b64 v[24:25], v[24:25], off
	global_load_b64 v[22:23], v[22:23], off
	s_waitcnt vmcnt(0)
	v_add_f64 v[22:23], v[24:25], -v[22:23]
	s_delay_alu instid0(VALU_DEP_1) | instskip(SKIP_2) | instid1(VALU_DEP_2)
	v_add_f64 v[20:21], v[20:21], v[22:23]
	v_lshlrev_b64 v[22:23], 3, v[0:1]
	v_add_nc_u32_e32 v0, s14, v0
	v_add_co_u32 v24, vcc_lo, s4, v22
	s_delay_alu instid0(VALU_DEP_3)
	v_add_co_ci_u32_e32 v25, vcc_lo, s5, v23, vcc_lo
	v_add_co_u32 v22, vcc_lo, s6, v22
	v_add_co_ci_u32_e32 v23, vcc_lo, s7, v23, vcc_lo
	global_load_b64 v[24:25], v[24:25], off
	global_load_b64 v[22:23], v[22:23], off
	s_waitcnt vmcnt(0)
	v_add_f64 v[22:23], v[24:25], -v[22:23]
	s_delay_alu instid0(VALU_DEP_1) | instskip(SKIP_2) | instid1(VALU_DEP_2)
	v_add_f64 v[20:21], v[20:21], v[22:23]
	v_lshlrev_b64 v[22:23], 3, v[0:1]
	v_add_nc_u32_e32 v0, s3, v0
	v_add_co_u32 v24, vcc_lo, s4, v22
	s_delay_alu instid0(VALU_DEP_3)
	v_add_co_ci_u32_e32 v25, vcc_lo, s5, v23, vcc_lo
	v_add_co_u32 v22, vcc_lo, s6, v22
	v_add_co_ci_u32_e32 v23, vcc_lo, s7, v23, vcc_lo
	global_load_b64 v[24:25], v[24:25], off
	global_load_b64 v[22:23], v[22:23], off
	s_waitcnt vmcnt(0)
	v_add_f64 v[24:25], v[24:25], -v[22:23]
	v_lshlrev_b64 v[22:23], 3, v[0:1]
	v_add_nc_u32_e32 v0, s21, v0
	s_delay_alu instid0(VALU_DEP_2) | instskip(NEXT) | instid1(VALU_DEP_3)
	v_add_co_u32 v26, vcc_lo, s4, v22
	v_add_co_ci_u32_e32 v27, vcc_lo, s5, v23, vcc_lo
	v_add_co_u32 v22, vcc_lo, s6, v22
	v_add_co_ci_u32_e32 v23, vcc_lo, s7, v23, vcc_lo
	global_load_b64 v[26:27], v[26:27], off
	global_load_b64 v[22:23], v[22:23], off
	v_add_f64 v[20:21], v[20:21], v[24:25]
	s_waitcnt vmcnt(0)
	v_add_f64 v[22:23], v[26:27], -v[22:23]
	s_delay_alu instid0(VALU_DEP_1) | instskip(SKIP_1) | instid1(VALU_DEP_1)
	v_add_f64 v[20:21], v[20:21], -v[22:23]
	v_lshlrev_b64 v[22:23], 3, v[0:1]
	v_add_co_u32 v26, vcc_lo, s4, v22
	s_delay_alu instid0(VALU_DEP_2)
	v_add_co_ci_u32_e32 v27, vcc_lo, s5, v23, vcc_lo
	v_add_co_u32 v22, vcc_lo, s6, v22
	v_add_co_ci_u32_e32 v23, vcc_lo, s7, v23, vcc_lo
	global_load_b64 v[26:27], v[26:27], off
	global_load_b64 v[22:23], v[22:23], off
	s_waitcnt vmcnt(0)
	v_add_f64 v[22:23], v[26:27], -v[22:23]
	s_delay_alu instid0(VALU_DEP_1) | instskip(SKIP_2) | instid1(VALU_DEP_1)
	v_add_f64 v[20:21], v[20:21], v[22:23]
	v_mad_u64_u32 v[22:23], null, s14, 24, v[0:1]
	v_mov_b32_e32 v23, v1
	v_lshlrev_b64 v[26:27], 3, v[22:23]
	v_add_nc_u32_e32 v0, s15, v22
	s_delay_alu instid0(VALU_DEP_2) | instskip(NEXT) | instid1(VALU_DEP_3)
	v_add_co_u32 v28, vcc_lo, s4, v26
	v_add_co_ci_u32_e32 v29, vcc_lo, s5, v27, vcc_lo
	v_add_co_u32 v26, vcc_lo, s6, v26
	v_add_co_ci_u32_e32 v27, vcc_lo, s7, v27, vcc_lo
	global_load_b64 v[28:29], v[28:29], off
	v_lshlrev_b64 v[22:23], 3, v[0:1]
	global_load_b64 v[26:27], v[26:27], off
	s_waitcnt vmcnt(0)
	v_add_f64 v[26:27], v[28:29], -v[26:27]
	s_delay_alu instid0(VALU_DEP_1)
	v_add_f64 v[20:21], v[20:21], v[26:27]
	v_add_co_u32 v26, vcc_lo, s4, v22
	v_add_co_ci_u32_e32 v27, vcc_lo, s5, v23, vcc_lo
	v_add_co_u32 v22, vcc_lo, s6, v22
	v_add_co_ci_u32_e32 v23, vcc_lo, s7, v23, vcc_lo
	global_load_b64 v[26:27], v[26:27], off
	global_load_b64 v[22:23], v[22:23], off
	s_waitcnt vmcnt(0)
	v_add_f64 v[22:23], v[26:27], -v[22:23]
	s_delay_alu instid0(VALU_DEP_1) | instskip(SKIP_2) | instid1(VALU_DEP_1)
	v_add_f64 v[20:21], v[20:21], v[22:23]
	v_mad_u64_u32 v[22:23], null, s14, 25, v[0:1]
	v_mov_b32_e32 v23, v1
	v_lshlrev_b64 v[26:27], 3, v[22:23]
	v_add_nc_u32_e32 v0, s15, v22
	s_delay_alu instid0(VALU_DEP_2) | instskip(NEXT) | instid1(VALU_DEP_3)
	v_add_co_u32 v28, vcc_lo, s4, v26
	v_add_co_ci_u32_e32 v29, vcc_lo, s5, v27, vcc_lo
	v_add_co_u32 v26, vcc_lo, s6, v26
	v_add_co_ci_u32_e32 v27, vcc_lo, s7, v27, vcc_lo
	global_load_b64 v[28:29], v[28:29], off
	v_lshlrev_b64 v[22:23], 3, v[0:1]
	v_add_nc_u32_e32 v0, s14, v0
	global_load_b64 v[26:27], v[26:27], off
	s_waitcnt vmcnt(0)
	v_add_f64 v[26:27], v[28:29], -v[26:27]
	s_delay_alu instid0(VALU_DEP_1)
	v_add_f64 v[20:21], v[20:21], v[26:27]
	v_add_co_u32 v26, vcc_lo, s4, v22
	v_add_co_ci_u32_e32 v27, vcc_lo, s5, v23, vcc_lo
	v_add_co_u32 v22, vcc_lo, s6, v22
	v_add_co_ci_u32_e32 v23, vcc_lo, s7, v23, vcc_lo
	global_load_b64 v[26:27], v[26:27], off
	global_load_b64 v[22:23], v[22:23], off
	s_waitcnt vmcnt(0)
	v_add_f64 v[22:23], v[26:27], -v[22:23]
	s_delay_alu instid0(VALU_DEP_1) | instskip(SKIP_2) | instid1(VALU_DEP_2)
	v_add_f64 v[20:21], v[20:21], v[22:23]
	v_lshlrev_b64 v[22:23], 3, v[0:1]
	v_add_nc_u32_e32 v0, s22, v0
	v_add_co_u32 v26, vcc_lo, s4, v22
	s_delay_alu instid0(VALU_DEP_3)
	v_add_co_ci_u32_e32 v27, vcc_lo, s5, v23, vcc_lo
	v_add_co_u32 v22, vcc_lo, s6, v22
	v_add_co_ci_u32_e32 v23, vcc_lo, s7, v23, vcc_lo
	global_load_b64 v[26:27], v[26:27], off
	global_load_b64 v[22:23], v[22:23], off
	s_waitcnt vmcnt(0)
	v_add_f64 v[22:23], v[26:27], -v[22:23]
	s_delay_alu instid0(VALU_DEP_1) | instskip(SKIP_2) | instid1(VALU_DEP_2)
	v_add_f64 v[20:21], v[20:21], v[22:23]
	v_lshlrev_b64 v[22:23], 3, v[0:1]
	v_add_nc_u32_e32 v0, s2, v0
	v_add_co_u32 v26, vcc_lo, s4, v22
	s_delay_alu instid0(VALU_DEP_3)
	;; [unrolled: 13-line block ×7, first 2 shown]
	v_add_co_ci_u32_e32 v27, vcc_lo, s5, v23, vcc_lo
	v_add_co_u32 v22, vcc_lo, s6, v22
	v_add_co_ci_u32_e32 v23, vcc_lo, s7, v23, vcc_lo
	global_load_b64 v[26:27], v[26:27], off
	global_load_b64 v[22:23], v[22:23], off
	s_waitcnt vmcnt(0)
	v_add_f64 v[22:23], v[26:27], -v[22:23]
	s_delay_alu instid0(VALU_DEP_1) | instskip(SKIP_1) | instid1(VALU_DEP_1)
	v_add_f64 v[20:21], v[20:21], v[22:23]
	v_lshlrev_b64 v[22:23], 3, v[0:1]
	v_add_co_u32 v26, vcc_lo, s4, v22
	s_delay_alu instid0(VALU_DEP_2)
	v_add_co_ci_u32_e32 v27, vcc_lo, s5, v23, vcc_lo
	v_add_co_u32 v22, vcc_lo, s6, v22
	v_add_co_ci_u32_e32 v23, vcc_lo, s7, v23, vcc_lo
	global_load_b64 v[26:27], v[26:27], off
	global_load_b64 v[22:23], v[22:23], off
	s_waitcnt vmcnt(0)
	v_add_f64 v[22:23], v[26:27], -v[22:23]
	v_mad_u64_u32 v[26:27], null, 0xffffff3c, s14, v[0:1]
	s_delay_alu instid0(VALU_DEP_1) | instskip(NEXT) | instid1(VALU_DEP_3)
	v_dual_mov_b32 v27, v1 :: v_dual_add_nc_u32 v0, s15, v26
	v_add_f64 v[20:21], v[20:21], v[22:23]
	v_add_co_u32 v22, vcc_lo, s8, v16
	v_add_co_ci_u32_e32 v23, vcc_lo, s9, v17, vcc_lo
	s_delay_alu instid0(VALU_DEP_3) | instskip(SKIP_1) | instid1(VALU_DEP_1)
	v_mul_f64 v[20:21], v[20:21], s[10:11]
	s_waitcnt lgkmcnt(0)
	v_mul_f64 v[20:21], s[24:25], v[20:21]
	s_mul_i32 s24, s14, 17
	global_store_b64 v[22:23], v[20:21], off
	v_add_co_u32 v20, vcc_lo, s4, v16
	v_add_co_ci_u32_e32 v21, vcc_lo, s5, v17, vcc_lo
	v_add_co_u32 v16, vcc_lo, s6, v16
	v_add_co_ci_u32_e32 v17, vcc_lo, s7, v17, vcc_lo
	global_load_b64 v[20:21], v[20:21], off
	global_load_b64 v[16:17], v[16:17], off
	s_waitcnt vmcnt(0)
	v_add_f64 v[22:23], v[20:21], -v[16:17]
	v_lshlrev_b64 v[16:17], 3, v[26:27]
	s_delay_alu instid0(VALU_DEP_2) | instskip(NEXT) | instid1(VALU_DEP_2)
	v_add_f64 v[20:21], v[22:23], -v[18:19]
	v_add_co_u32 v18, vcc_lo, s4, v16
	s_delay_alu instid0(VALU_DEP_3)
	v_add_co_ci_u32_e32 v19, vcc_lo, s5, v17, vcc_lo
	v_add_co_u32 v27, vcc_lo, s6, v16
	v_add_co_ci_u32_e32 v28, vcc_lo, s7, v17, vcc_lo
	global_load_b64 v[18:19], v[18:19], off
	global_load_b64 v[27:28], v[27:28], off
	s_waitcnt vmcnt(0)
	v_add_f64 v[18:19], v[18:19], -v[27:28]
	v_lshlrev_b64 v[26:27], 3, v[0:1]
	v_add_nc_u32_e32 v0, s14, v0
	s_delay_alu instid0(VALU_DEP_2) | instskip(NEXT) | instid1(VALU_DEP_3)
	v_add_co_u32 v28, vcc_lo, s4, v26
	v_add_co_ci_u32_e32 v29, vcc_lo, s5, v27, vcc_lo
	v_add_co_u32 v26, vcc_lo, s6, v26
	v_add_co_ci_u32_e32 v27, vcc_lo, s7, v27, vcc_lo
	global_load_b64 v[28:29], v[28:29], off
	global_load_b64 v[26:27], v[26:27], off
	v_add_f64 v[20:21], v[20:21], v[18:19]
	v_add_f64 v[6:7], v[6:7], v[18:19]
	s_waitcnt vmcnt(0)
	v_add_f64 v[26:27], v[28:29], -v[26:27]
	s_delay_alu instid0(VALU_DEP_1) | instskip(SKIP_2) | instid1(VALU_DEP_2)
	v_add_f64 v[20:21], v[20:21], -v[26:27]
	v_lshlrev_b64 v[26:27], 3, v[0:1]
	v_add_nc_u32_e32 v0, s15, v0
	v_add_co_u32 v28, vcc_lo, s4, v26
	s_delay_alu instid0(VALU_DEP_3)
	v_add_co_ci_u32_e32 v29, vcc_lo, s5, v27, vcc_lo
	v_add_co_u32 v26, vcc_lo, s6, v26
	v_add_co_ci_u32_e32 v27, vcc_lo, s7, v27, vcc_lo
	global_load_b64 v[28:29], v[28:29], off
	global_load_b64 v[26:27], v[26:27], off
	s_waitcnt vmcnt(0)
	v_add_f64 v[28:29], v[28:29], -v[26:27]
	s_delay_alu instid0(VALU_DEP_1) | instskip(NEXT) | instid1(VALU_DEP_1)
	v_add_f64 v[20:21], v[20:21], -v[28:29]
	v_add_f64 v[26:27], v[20:21], -v[28:29]
	v_lshlrev_b64 v[20:21], 3, v[0:1]
	v_add_nc_u32_e32 v0, s3, v0
	s_delay_alu instid0(VALU_DEP_2) | instskip(NEXT) | instid1(VALU_DEP_3)
	v_add_co_u32 v30, vcc_lo, s4, v20
	v_add_co_ci_u32_e32 v31, vcc_lo, s5, v21, vcc_lo
	v_add_co_u32 v20, vcc_lo, s6, v20
	v_add_co_ci_u32_e32 v21, vcc_lo, s7, v21, vcc_lo
	global_load_b64 v[30:31], v[30:31], off
	global_load_b64 v[20:21], v[20:21], off
	s_waitcnt vmcnt(0)
	v_add_f64 v[20:21], v[30:31], -v[20:21]
	v_lshlrev_b64 v[30:31], 3, v[0:1]
	v_add_nc_u32_e32 v0, s15, v0
	s_delay_alu instid0(VALU_DEP_2) | instskip(NEXT) | instid1(VALU_DEP_3)
	v_add_co_u32 v32, vcc_lo, s4, v30
	v_add_co_ci_u32_e32 v33, vcc_lo, s5, v31, vcc_lo
	v_add_co_u32 v30, vcc_lo, s6, v30
	v_add_co_ci_u32_e32 v31, vcc_lo, s7, v31, vcc_lo
	global_load_b64 v[32:33], v[32:33], off
	global_load_b64 v[30:31], v[30:31], off
	v_add_f64 v[26:27], v[26:27], v[20:21]
	s_waitcnt vmcnt(0)
	v_add_f64 v[32:33], v[32:33], -v[30:31]
	v_lshlrev_b64 v[30:31], 3, v[0:1]
	v_add_nc_u32_e32 v0, s3, v0
	s_delay_alu instid0(VALU_DEP_2) | instskip(NEXT) | instid1(VALU_DEP_3)
	v_add_co_u32 v34, vcc_lo, s4, v30
	v_add_co_ci_u32_e32 v35, vcc_lo, s5, v31, vcc_lo
	v_add_co_u32 v30, vcc_lo, s6, v30
	v_add_co_ci_u32_e32 v31, vcc_lo, s7, v31, vcc_lo
	global_load_b64 v[34:35], v[34:35], off
	global_load_b64 v[30:31], v[30:31], off
	v_add_f64 v[26:27], v[26:27], -v[32:33]
	s_waitcnt vmcnt(0)
	v_add_f64 v[30:31], v[34:35], -v[30:31]
	s_delay_alu instid0(VALU_DEP_1) | instskip(SKIP_2) | instid1(VALU_DEP_2)
	v_add_f64 v[26:27], v[26:27], -v[30:31]
	v_lshlrev_b64 v[30:31], 3, v[0:1]
	v_add_nc_u32_e32 v0, s3, v0
	v_add_co_u32 v34, vcc_lo, s4, v30
	s_delay_alu instid0(VALU_DEP_3)
	v_add_co_ci_u32_e32 v35, vcc_lo, s5, v31, vcc_lo
	v_add_co_u32 v30, vcc_lo, s6, v30
	v_add_co_ci_u32_e32 v31, vcc_lo, s7, v31, vcc_lo
	global_load_b64 v[34:35], v[34:35], off
	global_load_b64 v[30:31], v[30:31], off
	s_waitcnt vmcnt(0)
	v_add_f64 v[30:31], v[34:35], -v[30:31]
	s_delay_alu instid0(VALU_DEP_1) | instskip(SKIP_2) | instid1(VALU_DEP_2)
	v_add_f64 v[30:31], v[26:27], -v[30:31]
	v_lshlrev_b64 v[26:27], 3, v[0:1]
	v_add_nc_u32_e32 v0, s20, v0
	v_add_co_u32 v34, vcc_lo, s4, v26
	s_delay_alu instid0(VALU_DEP_3)
	v_add_co_ci_u32_e32 v35, vcc_lo, s5, v27, vcc_lo
	v_add_co_u32 v26, vcc_lo, s6, v26
	v_add_co_ci_u32_e32 v27, vcc_lo, s7, v27, vcc_lo
	global_load_b64 v[34:35], v[34:35], off
	global_load_b64 v[26:27], v[26:27], off
	s_waitcnt vmcnt(0)
	v_add_f64 v[26:27], v[34:35], -v[26:27]
	v_lshlrev_b64 v[34:35], 3, v[0:1]
	v_add_nc_u32_e32 v0, s17, v0
	s_delay_alu instid0(VALU_DEP_2) | instskip(NEXT) | instid1(VALU_DEP_3)
	v_add_co_u32 v36, vcc_lo, s4, v34
	v_add_co_ci_u32_e32 v37, vcc_lo, s5, v35, vcc_lo
	v_add_co_u32 v34, vcc_lo, s6, v34
	v_add_co_ci_u32_e32 v35, vcc_lo, s7, v35, vcc_lo
	global_load_b64 v[36:37], v[36:37], off
	global_load_b64 v[34:35], v[34:35], off
	v_add_f64 v[30:31], v[30:31], v[26:27]
	s_waitcnt vmcnt(0)
	v_add_f64 v[34:35], v[36:37], -v[34:35]
	s_delay_alu instid0(VALU_DEP_1) | instskip(SKIP_2) | instid1(VALU_DEP_2)
	v_add_f64 v[34:35], v[30:31], -v[34:35]
	v_lshlrev_b64 v[30:31], 3, v[0:1]
	v_add_nc_u32_e32 v0, s2, v0
	v_add_co_u32 v36, vcc_lo, s4, v30
	s_delay_alu instid0(VALU_DEP_3)
	v_add_co_ci_u32_e32 v37, vcc_lo, s5, v31, vcc_lo
	v_add_co_u32 v30, vcc_lo, s6, v30
	v_add_co_ci_u32_e32 v31, vcc_lo, s7, v31, vcc_lo
	global_load_b64 v[36:37], v[36:37], off
	global_load_b64 v[30:31], v[30:31], off
	s_waitcnt vmcnt(0)
	v_add_f64 v[30:31], v[36:37], -v[30:31]
	v_lshlrev_b64 v[36:37], 3, v[0:1]
	v_add_nc_u32_e32 v0, s14, v0
	s_delay_alu instid0(VALU_DEP_2) | instskip(NEXT) | instid1(VALU_DEP_3)
	v_add_co_u32 v38, vcc_lo, s4, v36
	v_add_co_ci_u32_e32 v39, vcc_lo, s5, v37, vcc_lo
	v_add_co_u32 v36, vcc_lo, s6, v36
	v_add_co_ci_u32_e32 v37, vcc_lo, s7, v37, vcc_lo
	global_load_b64 v[38:39], v[38:39], off
	global_load_b64 v[36:37], v[36:37], off
	v_add_f64 v[34:35], v[34:35], v[30:31]
	s_waitcnt vmcnt(0)
	v_add_f64 v[36:37], v[38:39], -v[36:37]
	s_delay_alu instid0(VALU_DEP_1) | instskip(SKIP_2) | instid1(VALU_DEP_2)
	v_add_f64 v[34:35], v[34:35], -v[36:37]
	v_lshlrev_b64 v[36:37], 3, v[0:1]
	v_add_nc_u32_e32 v0, s15, v0
	v_add_co_u32 v38, vcc_lo, s4, v36
	s_delay_alu instid0(VALU_DEP_3)
	v_add_co_ci_u32_e32 v39, vcc_lo, s5, v37, vcc_lo
	v_add_co_u32 v36, vcc_lo, s6, v36
	v_add_co_ci_u32_e32 v37, vcc_lo, s7, v37, vcc_lo
	global_load_b64 v[38:39], v[38:39], off
	global_load_b64 v[36:37], v[36:37], off
	s_waitcnt vmcnt(0)
	v_add_f64 v[36:37], v[38:39], -v[36:37]
	s_delay_alu instid0(VALU_DEP_1) | instskip(SKIP_2) | instid1(VALU_DEP_2)
	v_add_f64 v[34:35], v[34:35], -v[36:37]
	v_lshlrev_b64 v[36:37], 3, v[0:1]
	v_add_nc_u32_e32 v0, s23, v0
	v_add_co_u32 v38, vcc_lo, s4, v36
	s_delay_alu instid0(VALU_DEP_3)
	v_add_co_ci_u32_e32 v39, vcc_lo, s5, v37, vcc_lo
	v_add_co_u32 v36, vcc_lo, s6, v36
	v_add_co_ci_u32_e32 v37, vcc_lo, s7, v37, vcc_lo
	global_load_b64 v[38:39], v[38:39], off
	global_load_b64 v[36:37], v[36:37], off
	s_waitcnt vmcnt(0)
	v_add_f64 v[36:37], v[38:39], -v[36:37]
	s_delay_alu instid0(VALU_DEP_1) | instskip(NEXT) | instid1(VALU_DEP_1)
	v_add_f64 v[34:35], v[34:35], -v[36:37]
	v_add_f64 v[24:25], v[34:35], -v[24:25]
	v_lshlrev_b64 v[34:35], 3, v[0:1]
	v_add_nc_u32_e32 v0, s1, v0
	s_delay_alu instid0(VALU_DEP_2) | instskip(NEXT) | instid1(VALU_DEP_3)
	v_add_co_u32 v36, vcc_lo, s4, v34
	v_add_co_ci_u32_e32 v37, vcc_lo, s5, v35, vcc_lo
	v_add_co_u32 v34, vcc_lo, s6, v34
	v_add_co_ci_u32_e32 v35, vcc_lo, s7, v35, vcc_lo
	global_load_b64 v[36:37], v[36:37], off
	global_load_b64 v[34:35], v[34:35], off
	s_waitcnt vmcnt(0)
	v_add_f64 v[34:35], v[36:37], -v[34:35]
	s_delay_alu instid0(VALU_DEP_1) | instskip(SKIP_2) | instid1(VALU_DEP_2)
	v_add_f64 v[24:25], v[24:25], -v[34:35]
	v_lshlrev_b64 v[34:35], 3, v[0:1]
	v_add_nc_u32_e32 v0, s15, v0
	v_add_co_u32 v36, vcc_lo, s4, v34
	s_delay_alu instid0(VALU_DEP_3)
	v_add_co_ci_u32_e32 v37, vcc_lo, s5, v35, vcc_lo
	v_add_co_u32 v34, vcc_lo, s6, v34
	v_add_co_ci_u32_e32 v35, vcc_lo, s7, v35, vcc_lo
	global_load_b64 v[36:37], v[36:37], off
	global_load_b64 v[34:35], v[34:35], off
	s_waitcnt vmcnt(0)
	v_add_f64 v[34:35], v[36:37], -v[34:35]
	s_delay_alu instid0(VALU_DEP_1) | instskip(SKIP_2) | instid1(VALU_DEP_2)
	v_add_f64 v[24:25], v[24:25], -v[34:35]
	v_lshlrev_b64 v[34:35], 3, v[0:1]
	v_add_nc_u32_e32 v0, s3, v0
	v_add_co_u32 v36, vcc_lo, s4, v34
	s_delay_alu instid0(VALU_DEP_3)
	;; [unrolled: 13-line block ×3, first 2 shown]
	v_add_co_ci_u32_e32 v37, vcc_lo, s5, v25, vcc_lo
	v_add_co_u32 v24, vcc_lo, s6, v24
	v_add_co_ci_u32_e32 v25, vcc_lo, s7, v25, vcc_lo
	global_load_b64 v[36:37], v[36:37], off
	global_load_b64 v[24:25], v[24:25], off
	s_waitcnt vmcnt(0)
	v_add_f64 v[24:25], v[36:37], -v[24:25]
	v_lshlrev_b64 v[36:37], 3, v[0:1]
	v_add_nc_u32_e32 v0, s17, v0
	s_delay_alu instid0(VALU_DEP_2) | instskip(NEXT) | instid1(VALU_DEP_3)
	v_add_co_u32 v38, vcc_lo, s4, v36
	v_add_co_ci_u32_e32 v39, vcc_lo, s5, v37, vcc_lo
	v_add_co_u32 v36, vcc_lo, s6, v36
	v_add_co_ci_u32_e32 v37, vcc_lo, s7, v37, vcc_lo
	global_load_b64 v[38:39], v[38:39], off
	global_load_b64 v[36:37], v[36:37], off
	v_add_f64 v[34:35], v[34:35], v[24:25]
	s_waitcnt vmcnt(0)
	v_add_f64 v[36:37], v[38:39], -v[36:37]
	s_delay_alu instid0(VALU_DEP_1) | instskip(SKIP_2) | instid1(VALU_DEP_2)
	v_add_f64 v[34:35], v[34:35], -v[36:37]
	v_lshlrev_b64 v[36:37], 3, v[0:1]
	v_add_nc_u32_e32 v0, s15, v0
	v_add_co_u32 v38, vcc_lo, s4, v36
	s_delay_alu instid0(VALU_DEP_3)
	v_add_co_ci_u32_e32 v39, vcc_lo, s5, v37, vcc_lo
	v_add_co_u32 v36, vcc_lo, s6, v36
	v_add_co_ci_u32_e32 v37, vcc_lo, s7, v37, vcc_lo
	global_load_b64 v[38:39], v[38:39], off
	global_load_b64 v[36:37], v[36:37], off
	s_waitcnt vmcnt(0)
	v_add_f64 v[36:37], v[38:39], -v[36:37]
	s_delay_alu instid0(VALU_DEP_1) | instskip(SKIP_2) | instid1(VALU_DEP_2)
	v_add_f64 v[34:35], v[34:35], -v[36:37]
	v_lshlrev_b64 v[36:37], 3, v[0:1]
	v_add_nc_u32_e32 v0, s0, v0
	v_add_co_u32 v38, vcc_lo, s4, v36
	s_delay_alu instid0(VALU_DEP_3)
	v_add_co_ci_u32_e32 v39, vcc_lo, s5, v37, vcc_lo
	v_add_co_u32 v36, vcc_lo, s6, v36
	v_add_co_ci_u32_e32 v37, vcc_lo, s7, v37, vcc_lo
	global_load_b64 v[38:39], v[38:39], off
	global_load_b64 v[36:37], v[36:37], off
	;; [unrolled: 13-line block ×10, first 2 shown]
	s_waitcnt vmcnt(0)
	v_add_f64 v[34:35], v[38:39], -v[34:35]
	v_lshlrev_b64 v[38:39], 3, v[0:1]
	v_add_nc_u32_e32 v0, s0, v0
	s_load_b128 s[0:3], s[12:13], 0x10
	s_delay_alu instid0(VALU_DEP_2) | instskip(NEXT) | instid1(VALU_DEP_3)
	v_add_co_u32 v40, vcc_lo, s4, v38
	v_add_co_ci_u32_e32 v41, vcc_lo, s5, v39, vcc_lo
	v_add_co_u32 v38, vcc_lo, s6, v38
	v_add_co_ci_u32_e32 v39, vcc_lo, s7, v39, vcc_lo
	global_load_b64 v[40:41], v[40:41], off
	global_load_b64 v[38:39], v[38:39], off
	v_add_f64 v[36:37], v[36:37], v[34:35]
	s_waitcnt vmcnt(0)
	v_add_f64 v[38:39], v[40:41], -v[38:39]
	s_delay_alu instid0(VALU_DEP_1) | instskip(SKIP_2) | instid1(VALU_DEP_2)
	v_add_f64 v[36:37], v[36:37], -v[38:39]
	v_lshlrev_b64 v[38:39], 3, v[0:1]
	v_add_nc_u32_e32 v0, s14, v0
	v_add_co_u32 v40, vcc_lo, s4, v38
	s_delay_alu instid0(VALU_DEP_3)
	v_add_co_ci_u32_e32 v41, vcc_lo, s5, v39, vcc_lo
	v_add_co_u32 v38, vcc_lo, s6, v38
	v_add_co_ci_u32_e32 v39, vcc_lo, s7, v39, vcc_lo
	global_load_b64 v[40:41], v[40:41], off
	global_load_b64 v[38:39], v[38:39], off
	s_waitcnt vmcnt(0)
	v_add_f64 v[38:39], v[40:41], -v[38:39]
	s_delay_alu instid0(VALU_DEP_1) | instskip(SKIP_2) | instid1(VALU_DEP_2)
	v_add_f64 v[36:37], v[36:37], -v[38:39]
	v_lshlrev_b64 v[38:39], 3, v[0:1]
	v_add_nc_u32_e32 v0, s14, v0
	v_add_co_u32 v40, vcc_lo, s4, v38
	s_delay_alu instid0(VALU_DEP_3)
	v_add_co_ci_u32_e32 v41, vcc_lo, s5, v39, vcc_lo
	v_add_co_u32 v38, vcc_lo, s6, v38
	v_add_co_ci_u32_e32 v39, vcc_lo, s7, v39, vcc_lo
	global_load_b64 v[40:41], v[40:41], off
	global_load_b64 v[38:39], v[38:39], off
	;; [unrolled: 13-line block ×9, first 2 shown]
	s_waitcnt vmcnt(0)
	v_add_f64 v[38:39], v[40:41], -v[38:39]
	s_delay_alu instid0(VALU_DEP_1) | instskip(SKIP_1) | instid1(VALU_DEP_1)
	v_add_f64 v[36:37], v[36:37], -v[38:39]
	v_lshlrev_b64 v[38:39], 3, v[0:1]
	v_add_co_u32 v40, vcc_lo, s4, v38
	s_delay_alu instid0(VALU_DEP_2)
	v_add_co_ci_u32_e32 v41, vcc_lo, s5, v39, vcc_lo
	v_add_co_u32 v38, vcc_lo, s6, v38
	v_add_co_ci_u32_e32 v39, vcc_lo, s7, v39, vcc_lo
	global_load_b64 v[40:41], v[40:41], off
	v_add_co_u32 v12, vcc_lo, s8, v12
	global_load_b64 v[38:39], v[38:39], off
	v_add_co_ci_u32_e32 v13, vcc_lo, s9, v13, vcc_lo
	s_waitcnt vmcnt(0)
	v_add_f64 v[38:39], v[40:41], -v[38:39]
	s_delay_alu instid0(VALU_DEP_1) | instskip(NEXT) | instid1(VALU_DEP_1)
	v_add_f64 v[36:37], v[36:37], -v[38:39]
	v_mul_f64 v[36:37], v[36:37], s[10:11]
	s_waitcnt lgkmcnt(0)
	s_delay_alu instid0(VALU_DEP_1) | instskip(SKIP_3) | instid1(VALU_DEP_1)
	v_mul_f64 v[36:37], s[0:1], v[36:37]
	s_mul_i32 s0, s14, 13
	global_store_b64 v[12:13], v[36:37], off
	v_add_f64 v[12:13], v[28:29], -v[22:23]
	v_add_f64 v[10:11], v[12:13], -v[10:11]
	s_delay_alu instid0(VALU_DEP_1) | instskip(SKIP_2) | instid1(VALU_DEP_3)
	v_add_f64 v[10:11], v[14:15], v[10:11]
	v_mad_u64_u32 v[14:15], null, 0xffffff4c, s14, v[0:1]
	v_mov_b32_e32 v15, v1
	v_add_f64 v[12:13], v[10:11], v[32:33]
	s_delay_alu instid0(VALU_DEP_2) | instskip(NEXT) | instid1(VALU_DEP_1)
	v_lshlrev_b64 v[10:11], 3, v[14:15]
	v_add_co_u32 v22, vcc_lo, s4, v10
	s_delay_alu instid0(VALU_DEP_2)
	v_add_co_ci_u32_e32 v23, vcc_lo, s5, v11, vcc_lo
	v_add_co_u32 v10, vcc_lo, s6, v10
	v_add_co_ci_u32_e32 v11, vcc_lo, s7, v11, vcc_lo
	global_load_b64 v[22:23], v[22:23], off
	global_load_b64 v[10:11], v[10:11], off
	s_waitcnt vmcnt(0)
	v_add_f64 v[10:11], v[22:23], -v[10:11]
	s_delay_alu instid0(VALU_DEP_1) | instskip(NEXT) | instid1(VALU_DEP_1)
	v_add_f64 v[12:13], v[12:13], v[10:11]
	v_add_f64 v[8:9], v[8:9], v[12:13]
	v_mad_u64_u32 v[12:13], null, s14, 26, v[14:15]
	v_mov_b32_e32 v13, v1
	s_delay_alu instid0(VALU_DEP_1) | instskip(SKIP_1) | instid1(VALU_DEP_2)
	v_lshlrev_b64 v[13:14], 3, v[12:13]
	v_add_nc_u32_e32 v0, s17, v12
	v_add_co_u32 v22, vcc_lo, s4, v13
	s_delay_alu instid0(VALU_DEP_3)
	v_add_co_ci_u32_e32 v23, vcc_lo, s5, v14, vcc_lo
	v_add_co_u32 v13, vcc_lo, s6, v13
	v_add_co_ci_u32_e32 v14, vcc_lo, s7, v14, vcc_lo
	global_load_b64 v[22:23], v[22:23], off
	global_load_b64 v[13:14], v[13:14], off
	v_add_f64 v[8:9], v[8:9], -v[26:27]
	s_delay_alu instid0(VALU_DEP_1) | instskip(SKIP_2) | instid1(VALU_DEP_1)
	v_add_f64 v[8:9], v[8:9], -v[30:31]
	s_waitcnt vmcnt(0)
	v_add_f64 v[13:14], v[22:23], -v[13:14]
	v_add_f64 v[8:9], v[8:9], -v[13:14]
	v_lshlrev_b64 v[12:13], 3, v[0:1]
	v_add_nc_u32_e32 v0, s14, v0
	s_delay_alu instid0(VALU_DEP_2) | instskip(NEXT) | instid1(VALU_DEP_3)
	v_add_co_u32 v14, vcc_lo, s4, v12
	v_add_co_ci_u32_e32 v15, vcc_lo, s5, v13, vcc_lo
	v_add_co_u32 v12, vcc_lo, s6, v12
	v_add_co_ci_u32_e32 v13, vcc_lo, s7, v13, vcc_lo
	global_load_b64 v[14:15], v[14:15], off
	global_load_b64 v[12:13], v[12:13], off
	s_waitcnt vmcnt(0)
	v_add_f64 v[12:13], v[14:15], -v[12:13]
	s_delay_alu instid0(VALU_DEP_1) | instskip(SKIP_2) | instid1(VALU_DEP_2)
	v_add_f64 v[8:9], v[8:9], -v[12:13]
	v_lshlrev_b64 v[12:13], 3, v[0:1]
	v_add_nc_u32_e32 v0, s0, v0
	v_add_co_u32 v14, vcc_lo, s4, v12
	s_delay_alu instid0(VALU_DEP_3)
	v_add_co_ci_u32_e32 v15, vcc_lo, s5, v13, vcc_lo
	v_add_co_u32 v12, vcc_lo, s6, v12
	v_add_co_ci_u32_e32 v13, vcc_lo, s7, v13, vcc_lo
	global_load_b64 v[14:15], v[14:15], off
	global_load_b64 v[12:13], v[12:13], off
	s_waitcnt vmcnt(0)
	v_add_f64 v[12:13], v[14:15], -v[12:13]
	s_delay_alu instid0(VALU_DEP_1) | instskip(SKIP_2) | instid1(VALU_DEP_2)
	v_add_f64 v[8:9], v[8:9], -v[12:13]
	v_lshlrev_b64 v[12:13], 3, v[0:1]
	v_add_nc_u32_e32 v0, s14, v0
	v_add_co_u32 v14, vcc_lo, s4, v12
	s_delay_alu instid0(VALU_DEP_3)
	;; [unrolled: 13-line block ×3, first 2 shown]
	v_add_co_ci_u32_e32 v15, vcc_lo, s5, v9, vcc_lo
	v_add_co_u32 v8, vcc_lo, s6, v8
	v_add_co_ci_u32_e32 v9, vcc_lo, s7, v9, vcc_lo
	global_load_b64 v[14:15], v[14:15], off
	global_load_b64 v[8:9], v[8:9], off
	s_waitcnt vmcnt(0)
	v_add_f64 v[8:9], v[14:15], -v[8:9]
	v_lshlrev_b64 v[14:15], 3, v[0:1]
	v_add_nc_u32_e32 v0, s21, v0
	s_delay_alu instid0(VALU_DEP_2) | instskip(NEXT) | instid1(VALU_DEP_3)
	v_add_co_u32 v22, vcc_lo, s4, v14
	v_add_co_ci_u32_e32 v23, vcc_lo, s5, v15, vcc_lo
	v_add_co_u32 v14, vcc_lo, s6, v14
	v_add_co_ci_u32_e32 v15, vcc_lo, s7, v15, vcc_lo
	global_load_b64 v[22:23], v[22:23], off
	global_load_b64 v[14:15], v[14:15], off
	v_add_f64 v[12:13], v[12:13], -v[8:9]
	s_waitcnt vmcnt(0)
	v_add_f64 v[14:15], v[22:23], -v[14:15]
	s_delay_alu instid0(VALU_DEP_1) | instskip(SKIP_2) | instid1(VALU_DEP_2)
	v_add_f64 v[12:13], v[12:13], -v[14:15]
	v_lshlrev_b64 v[14:15], 3, v[0:1]
	v_add_nc_u32_e32 v0, s14, v0
	v_add_co_u32 v22, vcc_lo, s4, v14
	s_delay_alu instid0(VALU_DEP_3)
	v_add_co_ci_u32_e32 v23, vcc_lo, s5, v15, vcc_lo
	v_add_co_u32 v14, vcc_lo, s6, v14
	v_add_co_ci_u32_e32 v15, vcc_lo, s7, v15, vcc_lo
	global_load_b64 v[22:23], v[22:23], off
	global_load_b64 v[14:15], v[14:15], off
	v_add_f64 v[12:13], v[12:13], -v[24:25]
	s_waitcnt vmcnt(0)
	v_add_f64 v[14:15], v[22:23], -v[14:15]
	s_delay_alu instid0(VALU_DEP_1) | instskip(SKIP_2) | instid1(VALU_DEP_2)
	v_add_f64 v[12:13], v[12:13], -v[14:15]
	v_lshlrev_b64 v[14:15], 3, v[0:1]
	v_add_nc_u32_e32 v0, s24, v0
	v_add_co_u32 v22, vcc_lo, s4, v14
	s_delay_alu instid0(VALU_DEP_3)
	v_add_co_ci_u32_e32 v23, vcc_lo, s5, v15, vcc_lo
	v_add_co_u32 v14, vcc_lo, s6, v14
	v_add_co_ci_u32_e32 v15, vcc_lo, s7, v15, vcc_lo
	global_load_b64 v[22:23], v[22:23], off
	global_load_b64 v[14:15], v[14:15], off
	s_waitcnt vmcnt(0)
	v_add_f64 v[14:15], v[22:23], -v[14:15]
	s_delay_alu instid0(VALU_DEP_1) | instskip(SKIP_2) | instid1(VALU_DEP_2)
	v_add_f64 v[12:13], v[12:13], v[14:15]
	v_lshlrev_b64 v[14:15], 3, v[0:1]
	v_add_nc_u32_e32 v0, s18, v0
	v_add_co_u32 v22, vcc_lo, s4, v14
	s_delay_alu instid0(VALU_DEP_3)
	v_add_co_ci_u32_e32 v23, vcc_lo, s5, v15, vcc_lo
	v_add_co_u32 v14, vcc_lo, s6, v14
	v_add_co_ci_u32_e32 v15, vcc_lo, s7, v15, vcc_lo
	global_load_b64 v[22:23], v[22:23], off
	global_load_b64 v[14:15], v[14:15], off
	s_waitcnt vmcnt(0)
	v_add_f64 v[14:15], v[22:23], -v[14:15]
	s_delay_alu instid0(VALU_DEP_1) | instskip(SKIP_2) | instid1(VALU_DEP_2)
	v_add_f64 v[12:13], v[12:13], -v[14:15]
	v_lshlrev_b64 v[14:15], 3, v[0:1]
	v_add_nc_u32_e32 v0, s16, v0
	v_add_co_u32 v22, vcc_lo, s4, v14
	s_delay_alu instid0(VALU_DEP_3)
	v_add_co_ci_u32_e32 v23, vcc_lo, s5, v15, vcc_lo
	v_add_co_u32 v14, vcc_lo, s6, v14
	v_add_co_ci_u32_e32 v15, vcc_lo, s7, v15, vcc_lo
	global_load_b64 v[22:23], v[22:23], off
	global_load_b64 v[14:15], v[14:15], off
	s_waitcnt vmcnt(0)
	v_add_f64 v[14:15], v[22:23], -v[14:15]
	s_delay_alu instid0(VALU_DEP_1) | instskip(SKIP_2) | instid1(VALU_DEP_2)
	v_add_f64 v[12:13], v[12:13], -v[14:15]
	;; [unrolled: 13-line block ×3, first 2 shown]
	v_lshlrev_b64 v[14:15], 3, v[0:1]
	v_add_nc_u32_e32 v0, s20, v0
	v_add_co_u32 v22, vcc_lo, s4, v14
	s_delay_alu instid0(VALU_DEP_3)
	v_add_co_ci_u32_e32 v23, vcc_lo, s5, v15, vcc_lo
	v_add_co_u32 v14, vcc_lo, s6, v14
	v_add_co_ci_u32_e32 v15, vcc_lo, s7, v15, vcc_lo
	global_load_b64 v[22:23], v[22:23], off
	global_load_b64 v[14:15], v[14:15], off
	s_waitcnt vmcnt(0)
	v_add_f64 v[14:15], v[22:23], -v[14:15]
	s_delay_alu instid0(VALU_DEP_1) | instskip(SKIP_3) | instid1(VALU_DEP_2)
	v_add_f64 v[12:13], v[12:13], -v[14:15]
	v_lshlrev_b64 v[14:15], 3, v[0:1]
	v_add_nc_u32_e32 v0, s0, v0
	s_load_b64 s[0:1], s[12:13], 0x28
	v_add_co_u32 v22, vcc_lo, s4, v14
	s_delay_alu instid0(VALU_DEP_3)
	v_add_co_ci_u32_e32 v23, vcc_lo, s5, v15, vcc_lo
	v_add_co_u32 v14, vcc_lo, s6, v14
	v_add_co_ci_u32_e32 v15, vcc_lo, s7, v15, vcc_lo
	global_load_b64 v[22:23], v[22:23], off
	global_load_b64 v[14:15], v[14:15], off
	v_add_f64 v[12:13], v[12:13], -v[34:35]
	s_waitcnt vmcnt(0)
	v_add_f64 v[14:15], v[22:23], -v[14:15]
	s_delay_alu instid0(VALU_DEP_1) | instskip(SKIP_2) | instid1(VALU_DEP_2)
	v_add_f64 v[12:13], v[12:13], -v[14:15]
	v_lshlrev_b64 v[14:15], 3, v[0:1]
	v_add_nc_u32_e32 v0, s14, v0
	v_add_co_u32 v22, vcc_lo, s4, v14
	s_delay_alu instid0(VALU_DEP_3)
	v_add_co_ci_u32_e32 v23, vcc_lo, s5, v15, vcc_lo
	v_add_co_u32 v14, vcc_lo, s6, v14
	v_add_co_ci_u32_e32 v15, vcc_lo, s7, v15, vcc_lo
	global_load_b64 v[22:23], v[22:23], off
	global_load_b64 v[14:15], v[14:15], off
	s_waitcnt vmcnt(0)
	v_add_f64 v[14:15], v[22:23], -v[14:15]
	s_delay_alu instid0(VALU_DEP_1) | instskip(SKIP_2) | instid1(VALU_DEP_2)
	v_add_f64 v[12:13], v[12:13], -v[14:15]
	v_lshlrev_b64 v[14:15], 3, v[0:1]
	v_add_nc_u32_e32 v0, s21, v0
	v_add_co_u32 v22, vcc_lo, s4, v14
	s_delay_alu instid0(VALU_DEP_3)
	v_add_co_ci_u32_e32 v23, vcc_lo, s5, v15, vcc_lo
	v_add_co_u32 v14, vcc_lo, s6, v14
	v_add_co_ci_u32_e32 v15, vcc_lo, s7, v15, vcc_lo
	global_load_b64 v[22:23], v[22:23], off
	global_load_b64 v[14:15], v[14:15], off
	;; [unrolled: 13-line block ×5, first 2 shown]
	s_waitcnt vmcnt(0)
	v_add_f64 v[14:15], v[22:23], -v[14:15]
	s_delay_alu instid0(VALU_DEP_1) | instskip(SKIP_2) | instid1(VALU_DEP_2)
	v_add_f64 v[12:13], v[12:13], v[14:15]
	v_lshlrev_b64 v[14:15], 3, v[0:1]
	v_add_nc_u32_e32 v0, s22, v0
	v_add_co_u32 v22, vcc_lo, s4, v14
	s_delay_alu instid0(VALU_DEP_3)
	v_add_co_ci_u32_e32 v23, vcc_lo, s5, v15, vcc_lo
	v_add_co_u32 v14, vcc_lo, s6, v14
	v_add_co_ci_u32_e32 v15, vcc_lo, s7, v15, vcc_lo
	global_load_b64 v[22:23], v[22:23], off
	global_load_b64 v[14:15], v[14:15], off
	s_waitcnt vmcnt(0)
	v_add_f64 v[14:15], v[22:23], -v[14:15]
	s_delay_alu instid0(VALU_DEP_1) | instskip(SKIP_1) | instid1(VALU_DEP_1)
	v_add_f64 v[12:13], v[12:13], v[14:15]
	v_lshlrev_b64 v[14:15], 3, v[0:1]
	v_add_co_u32 v22, vcc_lo, s4, v14
	s_delay_alu instid0(VALU_DEP_2)
	v_add_co_ci_u32_e32 v23, vcc_lo, s5, v15, vcc_lo
	v_add_co_u32 v14, vcc_lo, s6, v14
	v_add_co_ci_u32_e32 v15, vcc_lo, s7, v15, vcc_lo
	global_load_b64 v[22:23], v[22:23], off
	global_load_b64 v[14:15], v[14:15], off
	s_waitcnt vmcnt(0)
	v_add_f64 v[14:15], v[22:23], -v[14:15]
	s_delay_alu instid0(VALU_DEP_1) | instskip(SKIP_2) | instid1(VALU_DEP_3)
	v_add_f64 v[12:13], v[12:13], -v[14:15]
	v_add_co_u32 v14, vcc_lo, s8, v16
	v_add_co_ci_u32_e32 v15, vcc_lo, s9, v17, vcc_lo
	v_mul_f64 v[12:13], v[12:13], s[10:11]
	s_delay_alu instid0(VALU_DEP_1) | instskip(SKIP_3) | instid1(VALU_DEP_1)
	v_mul_f64 v[12:13], s[2:3], v[12:13]
	global_store_b64 v[14:15], v[12:13], off
	v_mad_u64_u32 v[12:13], null, 0xffffff3e, s14, v[0:1]
	v_mov_b32_e32 v13, v1
	v_lshlrev_b64 v[13:14], 3, v[12:13]
	v_add_nc_u32_e32 v0, s22, v12
	s_delay_alu instid0(VALU_DEP_2) | instskip(NEXT) | instid1(VALU_DEP_3)
	v_add_co_u32 v15, vcc_lo, s4, v13
	v_add_co_ci_u32_e32 v16, vcc_lo, s5, v14, vcc_lo
	v_add_co_u32 v13, vcc_lo, s6, v13
	v_add_co_ci_u32_e32 v14, vcc_lo, s7, v14, vcc_lo
	global_load_b64 v[15:16], v[15:16], off
	global_load_b64 v[13:14], v[13:14], off
	s_waitcnt vmcnt(0)
	v_add_f64 v[13:14], v[15:16], -v[13:14]
	s_delay_alu instid0(VALU_DEP_1) | instskip(NEXT) | instid1(VALU_DEP_1)
	v_add_f64 v[6:7], v[6:7], v[13:14]
	v_add_f64 v[6:7], v[20:21], v[6:7]
	s_delay_alu instid0(VALU_DEP_1) | instskip(SKIP_2) | instid1(VALU_DEP_2)
	v_add_f64 v[6:7], v[10:11], v[6:7]
	v_lshlrev_b64 v[10:11], 3, v[0:1]
	v_add_nc_u32_e32 v0, s23, v0
	v_add_co_u32 v12, vcc_lo, s4, v10
	s_delay_alu instid0(VALU_DEP_3)
	v_add_co_ci_u32_e32 v13, vcc_lo, s5, v11, vcc_lo
	v_add_co_u32 v10, vcc_lo, s6, v10
	v_add_co_ci_u32_e32 v11, vcc_lo, s7, v11, vcc_lo
	global_load_b64 v[12:13], v[12:13], off
	global_load_b64 v[10:11], v[10:11], off
	s_waitcnt vmcnt(0)
	v_add_f64 v[10:11], v[12:13], -v[10:11]
	s_delay_alu instid0(VALU_DEP_1) | instskip(NEXT) | instid1(VALU_DEP_1)
	v_add_f64 v[6:7], v[10:11], v[6:7]
	v_add_f64 v[4:5], v[4:5], v[6:7]
	v_lshlrev_b64 v[6:7], 3, v[0:1]
	v_add_nc_u32_e32 v0, s21, v0
	s_delay_alu instid0(VALU_DEP_2) | instskip(NEXT) | instid1(VALU_DEP_3)
	v_add_co_u32 v10, vcc_lo, s4, v6
	v_add_co_ci_u32_e32 v11, vcc_lo, s5, v7, vcc_lo
	v_add_co_u32 v6, vcc_lo, s6, v6
	v_add_co_ci_u32_e32 v7, vcc_lo, s7, v7, vcc_lo
	global_load_b64 v[10:11], v[10:11], off
	global_load_b64 v[6:7], v[6:7], off
	s_waitcnt vmcnt(0)
	v_add_f64 v[6:7], v[10:11], -v[6:7]
	s_delay_alu instid0(VALU_DEP_1) | instskip(SKIP_2) | instid1(VALU_DEP_2)
	v_add_f64 v[4:5], v[4:5], -v[6:7]
	v_lshlrev_b64 v[6:7], 3, v[0:1]
	v_add_nc_u32_e32 v0, s18, v0
	v_add_co_u32 v10, vcc_lo, s4, v6
	s_delay_alu instid0(VALU_DEP_3)
	v_add_co_ci_u32_e32 v11, vcc_lo, s5, v7, vcc_lo
	v_add_co_u32 v6, vcc_lo, s6, v6
	v_add_co_ci_u32_e32 v7, vcc_lo, s7, v7, vcc_lo
	global_load_b64 v[10:11], v[10:11], off
	global_load_b64 v[6:7], v[6:7], off
	s_waitcnt vmcnt(0)
	v_add_f64 v[6:7], v[10:11], -v[6:7]
	s_delay_alu instid0(VALU_DEP_1) | instskip(SKIP_1) | instid1(VALU_DEP_1)
	v_add_f64 v[4:5], v[4:5], v[6:7]
	v_lshlrev_b64 v[6:7], 3, v[0:1]
	v_add_co_u32 v10, vcc_lo, s4, v6
	s_delay_alu instid0(VALU_DEP_2)
	v_add_co_ci_u32_e32 v11, vcc_lo, s5, v7, vcc_lo
	v_add_co_u32 v6, vcc_lo, s6, v6
	v_add_co_ci_u32_e32 v7, vcc_lo, s7, v7, vcc_lo
	global_load_b64 v[10:11], v[10:11], off
	global_load_b64 v[6:7], v[6:7], off
	s_waitcnt vmcnt(0)
	v_add_f64 v[6:7], v[10:11], -v[6:7]
	s_delay_alu instid0(VALU_DEP_1) | instskip(SKIP_1) | instid1(VALU_DEP_1)
	v_add_f64 v[4:5], v[4:5], v[6:7]
	v_mad_u64_u32 v[6:7], null, s14, 20, v[0:1]
	v_dual_mov_b32 v7, v1 :: v_dual_add_nc_u32 v0, s15, v6
	s_delay_alu instid0(VALU_DEP_3) | instskip(NEXT) | instid1(VALU_DEP_2)
	v_add_f64 v[4:5], v[8:9], v[4:5]
	v_lshlrev_b64 v[7:8], 3, v[6:7]
	s_delay_alu instid0(VALU_DEP_1) | instskip(NEXT) | instid1(VALU_DEP_2)
	v_add_co_u32 v9, vcc_lo, s4, v7
	v_add_co_ci_u32_e32 v10, vcc_lo, s5, v8, vcc_lo
	v_add_co_u32 v7, vcc_lo, s6, v7
	v_add_co_ci_u32_e32 v8, vcc_lo, s7, v8, vcc_lo
	global_load_b64 v[9:10], v[9:10], off
	global_load_b64 v[7:8], v[7:8], off
	s_waitcnt vmcnt(0)
	v_add_f64 v[7:8], v[9:10], -v[7:8]
	s_delay_alu instid0(VALU_DEP_1) | instskip(SKIP_2) | instid1(VALU_DEP_2)
	v_add_f64 v[4:5], v[4:5], v[7:8]
	v_lshlrev_b64 v[6:7], 3, v[0:1]
	v_add_nc_u32_e32 v0, s14, v0
	v_add_co_u32 v8, vcc_lo, s4, v6
	s_delay_alu instid0(VALU_DEP_3)
	v_add_co_ci_u32_e32 v9, vcc_lo, s5, v7, vcc_lo
	v_add_co_u32 v6, vcc_lo, s6, v6
	v_add_co_ci_u32_e32 v7, vcc_lo, s7, v7, vcc_lo
	global_load_b64 v[8:9], v[8:9], off
	global_load_b64 v[6:7], v[6:7], off
	s_waitcnt vmcnt(0)
	v_add_f64 v[6:7], v[8:9], -v[6:7]
	s_delay_alu instid0(VALU_DEP_1) | instskip(SKIP_2) | instid1(VALU_DEP_2)
	v_add_f64 v[4:5], v[4:5], v[6:7]
	v_lshlrev_b64 v[6:7], 3, v[0:1]
	v_add_nc_u32_e32 v0, s24, v0
	v_add_co_u32 v8, vcc_lo, s4, v6
	s_delay_alu instid0(VALU_DEP_3)
	;; [unrolled: 13-line block ×4, first 2 shown]
	v_add_co_ci_u32_e32 v9, vcc_lo, s5, v7, vcc_lo
	v_add_co_u32 v6, vcc_lo, s6, v6
	v_add_co_ci_u32_e32 v7, vcc_lo, s7, v7, vcc_lo
	global_load_b64 v[8:9], v[8:9], off
	global_load_b64 v[6:7], v[6:7], off
	s_waitcnt vmcnt(0)
	v_add_f64 v[6:7], v[8:9], -v[6:7]
	s_delay_alu instid0(VALU_DEP_1) | instskip(SKIP_1) | instid1(VALU_DEP_1)
	v_add_f64 v[4:5], v[4:5], v[6:7]
	v_lshlrev_b64 v[6:7], 3, v[0:1]
	v_add_co_u32 v8, vcc_lo, s4, v6
	s_delay_alu instid0(VALU_DEP_2)
	v_add_co_ci_u32_e32 v9, vcc_lo, s5, v7, vcc_lo
	v_add_co_u32 v6, vcc_lo, s6, v6
	v_add_co_ci_u32_e32 v7, vcc_lo, s7, v7, vcc_lo
	global_load_b64 v[8:9], v[8:9], off
	global_load_b64 v[6:7], v[6:7], off
	s_waitcnt vmcnt(0)
	v_add_f64 v[6:7], v[8:9], -v[6:7]
	s_delay_alu instid0(VALU_DEP_1) | instskip(SKIP_2) | instid1(VALU_DEP_1)
	v_add_f64 v[4:5], v[4:5], v[6:7]
	v_mad_u64_u32 v[6:7], null, s14, 27, v[0:1]
	v_mov_b32_e32 v7, v1
	v_lshlrev_b64 v[7:8], 3, v[6:7]
	v_add_nc_u32_e32 v0, s15, v6
	s_delay_alu instid0(VALU_DEP_2) | instskip(NEXT) | instid1(VALU_DEP_3)
	v_add_co_u32 v9, vcc_lo, s4, v7
	v_add_co_ci_u32_e32 v10, vcc_lo, s5, v8, vcc_lo
	v_add_co_u32 v7, vcc_lo, s6, v7
	v_add_co_ci_u32_e32 v8, vcc_lo, s7, v8, vcc_lo
	global_load_b64 v[9:10], v[9:10], off
	global_load_b64 v[7:8], v[7:8], off
	s_waitcnt vmcnt(0)
	v_add_f64 v[7:8], v[9:10], -v[7:8]
	s_delay_alu instid0(VALU_DEP_1) | instskip(SKIP_2) | instid1(VALU_DEP_2)
	v_add_f64 v[4:5], v[4:5], v[7:8]
	v_lshlrev_b64 v[6:7], 3, v[0:1]
	v_add_nc_u32_e32 v0, s16, v0
	v_add_co_u32 v8, vcc_lo, s4, v6
	s_delay_alu instid0(VALU_DEP_3)
	v_add_co_ci_u32_e32 v9, vcc_lo, s5, v7, vcc_lo
	v_add_co_u32 v6, vcc_lo, s6, v6
	v_add_co_ci_u32_e32 v7, vcc_lo, s7, v7, vcc_lo
	global_load_b64 v[8:9], v[8:9], off
	global_load_b64 v[6:7], v[6:7], off
	s_waitcnt vmcnt(0)
	v_add_f64 v[6:7], v[8:9], -v[6:7]
	s_delay_alu instid0(VALU_DEP_1) | instskip(SKIP_2) | instid1(VALU_DEP_2)
	v_add_f64 v[4:5], v[4:5], v[6:7]
	v_lshlrev_b64 v[6:7], 3, v[0:1]
	v_add_nc_u32_e32 v0, s18, v0
	v_add_co_u32 v8, vcc_lo, s4, v6
	s_delay_alu instid0(VALU_DEP_3)
	v_add_co_ci_u32_e32 v9, vcc_lo, s5, v7, vcc_lo
	v_add_co_u32 v6, vcc_lo, s6, v6
	v_add_co_ci_u32_e32 v7, vcc_lo, s7, v7, vcc_lo
	global_load_b64 v[8:9], v[8:9], off
	global_load_b64 v[6:7], v[6:7], off
	s_waitcnt vmcnt(0)
	v_add_f64 v[6:7], v[8:9], -v[6:7]
	s_delay_alu instid0(VALU_DEP_1) | instskip(SKIP_1) | instid1(VALU_DEP_1)
	v_add_f64 v[4:5], v[4:5], v[6:7]
	v_lshlrev_b64 v[6:7], 3, v[0:1]
	v_add_co_u32 v8, vcc_lo, s4, v6
	s_delay_alu instid0(VALU_DEP_2)
	v_add_co_ci_u32_e32 v9, vcc_lo, s5, v7, vcc_lo
	v_add_co_u32 v6, vcc_lo, s6, v6
	v_add_co_ci_u32_e32 v7, vcc_lo, s7, v7, vcc_lo
	global_load_b64 v[8:9], v[8:9], off
	global_load_b64 v[6:7], v[6:7], off
	s_waitcnt vmcnt(0)
	v_add_f64 v[6:7], v[8:9], -v[6:7]
	s_delay_alu instid0(VALU_DEP_1) | instskip(SKIP_2) | instid1(VALU_DEP_1)
	v_add_f64 v[4:5], v[4:5], v[6:7]
	v_mad_u64_u32 v[6:7], null, s14, 21, v[0:1]
	v_mov_b32_e32 v7, v1
	v_lshlrev_b64 v[7:8], 3, v[6:7]
	v_add_nc_u32_e32 v0, s19, v6
	s_delay_alu instid0(VALU_DEP_2) | instskip(NEXT) | instid1(VALU_DEP_3)
	v_add_co_u32 v9, vcc_lo, s4, v7
	v_add_co_ci_u32_e32 v10, vcc_lo, s5, v8, vcc_lo
	v_add_co_u32 v7, vcc_lo, s6, v7
	v_add_co_ci_u32_e32 v8, vcc_lo, s7, v8, vcc_lo
	global_load_b64 v[9:10], v[9:10], off
	global_load_b64 v[7:8], v[7:8], off
	s_waitcnt vmcnt(0)
	v_add_f64 v[7:8], v[9:10], -v[7:8]
	s_delay_alu instid0(VALU_DEP_1) | instskip(SKIP_2) | instid1(VALU_DEP_2)
	v_add_f64 v[4:5], v[4:5], v[7:8]
	v_lshlrev_b64 v[6:7], 3, v[0:1]
	v_add_nc_u32_e32 v0, s15, v0
	v_add_co_u32 v8, vcc_lo, s4, v6
	s_delay_alu instid0(VALU_DEP_3)
	v_add_co_ci_u32_e32 v9, vcc_lo, s5, v7, vcc_lo
	v_add_co_u32 v6, vcc_lo, s6, v6
	v_add_co_ci_u32_e32 v7, vcc_lo, s7, v7, vcc_lo
	global_load_b64 v[8:9], v[8:9], off
	v_lshlrev_b64 v[0:1], 3, v[0:1]
	global_load_b64 v[6:7], v[6:7], off
	s_waitcnt vmcnt(0)
	v_add_f64 v[6:7], v[8:9], -v[6:7]
	s_delay_alu instid0(VALU_DEP_1)
	v_add_f64 v[4:5], v[4:5], v[6:7]
	v_add_co_u32 v6, vcc_lo, s4, v0
	v_add_co_ci_u32_e32 v7, vcc_lo, s5, v1, vcc_lo
	v_add_co_u32 v0, vcc_lo, s6, v0
	v_add_co_ci_u32_e32 v1, vcc_lo, s7, v1, vcc_lo
	global_load_b64 v[6:7], v[6:7], off
	v_add_co_u32 v2, vcc_lo, s8, v2
	global_load_b64 v[0:1], v[0:1], off
	v_add_co_ci_u32_e32 v3, vcc_lo, s9, v3, vcc_lo
	s_waitcnt vmcnt(0)
	v_add_f64 v[0:1], v[6:7], -v[0:1]
	s_delay_alu instid0(VALU_DEP_1) | instskip(NEXT) | instid1(VALU_DEP_1)
	v_add_f64 v[0:1], v[4:5], v[0:1]
	v_mul_f64 v[0:1], v[0:1], s[10:11]
	s_waitcnt lgkmcnt(0)
	s_delay_alu instid0(VALU_DEP_1)
	v_mul_f64 v[0:1], s[0:1], v[0:1]
	global_store_b64 v[2:3], v[0:1], off
	s_nop 0
	s_sendmsg sendmsg(MSG_DEALLOC_VGPRS)
	s_endpgm
	.section	.rodata,"a",@progbits
	.p2align	6, 0x0
	.amdhsa_kernel _Z15rdwdot10_kernelIdEvPKT_S2_PS0_S0_S2_
		.amdhsa_group_segment_fixed_size 0
		.amdhsa_private_segment_fixed_size 0
		.amdhsa_kernarg_size 296
		.amdhsa_user_sgpr_count 15
		.amdhsa_user_sgpr_dispatch_ptr 0
		.amdhsa_user_sgpr_queue_ptr 0
		.amdhsa_user_sgpr_kernarg_segment_ptr 1
		.amdhsa_user_sgpr_dispatch_id 0
		.amdhsa_user_sgpr_private_segment_size 0
		.amdhsa_wavefront_size32 1
		.amdhsa_uses_dynamic_stack 0
		.amdhsa_enable_private_segment 0
		.amdhsa_system_sgpr_workgroup_id_x 1
		.amdhsa_system_sgpr_workgroup_id_y 0
		.amdhsa_system_sgpr_workgroup_id_z 0
		.amdhsa_system_sgpr_workgroup_info 0
		.amdhsa_system_vgpr_workitem_id 0
		.amdhsa_next_free_vgpr 42
		.amdhsa_next_free_sgpr 26
		.amdhsa_reserve_vcc 1
		.amdhsa_float_round_mode_32 0
		.amdhsa_float_round_mode_16_64 0
		.amdhsa_float_denorm_mode_32 3
		.amdhsa_float_denorm_mode_16_64 3
		.amdhsa_dx10_clamp 1
		.amdhsa_ieee_mode 1
		.amdhsa_fp16_overflow 0
		.amdhsa_workgroup_processor_mode 1
		.amdhsa_memory_ordered 1
		.amdhsa_forward_progress 0
		.amdhsa_shared_vgpr_count 0
		.amdhsa_exception_fp_ieee_invalid_op 0
		.amdhsa_exception_fp_denorm_src 0
		.amdhsa_exception_fp_ieee_div_zero 0
		.amdhsa_exception_fp_ieee_overflow 0
		.amdhsa_exception_fp_ieee_underflow 0
		.amdhsa_exception_fp_ieee_inexact 0
		.amdhsa_exception_int_div_zero 0
	.end_amdhsa_kernel
	.section	.text._Z15rdwdot10_kernelIdEvPKT_S2_PS0_S0_S2_,"axG",@progbits,_Z15rdwdot10_kernelIdEvPKT_S2_PS0_S0_S2_,comdat
.Lfunc_end53:
	.size	_Z15rdwdot10_kernelIdEvPKT_S2_PS0_S0_S2_, .Lfunc_end53-_Z15rdwdot10_kernelIdEvPKT_S2_PS0_S0_S2_
                                        ; -- End function
	.section	.AMDGPU.csdata,"",@progbits
; Kernel info:
; codeLenInByte = 9748
; NumSgprs: 28
; NumVgprs: 42
; ScratchSize: 0
; MemoryBound: 0
; FloatMode: 240
; IeeeMode: 1
; LDSByteSize: 0 bytes/workgroup (compile time only)
; SGPRBlocks: 3
; VGPRBlocks: 5
; NumSGPRsForWavesPerEU: 28
; NumVGPRsForWavesPerEU: 42
; Occupancy: 16
; WaveLimiterHint : 0
; COMPUTE_PGM_RSRC2:SCRATCH_EN: 0
; COMPUTE_PGM_RSRC2:USER_SGPR: 15
; COMPUTE_PGM_RSRC2:TRAP_HANDLER: 0
; COMPUTE_PGM_RSRC2:TGID_X_EN: 1
; COMPUTE_PGM_RSRC2:TGID_Y_EN: 0
; COMPUTE_PGM_RSRC2:TGID_Z_EN: 0
; COMPUTE_PGM_RSRC2:TIDIG_COMP_CNT: 0
	.text
	.p2alignl 7, 3214868480
	.fill 96, 4, 3214868480
	.type	__hip_cuid_250796f63db6a4f8,@object ; @__hip_cuid_250796f63db6a4f8
	.section	.bss,"aw",@nobits
	.globl	__hip_cuid_250796f63db6a4f8
__hip_cuid_250796f63db6a4f8:
	.byte	0                               ; 0x0
	.size	__hip_cuid_250796f63db6a4f8, 1

	.ident	"AMD clang version 19.0.0git (https://github.com/RadeonOpenCompute/llvm-project roc-6.4.0 25133 c7fe45cf4b819c5991fe208aaa96edf142730f1d)"
	.section	".note.GNU-stack","",@progbits
	.addrsig
	.addrsig_sym __hip_cuid_250796f63db6a4f8
	.amdgpu_metadata
---
amdhsa.kernels:
  - .args:
      - .actual_access:  read_only
        .address_space:  global
        .offset:         0
        .size:           8
        .value_kind:     global_buffer
      - .actual_access:  write_only
        .address_space:  global
        .offset:         8
        .size:           8
        .value_kind:     global_buffer
      - .offset:         16
        .size:           4
        .value_kind:     by_value
      - .offset:         24
        .size:           4
        .value_kind:     hidden_block_count_x
      - .offset:         28
        .size:           4
        .value_kind:     hidden_block_count_y
      - .offset:         32
        .size:           4
        .value_kind:     hidden_block_count_z
      - .offset:         36
        .size:           2
        .value_kind:     hidden_group_size_x
      - .offset:         38
        .size:           2
        .value_kind:     hidden_group_size_y
      - .offset:         40
        .size:           2
        .value_kind:     hidden_group_size_z
      - .offset:         42
        .size:           2
        .value_kind:     hidden_remainder_x
      - .offset:         44
        .size:           2
        .value_kind:     hidden_remainder_y
      - .offset:         46
        .size:           2
        .value_kind:     hidden_remainder_z
      - .offset:         64
        .size:           8
        .value_kind:     hidden_global_offset_x
      - .offset:         72
        .size:           8
        .value_kind:     hidden_global_offset_y
      - .offset:         80
        .size:           8
        .value_kind:     hidden_global_offset_z
      - .offset:         88
        .size:           2
        .value_kind:     hidden_grid_dims
    .group_segment_fixed_size: 0
    .kernarg_segment_align: 8
    .kernarg_segment_size: 280
    .language:       OpenCL C
    .language_version:
      - 2
      - 0
    .max_flat_workgroup_size: 1024
    .name:           _Z11ratt_kernelIfEvPKT_PS0_S0_
    .private_segment_fixed_size: 0
    .sgpr_count:     18
    .sgpr_spill_count: 0
    .symbol:         _Z11ratt_kernelIfEvPKT_PS0_S0_.kd
    .uniform_work_group_size: 1
    .uses_dynamic_stack: false
    .vgpr_count:     15
    .vgpr_spill_count: 0
    .wavefront_size: 32
    .workgroup_processor_mode: 1
  - .args:
      - .actual_access:  read_only
        .address_space:  global
        .offset:         0
        .size:           8
        .value_kind:     global_buffer
      - .actual_access:  write_only
        .address_space:  global
        .offset:         8
        .size:           8
        .value_kind:     global_buffer
      - .offset:         16
        .size:           4
        .value_kind:     by_value
      - .offset:         24
        .size:           4
        .value_kind:     hidden_block_count_x
      - .offset:         28
        .size:           4
        .value_kind:     hidden_block_count_y
      - .offset:         32
        .size:           4
        .value_kind:     hidden_block_count_z
      - .offset:         36
        .size:           2
        .value_kind:     hidden_group_size_x
      - .offset:         38
        .size:           2
        .value_kind:     hidden_group_size_y
      - .offset:         40
        .size:           2
        .value_kind:     hidden_group_size_z
      - .offset:         42
        .size:           2
        .value_kind:     hidden_remainder_x
      - .offset:         44
        .size:           2
        .value_kind:     hidden_remainder_y
      - .offset:         46
        .size:           2
        .value_kind:     hidden_remainder_z
      - .offset:         64
        .size:           8
        .value_kind:     hidden_global_offset_x
      - .offset:         72
        .size:           8
        .value_kind:     hidden_global_offset_y
      - .offset:         80
        .size:           8
        .value_kind:     hidden_global_offset_z
      - .offset:         88
        .size:           2
        .value_kind:     hidden_grid_dims
    .group_segment_fixed_size: 0
    .kernarg_segment_align: 8
    .kernarg_segment_size: 280
    .language:       OpenCL C
    .language_version:
      - 2
      - 0
    .max_flat_workgroup_size: 1024
    .name:           _Z12rdsmh_kernelIfEvPKT_PS0_S0_
    .private_segment_fixed_size: 0
    .sgpr_count:     18
    .sgpr_spill_count: 0
    .symbol:         _Z12rdsmh_kernelIfEvPKT_PS0_S0_.kd
    .uniform_work_group_size: 1
    .uses_dynamic_stack: false
    .vgpr_count:     23
    .vgpr_spill_count: 0
    .wavefront_size: 32
    .workgroup_processor_mode: 1
  - .args:
      - .address_space:  global
        .offset:         0
        .size:           8
        .value_kind:     global_buffer
      - .address_space:  global
        .offset:         8
        .size:           8
        .value_kind:     global_buffer
      - .address_space:  global
        .offset:         16
        .size:           8
        .value_kind:     global_buffer
      - .address_space:  global
        .offset:         24
        .size:           8
        .value_kind:     global_buffer
      - .offset:         32
        .size:           4
        .value_kind:     by_value
      - .offset:         36
        .size:           4
        .value_kind:     by_value
      - .offset:         40
        .size:           4
        .value_kind:     hidden_block_count_x
      - .offset:         44
        .size:           4
        .value_kind:     hidden_block_count_y
      - .offset:         48
        .size:           4
        .value_kind:     hidden_block_count_z
      - .offset:         52
        .size:           2
        .value_kind:     hidden_group_size_x
      - .offset:         54
        .size:           2
        .value_kind:     hidden_group_size_y
      - .offset:         56
        .size:           2
        .value_kind:     hidden_group_size_z
      - .offset:         58
        .size:           2
        .value_kind:     hidden_remainder_x
      - .offset:         60
        .size:           2
        .value_kind:     hidden_remainder_y
      - .offset:         62
        .size:           2
        .value_kind:     hidden_remainder_z
      - .offset:         80
        .size:           8
        .value_kind:     hidden_global_offset_x
      - .offset:         88
        .size:           8
        .value_kind:     hidden_global_offset_y
      - .offset:         96
        .size:           8
        .value_kind:     hidden_global_offset_z
      - .offset:         104
        .size:           2
        .value_kind:     hidden_grid_dims
    .group_segment_fixed_size: 0
    .kernarg_segment_align: 8
    .kernarg_segment_size: 296
    .language:       OpenCL C
    .language_version:
      - 2
      - 0
    .max_flat_workgroup_size: 1024
    .name:           _Z7gr_baseIfEvPKT_S2_S2_PS0_S0_S0_
    .private_segment_fixed_size: 0
    .sgpr_count:     18
    .sgpr_spill_count: 0
    .symbol:         _Z7gr_baseIfEvPKT_S2_S2_PS0_S0_S0_.kd
    .uniform_work_group_size: 1
    .uses_dynamic_stack: false
    .vgpr_count:     64
    .vgpr_spill_count: 0
    .wavefront_size: 32
    .workgroup_processor_mode: 1
  - .args:
      - .actual_access:  read_only
        .address_space:  global
        .offset:         0
        .size:           8
        .value_kind:     global_buffer
      - .actual_access:  read_only
        .address_space:  global
        .offset:         8
        .size:           8
        .value_kind:     global_buffer
      - .actual_access:  write_only
        .address_space:  global
        .offset:         16
        .size:           8
        .value_kind:     global_buffer
      - .actual_access:  read_only
        .address_space:  global
        .offset:         24
        .size:           8
        .value_kind:     global_buffer
      - .offset:         32
        .size:           4
        .value_kind:     by_value
      - .offset:         40
        .size:           4
        .value_kind:     hidden_block_count_x
      - .offset:         44
        .size:           4
        .value_kind:     hidden_block_count_y
      - .offset:         48
        .size:           4
        .value_kind:     hidden_block_count_z
      - .offset:         52
        .size:           2
        .value_kind:     hidden_group_size_x
      - .offset:         54
        .size:           2
        .value_kind:     hidden_group_size_y
      - .offset:         56
        .size:           2
        .value_kind:     hidden_group_size_z
      - .offset:         58
        .size:           2
        .value_kind:     hidden_remainder_x
      - .offset:         60
        .size:           2
        .value_kind:     hidden_remainder_y
      - .offset:         62
        .size:           2
        .value_kind:     hidden_remainder_z
      - .offset:         80
        .size:           8
        .value_kind:     hidden_global_offset_x
      - .offset:         88
        .size:           8
        .value_kind:     hidden_global_offset_y
      - .offset:         96
        .size:           8
        .value_kind:     hidden_global_offset_z
      - .offset:         104
        .size:           2
        .value_kind:     hidden_grid_dims
    .group_segment_fixed_size: 0
    .kernarg_segment_align: 8
    .kernarg_segment_size: 296
    .language:       OpenCL C
    .language_version:
      - 2
      - 0
    .max_flat_workgroup_size: 1024
    .name:           _Z12ratt2_kernelIfEvPKT_S2_PS0_S2_S0_
    .private_segment_fixed_size: 0
    .sgpr_count:     18
    .sgpr_spill_count: 0
    .symbol:         _Z12ratt2_kernelIfEvPKT_S2_PS0_S2_S0_.kd
    .uniform_work_group_size: 1
    .uses_dynamic_stack: false
    .vgpr_count:     95
    .vgpr_spill_count: 0
    .wavefront_size: 32
    .workgroup_processor_mode: 1
  - .args:
      - .actual_access:  read_only
        .address_space:  global
        .offset:         0
        .size:           8
        .value_kind:     global_buffer
      - .actual_access:  read_only
        .address_space:  global
        .offset:         8
        .size:           8
        .value_kind:     global_buffer
      - .actual_access:  write_only
        .address_space:  global
        .offset:         16
        .size:           8
        .value_kind:     global_buffer
      - .actual_access:  read_only
        .address_space:  global
        .offset:         24
        .size:           8
        .value_kind:     global_buffer
      - .offset:         32
        .size:           4
        .value_kind:     by_value
      - .offset:         40
        .size:           4
        .value_kind:     hidden_block_count_x
      - .offset:         44
        .size:           4
        .value_kind:     hidden_block_count_y
      - .offset:         48
        .size:           4
        .value_kind:     hidden_block_count_z
      - .offset:         52
        .size:           2
        .value_kind:     hidden_group_size_x
      - .offset:         54
        .size:           2
        .value_kind:     hidden_group_size_y
      - .offset:         56
        .size:           2
        .value_kind:     hidden_group_size_z
      - .offset:         58
        .size:           2
        .value_kind:     hidden_remainder_x
      - .offset:         60
        .size:           2
        .value_kind:     hidden_remainder_y
      - .offset:         62
        .size:           2
        .value_kind:     hidden_remainder_z
      - .offset:         80
        .size:           8
        .value_kind:     hidden_global_offset_x
      - .offset:         88
        .size:           8
        .value_kind:     hidden_global_offset_y
      - .offset:         96
        .size:           8
        .value_kind:     hidden_global_offset_z
      - .offset:         104
        .size:           2
        .value_kind:     hidden_grid_dims
    .group_segment_fixed_size: 0
    .kernarg_segment_align: 8
    .kernarg_segment_size: 296
    .language:       OpenCL C
    .language_version:
      - 2
      - 0
    .max_flat_workgroup_size: 1024
    .name:           _Z12ratt3_kernelIfEvPKT_S2_PS0_S2_S0_
    .private_segment_fixed_size: 0
    .sgpr_count:     18
    .sgpr_spill_count: 0
    .symbol:         _Z12ratt3_kernelIfEvPKT_S2_PS0_S2_S0_.kd
    .uniform_work_group_size: 1
    .uses_dynamic_stack: false
    .vgpr_count:     96
    .vgpr_spill_count: 0
    .wavefront_size: 32
    .workgroup_processor_mode: 1
  - .args:
      - .actual_access:  read_only
        .address_space:  global
        .offset:         0
        .size:           8
        .value_kind:     global_buffer
      - .actual_access:  read_only
        .address_space:  global
        .offset:         8
        .size:           8
        .value_kind:     global_buffer
      - .actual_access:  write_only
        .address_space:  global
        .offset:         16
        .size:           8
        .value_kind:     global_buffer
      - .actual_access:  read_only
        .address_space:  global
        .offset:         24
        .size:           8
        .value_kind:     global_buffer
      - .offset:         32
        .size:           4
        .value_kind:     by_value
      - .offset:         40
        .size:           4
        .value_kind:     hidden_block_count_x
      - .offset:         44
        .size:           4
        .value_kind:     hidden_block_count_y
      - .offset:         48
        .size:           4
        .value_kind:     hidden_block_count_z
      - .offset:         52
        .size:           2
        .value_kind:     hidden_group_size_x
      - .offset:         54
        .size:           2
        .value_kind:     hidden_group_size_y
      - .offset:         56
        .size:           2
        .value_kind:     hidden_group_size_z
      - .offset:         58
        .size:           2
        .value_kind:     hidden_remainder_x
      - .offset:         60
        .size:           2
        .value_kind:     hidden_remainder_y
      - .offset:         62
        .size:           2
        .value_kind:     hidden_remainder_z
      - .offset:         80
        .size:           8
        .value_kind:     hidden_global_offset_x
      - .offset:         88
        .size:           8
        .value_kind:     hidden_global_offset_y
      - .offset:         96
        .size:           8
        .value_kind:     hidden_global_offset_z
      - .offset:         104
        .size:           2
        .value_kind:     hidden_grid_dims
    .group_segment_fixed_size: 0
    .kernarg_segment_align: 8
    .kernarg_segment_size: 296
    .language:       OpenCL C
    .language_version:
      - 2
      - 0
    .max_flat_workgroup_size: 1024
    .name:           _Z12ratt4_kernelIfEvPKT_S2_PS0_S2_S0_
    .private_segment_fixed_size: 0
    .sgpr_count:     18
    .sgpr_spill_count: 0
    .symbol:         _Z12ratt4_kernelIfEvPKT_S2_PS0_S2_S0_.kd
    .uniform_work_group_size: 1
    .uses_dynamic_stack: false
    .vgpr_count:     96
    .vgpr_spill_count: 0
    .wavefront_size: 32
    .workgroup_processor_mode: 1
  - .args:
      - .actual_access:  read_only
        .address_space:  global
        .offset:         0
        .size:           8
        .value_kind:     global_buffer
      - .actual_access:  read_only
        .address_space:  global
        .offset:         8
        .size:           8
        .value_kind:     global_buffer
      - .actual_access:  write_only
        .address_space:  global
        .offset:         16
        .size:           8
        .value_kind:     global_buffer
      - .actual_access:  read_only
        .address_space:  global
        .offset:         24
        .size:           8
        .value_kind:     global_buffer
      - .offset:         32
        .size:           4
        .value_kind:     by_value
      - .offset:         40
        .size:           4
        .value_kind:     hidden_block_count_x
      - .offset:         44
        .size:           4
        .value_kind:     hidden_block_count_y
      - .offset:         48
        .size:           4
        .value_kind:     hidden_block_count_z
      - .offset:         52
        .size:           2
        .value_kind:     hidden_group_size_x
      - .offset:         54
        .size:           2
        .value_kind:     hidden_group_size_y
      - .offset:         56
        .size:           2
        .value_kind:     hidden_group_size_z
      - .offset:         58
        .size:           2
        .value_kind:     hidden_remainder_x
      - .offset:         60
        .size:           2
        .value_kind:     hidden_remainder_y
      - .offset:         62
        .size:           2
        .value_kind:     hidden_remainder_z
      - .offset:         80
        .size:           8
        .value_kind:     hidden_global_offset_x
      - .offset:         88
        .size:           8
        .value_kind:     hidden_global_offset_y
      - .offset:         96
        .size:           8
        .value_kind:     hidden_global_offset_z
      - .offset:         104
        .size:           2
        .value_kind:     hidden_grid_dims
    .group_segment_fixed_size: 0
    .kernarg_segment_align: 8
    .kernarg_segment_size: 296
    .language:       OpenCL C
    .language_version:
      - 2
      - 0
    .max_flat_workgroup_size: 1024
    .name:           _Z12ratt5_kernelIfEvPKT_S2_PS0_S2_S0_
    .private_segment_fixed_size: 0
    .sgpr_count:     18
    .sgpr_spill_count: 0
    .symbol:         _Z12ratt5_kernelIfEvPKT_S2_PS0_S2_S0_.kd
    .uniform_work_group_size: 1
    .uses_dynamic_stack: false
    .vgpr_count:     92
    .vgpr_spill_count: 0
    .wavefront_size: 32
    .workgroup_processor_mode: 1
  - .args:
      - .actual_access:  read_only
        .address_space:  global
        .offset:         0
        .size:           8
        .value_kind:     global_buffer
      - .actual_access:  read_only
        .address_space:  global
        .offset:         8
        .size:           8
        .value_kind:     global_buffer
      - .actual_access:  write_only
        .address_space:  global
        .offset:         16
        .size:           8
        .value_kind:     global_buffer
      - .actual_access:  read_only
        .address_space:  global
        .offset:         24
        .size:           8
        .value_kind:     global_buffer
      - .offset:         32
        .size:           4
        .value_kind:     by_value
      - .offset:         40
        .size:           4
        .value_kind:     hidden_block_count_x
      - .offset:         44
        .size:           4
        .value_kind:     hidden_block_count_y
      - .offset:         48
        .size:           4
        .value_kind:     hidden_block_count_z
      - .offset:         52
        .size:           2
        .value_kind:     hidden_group_size_x
      - .offset:         54
        .size:           2
        .value_kind:     hidden_group_size_y
      - .offset:         56
        .size:           2
        .value_kind:     hidden_group_size_z
      - .offset:         58
        .size:           2
        .value_kind:     hidden_remainder_x
      - .offset:         60
        .size:           2
        .value_kind:     hidden_remainder_y
      - .offset:         62
        .size:           2
        .value_kind:     hidden_remainder_z
      - .offset:         80
        .size:           8
        .value_kind:     hidden_global_offset_x
      - .offset:         88
        .size:           8
        .value_kind:     hidden_global_offset_y
      - .offset:         96
        .size:           8
        .value_kind:     hidden_global_offset_z
      - .offset:         104
        .size:           2
        .value_kind:     hidden_grid_dims
    .group_segment_fixed_size: 0
    .kernarg_segment_align: 8
    .kernarg_segment_size: 296
    .language:       OpenCL C
    .language_version:
      - 2
      - 0
    .max_flat_workgroup_size: 1024
    .name:           _Z12ratt6_kernelIfEvPKT_S2_PS0_S2_S0_
    .private_segment_fixed_size: 0
    .sgpr_count:     18
    .sgpr_spill_count: 0
    .symbol:         _Z12ratt6_kernelIfEvPKT_S2_PS0_S2_S0_.kd
    .uniform_work_group_size: 1
    .uses_dynamic_stack: false
    .vgpr_count:     95
    .vgpr_spill_count: 0
    .wavefront_size: 32
    .workgroup_processor_mode: 1
  - .args:
      - .actual_access:  read_only
        .address_space:  global
        .offset:         0
        .size:           8
        .value_kind:     global_buffer
      - .actual_access:  read_only
        .address_space:  global
        .offset:         8
        .size:           8
        .value_kind:     global_buffer
      - .actual_access:  write_only
        .address_space:  global
        .offset:         16
        .size:           8
        .value_kind:     global_buffer
      - .actual_access:  read_only
        .address_space:  global
        .offset:         24
        .size:           8
        .value_kind:     global_buffer
      - .offset:         32
        .size:           4
        .value_kind:     by_value
      - .offset:         40
        .size:           4
        .value_kind:     hidden_block_count_x
      - .offset:         44
        .size:           4
        .value_kind:     hidden_block_count_y
      - .offset:         48
        .size:           4
        .value_kind:     hidden_block_count_z
      - .offset:         52
        .size:           2
        .value_kind:     hidden_group_size_x
      - .offset:         54
        .size:           2
        .value_kind:     hidden_group_size_y
      - .offset:         56
        .size:           2
        .value_kind:     hidden_group_size_z
      - .offset:         58
        .size:           2
        .value_kind:     hidden_remainder_x
      - .offset:         60
        .size:           2
        .value_kind:     hidden_remainder_y
      - .offset:         62
        .size:           2
        .value_kind:     hidden_remainder_z
      - .offset:         80
        .size:           8
        .value_kind:     hidden_global_offset_x
      - .offset:         88
        .size:           8
        .value_kind:     hidden_global_offset_y
      - .offset:         96
        .size:           8
        .value_kind:     hidden_global_offset_z
      - .offset:         104
        .size:           2
        .value_kind:     hidden_grid_dims
    .group_segment_fixed_size: 0
    .kernarg_segment_align: 8
    .kernarg_segment_size: 296
    .language:       OpenCL C
    .language_version:
      - 2
      - 0
    .max_flat_workgroup_size: 1024
    .name:           _Z12ratt7_kernelIfEvPKT_S2_PS0_S2_S0_
    .private_segment_fixed_size: 0
    .sgpr_count:     18
    .sgpr_spill_count: 0
    .symbol:         _Z12ratt7_kernelIfEvPKT_S2_PS0_S2_S0_.kd
    .uniform_work_group_size: 1
    .uses_dynamic_stack: false
    .vgpr_count:     95
    .vgpr_spill_count: 0
    .wavefront_size: 32
    .workgroup_processor_mode: 1
  - .args:
      - .actual_access:  read_only
        .address_space:  global
        .offset:         0
        .size:           8
        .value_kind:     global_buffer
      - .actual_access:  read_only
        .address_space:  global
        .offset:         8
        .size:           8
        .value_kind:     global_buffer
      - .actual_access:  write_only
        .address_space:  global
        .offset:         16
        .size:           8
        .value_kind:     global_buffer
      - .actual_access:  read_only
        .address_space:  global
        .offset:         24
        .size:           8
        .value_kind:     global_buffer
      - .offset:         32
        .size:           4
        .value_kind:     by_value
      - .offset:         40
        .size:           4
        .value_kind:     hidden_block_count_x
      - .offset:         44
        .size:           4
        .value_kind:     hidden_block_count_y
      - .offset:         48
        .size:           4
        .value_kind:     hidden_block_count_z
      - .offset:         52
        .size:           2
        .value_kind:     hidden_group_size_x
      - .offset:         54
        .size:           2
        .value_kind:     hidden_group_size_y
      - .offset:         56
        .size:           2
        .value_kind:     hidden_group_size_z
      - .offset:         58
        .size:           2
        .value_kind:     hidden_remainder_x
      - .offset:         60
        .size:           2
        .value_kind:     hidden_remainder_y
      - .offset:         62
        .size:           2
        .value_kind:     hidden_remainder_z
      - .offset:         80
        .size:           8
        .value_kind:     hidden_global_offset_x
      - .offset:         88
        .size:           8
        .value_kind:     hidden_global_offset_y
      - .offset:         96
        .size:           8
        .value_kind:     hidden_global_offset_z
      - .offset:         104
        .size:           2
        .value_kind:     hidden_grid_dims
    .group_segment_fixed_size: 0
    .kernarg_segment_align: 8
    .kernarg_segment_size: 296
    .language:       OpenCL C
    .language_version:
      - 2
      - 0
    .max_flat_workgroup_size: 1024
    .name:           _Z12ratt8_kernelIfEvPKT_S2_PS0_S2_S0_
    .private_segment_fixed_size: 0
    .sgpr_count:     18
    .sgpr_spill_count: 0
    .symbol:         _Z12ratt8_kernelIfEvPKT_S2_PS0_S2_S0_.kd
    .uniform_work_group_size: 1
    .uses_dynamic_stack: false
    .vgpr_count:     94
    .vgpr_spill_count: 0
    .wavefront_size: 32
    .workgroup_processor_mode: 1
  - .args:
      - .actual_access:  read_only
        .address_space:  global
        .offset:         0
        .size:           8
        .value_kind:     global_buffer
      - .actual_access:  read_only
        .address_space:  global
        .offset:         8
        .size:           8
        .value_kind:     global_buffer
      - .actual_access:  write_only
        .address_space:  global
        .offset:         16
        .size:           8
        .value_kind:     global_buffer
      - .actual_access:  read_only
        .address_space:  global
        .offset:         24
        .size:           8
        .value_kind:     global_buffer
      - .offset:         32
        .size:           4
        .value_kind:     by_value
      - .offset:         40
        .size:           4
        .value_kind:     hidden_block_count_x
      - .offset:         44
        .size:           4
        .value_kind:     hidden_block_count_y
      - .offset:         48
        .size:           4
        .value_kind:     hidden_block_count_z
      - .offset:         52
        .size:           2
        .value_kind:     hidden_group_size_x
      - .offset:         54
        .size:           2
        .value_kind:     hidden_group_size_y
      - .offset:         56
        .size:           2
        .value_kind:     hidden_group_size_z
      - .offset:         58
        .size:           2
        .value_kind:     hidden_remainder_x
      - .offset:         60
        .size:           2
        .value_kind:     hidden_remainder_y
      - .offset:         62
        .size:           2
        .value_kind:     hidden_remainder_z
      - .offset:         80
        .size:           8
        .value_kind:     hidden_global_offset_x
      - .offset:         88
        .size:           8
        .value_kind:     hidden_global_offset_y
      - .offset:         96
        .size:           8
        .value_kind:     hidden_global_offset_z
      - .offset:         104
        .size:           2
        .value_kind:     hidden_grid_dims
    .group_segment_fixed_size: 0
    .kernarg_segment_align: 8
    .kernarg_segment_size: 296
    .language:       OpenCL C
    .language_version:
      - 2
      - 0
    .max_flat_workgroup_size: 1024
    .name:           _Z12ratt9_kernelIfEvPKT_S2_PS0_S2_S0_
    .private_segment_fixed_size: 0
    .sgpr_count:     18
    .sgpr_spill_count: 0
    .symbol:         _Z12ratt9_kernelIfEvPKT_S2_PS0_S2_S0_.kd
    .uniform_work_group_size: 1
    .uses_dynamic_stack: false
    .vgpr_count:     94
    .vgpr_spill_count: 0
    .wavefront_size: 32
    .workgroup_processor_mode: 1
  - .args:
      - .actual_access:  read_only
        .address_space:  global
        .offset:         0
        .size:           8
        .value_kind:     global_buffer
      - .actual_access:  write_only
        .address_space:  global
        .offset:         8
        .size:           8
        .value_kind:     global_buffer
      - .offset:         16
        .size:           4
        .value_kind:     by_value
      - .offset:         24
        .size:           4
        .value_kind:     hidden_block_count_x
      - .offset:         28
        .size:           4
        .value_kind:     hidden_block_count_y
      - .offset:         32
        .size:           4
        .value_kind:     hidden_block_count_z
      - .offset:         36
        .size:           2
        .value_kind:     hidden_group_size_x
      - .offset:         38
        .size:           2
        .value_kind:     hidden_group_size_y
      - .offset:         40
        .size:           2
        .value_kind:     hidden_group_size_z
      - .offset:         42
        .size:           2
        .value_kind:     hidden_remainder_x
      - .offset:         44
        .size:           2
        .value_kind:     hidden_remainder_y
      - .offset:         46
        .size:           2
        .value_kind:     hidden_remainder_z
      - .offset:         64
        .size:           8
        .value_kind:     hidden_global_offset_x
      - .offset:         72
        .size:           8
        .value_kind:     hidden_global_offset_y
      - .offset:         80
        .size:           8
        .value_kind:     hidden_global_offset_z
      - .offset:         88
        .size:           2
        .value_kind:     hidden_grid_dims
    .group_segment_fixed_size: 0
    .kernarg_segment_align: 8
    .kernarg_segment_size: 280
    .language:       OpenCL C
    .language_version:
      - 2
      - 0
    .max_flat_workgroup_size: 1024
    .name:           _Z13ratt10_kernelIfEvPKT_PS0_S0_
    .private_segment_fixed_size: 0
    .sgpr_count:     18
    .sgpr_spill_count: 0
    .symbol:         _Z13ratt10_kernelIfEvPKT_PS0_S0_.kd
    .uniform_work_group_size: 1
    .uses_dynamic_stack: false
    .vgpr_count:     12
    .vgpr_spill_count: 0
    .wavefront_size: 32
    .workgroup_processor_mode: 1
  - .args:
      - .actual_access:  read_only
        .address_space:  global
        .offset:         0
        .size:           8
        .value_kind:     global_buffer
      - .actual_access:  read_only
        .address_space:  global
        .offset:         8
        .size:           8
        .value_kind:     global_buffer
      - .address_space:  global
        .offset:         16
        .size:           8
        .value_kind:     global_buffer
      - .address_space:  global
        .offset:         24
        .size:           8
        .value_kind:     global_buffer
      - .actual_access:  read_only
        .address_space:  global
        .offset:         32
        .size:           8
        .value_kind:     global_buffer
      - .offset:         40
        .size:           4
        .value_kind:     by_value
      - .offset:         48
        .size:           4
        .value_kind:     hidden_block_count_x
      - .offset:         52
        .size:           4
        .value_kind:     hidden_block_count_y
      - .offset:         56
        .size:           4
        .value_kind:     hidden_block_count_z
      - .offset:         60
        .size:           2
        .value_kind:     hidden_group_size_x
      - .offset:         62
        .size:           2
        .value_kind:     hidden_group_size_y
      - .offset:         64
        .size:           2
        .value_kind:     hidden_group_size_z
      - .offset:         66
        .size:           2
        .value_kind:     hidden_remainder_x
      - .offset:         68
        .size:           2
        .value_kind:     hidden_remainder_y
      - .offset:         70
        .size:           2
        .value_kind:     hidden_remainder_z
      - .offset:         88
        .size:           8
        .value_kind:     hidden_global_offset_x
      - .offset:         96
        .size:           8
        .value_kind:     hidden_global_offset_y
      - .offset:         104
        .size:           8
        .value_kind:     hidden_global_offset_z
      - .offset:         112
        .size:           2
        .value_kind:     hidden_grid_dims
    .group_segment_fixed_size: 0
    .kernarg_segment_align: 8
    .kernarg_segment_size: 304
    .language:       OpenCL C
    .language_version:
      - 2
      - 0
    .max_flat_workgroup_size: 1024
    .name:           _Z11ratx_kernelIfEvPKT_S2_PS0_S3_S2_S0_
    .private_segment_fixed_size: 0
    .sgpr_count:     18
    .sgpr_spill_count: 0
    .symbol:         _Z11ratx_kernelIfEvPKT_S2_PS0_S3_S2_S0_.kd
    .uniform_work_group_size: 1
    .uses_dynamic_stack: false
    .vgpr_count:     55
    .vgpr_spill_count: 0
    .wavefront_size: 32
    .workgroup_processor_mode: 1
  - .args:
      - .actual_access:  read_only
        .address_space:  global
        .offset:         0
        .size:           8
        .value_kind:     global_buffer
      - .actual_access:  read_only
        .address_space:  global
        .offset:         8
        .size:           8
        .value_kind:     global_buffer
      - .address_space:  global
        .offset:         16
        .size:           8
        .value_kind:     global_buffer
      - .address_space:  global
        .offset:         24
        .size:           8
        .value_kind:     global_buffer
      - .actual_access:  read_only
        .address_space:  global
        .offset:         32
        .size:           8
        .value_kind:     global_buffer
      - .offset:         40
        .size:           4
        .value_kind:     by_value
      - .offset:         48
        .size:           4
        .value_kind:     hidden_block_count_x
      - .offset:         52
        .size:           4
        .value_kind:     hidden_block_count_y
      - .offset:         56
        .size:           4
        .value_kind:     hidden_block_count_z
      - .offset:         60
        .size:           2
        .value_kind:     hidden_group_size_x
      - .offset:         62
        .size:           2
        .value_kind:     hidden_group_size_y
      - .offset:         64
        .size:           2
        .value_kind:     hidden_group_size_z
      - .offset:         66
        .size:           2
        .value_kind:     hidden_remainder_x
      - .offset:         68
        .size:           2
        .value_kind:     hidden_remainder_y
      - .offset:         70
        .size:           2
        .value_kind:     hidden_remainder_z
      - .offset:         88
        .size:           8
        .value_kind:     hidden_global_offset_x
      - .offset:         96
        .size:           8
        .value_kind:     hidden_global_offset_y
      - .offset:         104
        .size:           8
        .value_kind:     hidden_global_offset_z
      - .offset:         112
        .size:           2
        .value_kind:     hidden_grid_dims
    .group_segment_fixed_size: 0
    .kernarg_segment_align: 8
    .kernarg_segment_size: 304
    .language:       OpenCL C
    .language_version:
      - 2
      - 0
    .max_flat_workgroup_size: 1024
    .name:           _Z12ratxb_kernelIfEvPKT_S2_PS0_S3_S2_S0_
    .private_segment_fixed_size: 0
    .sgpr_count:     18
    .sgpr_spill_count: 0
    .symbol:         _Z12ratxb_kernelIfEvPKT_S2_PS0_S3_S2_S0_.kd
    .uniform_work_group_size: 1
    .uses_dynamic_stack: false
    .vgpr_count:     72
    .vgpr_spill_count: 0
    .wavefront_size: 32
    .workgroup_processor_mode: 1
  - .args:
      - .actual_access:  read_only
        .address_space:  global
        .offset:         0
        .size:           8
        .value_kind:     global_buffer
      - .address_space:  global
        .offset:         8
        .size:           8
        .value_kind:     global_buffer
      - .actual_access:  read_only
        .address_space:  global
        .offset:         16
        .size:           8
        .value_kind:     global_buffer
      - .offset:         24
        .size:           4
        .value_kind:     hidden_block_count_x
      - .offset:         28
        .size:           4
        .value_kind:     hidden_block_count_y
      - .offset:         32
        .size:           4
        .value_kind:     hidden_block_count_z
      - .offset:         36
        .size:           2
        .value_kind:     hidden_group_size_x
      - .offset:         38
        .size:           2
        .value_kind:     hidden_group_size_y
      - .offset:         40
        .size:           2
        .value_kind:     hidden_group_size_z
      - .offset:         42
        .size:           2
        .value_kind:     hidden_remainder_x
      - .offset:         44
        .size:           2
        .value_kind:     hidden_remainder_y
      - .offset:         46
        .size:           2
        .value_kind:     hidden_remainder_z
      - .offset:         64
        .size:           8
        .value_kind:     hidden_global_offset_x
      - .offset:         72
        .size:           8
        .value_kind:     hidden_global_offset_y
      - .offset:         80
        .size:           8
        .value_kind:     hidden_global_offset_z
      - .offset:         88
        .size:           2
        .value_kind:     hidden_grid_dims
    .group_segment_fixed_size: 0
    .kernarg_segment_align: 8
    .kernarg_segment_size: 280
    .language:       OpenCL C
    .language_version:
      - 2
      - 0
    .max_flat_workgroup_size: 1024
    .name:           _Z12ratx2_kernelIfEvPKT_PS0_S3_
    .private_segment_fixed_size: 0
    .sgpr_count:     18
    .sgpr_spill_count: 0
    .symbol:         _Z12ratx2_kernelIfEvPKT_PS0_S3_.kd
    .uniform_work_group_size: 1
    .uses_dynamic_stack: false
    .vgpr_count:     35
    .vgpr_spill_count: 0
    .wavefront_size: 32
    .workgroup_processor_mode: 1
  - .args:
      - .actual_access:  read_only
        .address_space:  global
        .offset:         0
        .size:           8
        .value_kind:     global_buffer
      - .actual_access:  read_only
        .address_space:  global
        .offset:         8
        .size:           8
        .value_kind:     global_buffer
      - .address_space:  global
        .offset:         16
        .size:           8
        .value_kind:     global_buffer
      - .offset:         24
        .size:           4
        .value_kind:     hidden_block_count_x
      - .offset:         28
        .size:           4
        .value_kind:     hidden_block_count_y
      - .offset:         32
        .size:           4
        .value_kind:     hidden_block_count_z
      - .offset:         36
        .size:           2
        .value_kind:     hidden_group_size_x
      - .offset:         38
        .size:           2
        .value_kind:     hidden_group_size_y
      - .offset:         40
        .size:           2
        .value_kind:     hidden_group_size_z
      - .offset:         42
        .size:           2
        .value_kind:     hidden_remainder_x
      - .offset:         44
        .size:           2
        .value_kind:     hidden_remainder_y
      - .offset:         46
        .size:           2
        .value_kind:     hidden_remainder_z
      - .offset:         64
        .size:           8
        .value_kind:     hidden_global_offset_x
      - .offset:         72
        .size:           8
        .value_kind:     hidden_global_offset_y
      - .offset:         80
        .size:           8
        .value_kind:     hidden_global_offset_z
      - .offset:         88
        .size:           2
        .value_kind:     hidden_grid_dims
    .group_segment_fixed_size: 0
    .kernarg_segment_align: 8
    .kernarg_segment_size: 280
    .language:       OpenCL C
    .language_version:
      - 2
      - 0
    .max_flat_workgroup_size: 1024
    .name:           _Z12ratx4_kernelIfEvPKT_PS0_S3_
    .private_segment_fixed_size: 0
    .sgpr_count:     18
    .sgpr_spill_count: 0
    .symbol:         _Z12ratx4_kernelIfEvPKT_PS0_S3_.kd
    .uniform_work_group_size: 1
    .uses_dynamic_stack: false
    .vgpr_count:     93
    .vgpr_spill_count: 0
    .wavefront_size: 32
    .workgroup_processor_mode: 1
  - .args:
      - .address_space:  global
        .offset:         0
        .size:           8
        .value_kind:     global_buffer
      - .address_space:  global
        .offset:         8
        .size:           8
        .value_kind:     global_buffer
      - .actual_access:  write_only
        .address_space:  global
        .offset:         16
        .size:           8
        .value_kind:     global_buffer
      - .offset:         24
        .size:           4
        .value_kind:     hidden_block_count_x
      - .offset:         28
        .size:           4
        .value_kind:     hidden_block_count_y
      - .offset:         32
        .size:           4
        .value_kind:     hidden_block_count_z
      - .offset:         36
        .size:           2
        .value_kind:     hidden_group_size_x
      - .offset:         38
        .size:           2
        .value_kind:     hidden_group_size_y
      - .offset:         40
        .size:           2
        .value_kind:     hidden_group_size_z
      - .offset:         42
        .size:           2
        .value_kind:     hidden_remainder_x
      - .offset:         44
        .size:           2
        .value_kind:     hidden_remainder_y
      - .offset:         46
        .size:           2
        .value_kind:     hidden_remainder_z
      - .offset:         64
        .size:           8
        .value_kind:     hidden_global_offset_x
      - .offset:         72
        .size:           8
        .value_kind:     hidden_global_offset_y
      - .offset:         80
        .size:           8
        .value_kind:     hidden_global_offset_z
      - .offset:         88
        .size:           2
        .value_kind:     hidden_grid_dims
    .group_segment_fixed_size: 0
    .kernarg_segment_align: 8
    .kernarg_segment_size: 280
    .language:       OpenCL C
    .language_version:
      - 2
      - 0
    .max_flat_workgroup_size: 1024
    .name:           _Z11qssa_kernelIfEvPT_S1_S1_
    .private_segment_fixed_size: 0
    .sgpr_count:     21
    .sgpr_spill_count: 0
    .symbol:         _Z11qssa_kernelIfEvPT_S1_S1_.kd
    .uniform_work_group_size: 1
    .uses_dynamic_stack: false
    .vgpr_count:     135
    .vgpr_spill_count: 0
    .wavefront_size: 32
    .workgroup_processor_mode: 1
  - .args:
      - .actual_access:  read_only
        .address_space:  global
        .offset:         0
        .size:           8
        .value_kind:     global_buffer
      - .actual_access:  read_only
        .address_space:  global
        .offset:         8
        .size:           8
        .value_kind:     global_buffer
      - .address_space:  global
        .offset:         16
        .size:           8
        .value_kind:     global_buffer
      - .offset:         24
        .size:           4
        .value_kind:     hidden_block_count_x
      - .offset:         28
        .size:           4
        .value_kind:     hidden_block_count_y
      - .offset:         32
        .size:           4
        .value_kind:     hidden_block_count_z
      - .offset:         36
        .size:           2
        .value_kind:     hidden_group_size_x
      - .offset:         38
        .size:           2
        .value_kind:     hidden_group_size_y
      - .offset:         40
        .size:           2
        .value_kind:     hidden_group_size_z
      - .offset:         42
        .size:           2
        .value_kind:     hidden_remainder_x
      - .offset:         44
        .size:           2
        .value_kind:     hidden_remainder_y
      - .offset:         46
        .size:           2
        .value_kind:     hidden_remainder_z
      - .offset:         64
        .size:           8
        .value_kind:     hidden_global_offset_x
      - .offset:         72
        .size:           8
        .value_kind:     hidden_global_offset_y
      - .offset:         80
        .size:           8
        .value_kind:     hidden_global_offset_z
      - .offset:         88
        .size:           2
        .value_kind:     hidden_grid_dims
    .group_segment_fixed_size: 0
    .kernarg_segment_align: 8
    .kernarg_segment_size: 280
    .language:       OpenCL C
    .language_version:
      - 2
      - 0
    .max_flat_workgroup_size: 1024
    .name:           _Z12qssab_kernelIfEvPT_S1_S1_
    .private_segment_fixed_size: 0
    .sgpr_count:     18
    .sgpr_spill_count: 0
    .symbol:         _Z12qssab_kernelIfEvPT_S1_S1_.kd
    .uniform_work_group_size: 1
    .uses_dynamic_stack: false
    .vgpr_count:     59
    .vgpr_spill_count: 0
    .wavefront_size: 32
    .workgroup_processor_mode: 1
  - .args:
      - .address_space:  global
        .offset:         0
        .size:           8
        .value_kind:     global_buffer
      - .address_space:  global
        .offset:         8
        .size:           8
        .value_kind:     global_buffer
      - .actual_access:  read_only
        .address_space:  global
        .offset:         16
        .size:           8
        .value_kind:     global_buffer
      - .offset:         24
        .size:           4
        .value_kind:     hidden_block_count_x
      - .offset:         28
        .size:           4
        .value_kind:     hidden_block_count_y
      - .offset:         32
        .size:           4
        .value_kind:     hidden_block_count_z
      - .offset:         36
        .size:           2
        .value_kind:     hidden_group_size_x
      - .offset:         38
        .size:           2
        .value_kind:     hidden_group_size_y
      - .offset:         40
        .size:           2
        .value_kind:     hidden_group_size_z
      - .offset:         42
        .size:           2
        .value_kind:     hidden_remainder_x
      - .offset:         44
        .size:           2
        .value_kind:     hidden_remainder_y
      - .offset:         46
        .size:           2
        .value_kind:     hidden_remainder_z
      - .offset:         64
        .size:           8
        .value_kind:     hidden_global_offset_x
      - .offset:         72
        .size:           8
        .value_kind:     hidden_global_offset_y
      - .offset:         80
        .size:           8
        .value_kind:     hidden_global_offset_z
      - .offset:         88
        .size:           2
        .value_kind:     hidden_grid_dims
    .group_segment_fixed_size: 0
    .kernarg_segment_align: 8
    .kernarg_segment_size: 280
    .language:       OpenCL C
    .language_version:
      - 2
      - 0
    .max_flat_workgroup_size: 1024
    .name:           _Z12qssa2_kernelIfEvPT_S1_PKS0_
    .private_segment_fixed_size: 0
    .sgpr_count:     18
    .sgpr_spill_count: 0
    .symbol:         _Z12qssa2_kernelIfEvPT_S1_PKS0_.kd
    .uniform_work_group_size: 1
    .uses_dynamic_stack: false
    .vgpr_count:     81
    .vgpr_spill_count: 0
    .wavefront_size: 32
    .workgroup_processor_mode: 1
  - .args:
      - .actual_access:  read_only
        .address_space:  global
        .offset:         0
        .size:           8
        .value_kind:     global_buffer
      - .actual_access:  read_only
        .address_space:  global
        .offset:         8
        .size:           8
        .value_kind:     global_buffer
      - .actual_access:  write_only
        .address_space:  global
        .offset:         16
        .size:           8
        .value_kind:     global_buffer
      - .offset:         24
        .size:           4
        .value_kind:     by_value
      - .actual_access:  read_only
        .address_space:  global
        .offset:         32
        .size:           8
        .value_kind:     global_buffer
      - .offset:         40
        .size:           4
        .value_kind:     hidden_block_count_x
      - .offset:         44
        .size:           4
        .value_kind:     hidden_block_count_y
      - .offset:         48
        .size:           4
        .value_kind:     hidden_block_count_z
      - .offset:         52
        .size:           2
        .value_kind:     hidden_group_size_x
      - .offset:         54
        .size:           2
        .value_kind:     hidden_group_size_y
      - .offset:         56
        .size:           2
        .value_kind:     hidden_group_size_z
      - .offset:         58
        .size:           2
        .value_kind:     hidden_remainder_x
      - .offset:         60
        .size:           2
        .value_kind:     hidden_remainder_y
      - .offset:         62
        .size:           2
        .value_kind:     hidden_remainder_z
      - .offset:         80
        .size:           8
        .value_kind:     hidden_global_offset_x
      - .offset:         88
        .size:           8
        .value_kind:     hidden_global_offset_y
      - .offset:         96
        .size:           8
        .value_kind:     hidden_global_offset_z
      - .offset:         104
        .size:           2
        .value_kind:     hidden_grid_dims
    .group_segment_fixed_size: 0
    .kernarg_segment_align: 8
    .kernarg_segment_size: 296
    .language:       OpenCL C
    .language_version:
      - 2
      - 0
    .max_flat_workgroup_size: 1024
    .name:           _Z13rdwdot_kernelIfEvPKT_S2_PS0_S0_S2_
    .private_segment_fixed_size: 0
    .sgpr_count:     19
    .sgpr_spill_count: 0
    .symbol:         _Z13rdwdot_kernelIfEvPKT_S2_PS0_S0_S2_.kd
    .uniform_work_group_size: 1
    .uses_dynamic_stack: false
    .vgpr_count:     11
    .vgpr_spill_count: 0
    .wavefront_size: 32
    .workgroup_processor_mode: 1
  - .args:
      - .actual_access:  read_only
        .address_space:  global
        .offset:         0
        .size:           8
        .value_kind:     global_buffer
      - .actual_access:  read_only
        .address_space:  global
        .offset:         8
        .size:           8
        .value_kind:     global_buffer
      - .actual_access:  write_only
        .address_space:  global
        .offset:         16
        .size:           8
        .value_kind:     global_buffer
      - .offset:         24
        .size:           4
        .value_kind:     by_value
      - .actual_access:  read_only
        .address_space:  global
        .offset:         32
        .size:           8
        .value_kind:     global_buffer
      - .offset:         40
        .size:           4
        .value_kind:     hidden_block_count_x
      - .offset:         44
        .size:           4
        .value_kind:     hidden_block_count_y
      - .offset:         48
        .size:           4
        .value_kind:     hidden_block_count_z
      - .offset:         52
        .size:           2
        .value_kind:     hidden_group_size_x
      - .offset:         54
        .size:           2
        .value_kind:     hidden_group_size_y
      - .offset:         56
        .size:           2
        .value_kind:     hidden_group_size_z
      - .offset:         58
        .size:           2
        .value_kind:     hidden_remainder_x
      - .offset:         60
        .size:           2
        .value_kind:     hidden_remainder_y
      - .offset:         62
        .size:           2
        .value_kind:     hidden_remainder_z
      - .offset:         80
        .size:           8
        .value_kind:     hidden_global_offset_x
      - .offset:         88
        .size:           8
        .value_kind:     hidden_global_offset_y
      - .offset:         96
        .size:           8
        .value_kind:     hidden_global_offset_z
      - .offset:         104
        .size:           2
        .value_kind:     hidden_grid_dims
    .group_segment_fixed_size: 0
    .kernarg_segment_align: 8
    .kernarg_segment_size: 296
    .language:       OpenCL C
    .language_version:
      - 2
      - 0
    .max_flat_workgroup_size: 1024
    .name:           _Z14rdwdot2_kernelIfEvPKT_S2_PS0_S0_S2_
    .private_segment_fixed_size: 0
    .sgpr_count:     18
    .sgpr_spill_count: 0
    .symbol:         _Z14rdwdot2_kernelIfEvPKT_S2_PS0_S0_S2_.kd
    .uniform_work_group_size: 1
    .uses_dynamic_stack: false
    .vgpr_count:     59
    .vgpr_spill_count: 0
    .wavefront_size: 32
    .workgroup_processor_mode: 1
  - .args:
      - .actual_access:  read_only
        .address_space:  global
        .offset:         0
        .size:           8
        .value_kind:     global_buffer
      - .actual_access:  read_only
        .address_space:  global
        .offset:         8
        .size:           8
        .value_kind:     global_buffer
      - .actual_access:  write_only
        .address_space:  global
        .offset:         16
        .size:           8
        .value_kind:     global_buffer
      - .offset:         24
        .size:           4
        .value_kind:     by_value
      - .actual_access:  read_only
        .address_space:  global
        .offset:         32
        .size:           8
        .value_kind:     global_buffer
      - .offset:         40
        .size:           4
        .value_kind:     hidden_block_count_x
      - .offset:         44
        .size:           4
        .value_kind:     hidden_block_count_y
      - .offset:         48
        .size:           4
        .value_kind:     hidden_block_count_z
      - .offset:         52
        .size:           2
        .value_kind:     hidden_group_size_x
      - .offset:         54
        .size:           2
        .value_kind:     hidden_group_size_y
      - .offset:         56
        .size:           2
        .value_kind:     hidden_group_size_z
      - .offset:         58
        .size:           2
        .value_kind:     hidden_remainder_x
      - .offset:         60
        .size:           2
        .value_kind:     hidden_remainder_y
      - .offset:         62
        .size:           2
        .value_kind:     hidden_remainder_z
      - .offset:         80
        .size:           8
        .value_kind:     hidden_global_offset_x
      - .offset:         88
        .size:           8
        .value_kind:     hidden_global_offset_y
      - .offset:         96
        .size:           8
        .value_kind:     hidden_global_offset_z
      - .offset:         104
        .size:           2
        .value_kind:     hidden_grid_dims
    .group_segment_fixed_size: 0
    .kernarg_segment_align: 8
    .kernarg_segment_size: 296
    .language:       OpenCL C
    .language_version:
      - 2
      - 0
    .max_flat_workgroup_size: 1024
    .name:           _Z14rdwdot3_kernelIfEvPKT_S2_PS0_S0_S2_
    .private_segment_fixed_size: 0
    .sgpr_count:     25
    .sgpr_spill_count: 0
    .symbol:         _Z14rdwdot3_kernelIfEvPKT_S2_PS0_S0_S2_.kd
    .uniform_work_group_size: 1
    .uses_dynamic_stack: false
    .vgpr_count:     15
    .vgpr_spill_count: 0
    .wavefront_size: 32
    .workgroup_processor_mode: 1
  - .args:
      - .actual_access:  read_only
        .address_space:  global
        .offset:         0
        .size:           8
        .value_kind:     global_buffer
      - .actual_access:  read_only
        .address_space:  global
        .offset:         8
        .size:           8
        .value_kind:     global_buffer
      - .actual_access:  write_only
        .address_space:  global
        .offset:         16
        .size:           8
        .value_kind:     global_buffer
      - .offset:         24
        .size:           4
        .value_kind:     by_value
      - .actual_access:  read_only
        .address_space:  global
        .offset:         32
        .size:           8
        .value_kind:     global_buffer
      - .offset:         40
        .size:           4
        .value_kind:     hidden_block_count_x
      - .offset:         44
        .size:           4
        .value_kind:     hidden_block_count_y
      - .offset:         48
        .size:           4
        .value_kind:     hidden_block_count_z
      - .offset:         52
        .size:           2
        .value_kind:     hidden_group_size_x
      - .offset:         54
        .size:           2
        .value_kind:     hidden_group_size_y
      - .offset:         56
        .size:           2
        .value_kind:     hidden_group_size_z
      - .offset:         58
        .size:           2
        .value_kind:     hidden_remainder_x
      - .offset:         60
        .size:           2
        .value_kind:     hidden_remainder_y
      - .offset:         62
        .size:           2
        .value_kind:     hidden_remainder_z
      - .offset:         80
        .size:           8
        .value_kind:     hidden_global_offset_x
      - .offset:         88
        .size:           8
        .value_kind:     hidden_global_offset_y
      - .offset:         96
        .size:           8
        .value_kind:     hidden_global_offset_z
      - .offset:         104
        .size:           2
        .value_kind:     hidden_grid_dims
    .group_segment_fixed_size: 0
    .kernarg_segment_align: 8
    .kernarg_segment_size: 296
    .language:       OpenCL C
    .language_version:
      - 2
      - 0
    .max_flat_workgroup_size: 1024
    .name:           _Z14rdwdot6_kernelIfEvPKT_S2_PS0_S0_S2_
    .private_segment_fixed_size: 0
    .sgpr_count:     18
    .sgpr_spill_count: 0
    .symbol:         _Z14rdwdot6_kernelIfEvPKT_S2_PS0_S0_S2_.kd
    .uniform_work_group_size: 1
    .uses_dynamic_stack: false
    .vgpr_count:     94
    .vgpr_spill_count: 0
    .wavefront_size: 32
    .workgroup_processor_mode: 1
  - .args:
      - .actual_access:  read_only
        .address_space:  global
        .offset:         0
        .size:           8
        .value_kind:     global_buffer
      - .actual_access:  read_only
        .address_space:  global
        .offset:         8
        .size:           8
        .value_kind:     global_buffer
      - .actual_access:  write_only
        .address_space:  global
        .offset:         16
        .size:           8
        .value_kind:     global_buffer
      - .offset:         24
        .size:           4
        .value_kind:     by_value
      - .actual_access:  read_only
        .address_space:  global
        .offset:         32
        .size:           8
        .value_kind:     global_buffer
      - .offset:         40
        .size:           4
        .value_kind:     hidden_block_count_x
      - .offset:         44
        .size:           4
        .value_kind:     hidden_block_count_y
      - .offset:         48
        .size:           4
        .value_kind:     hidden_block_count_z
      - .offset:         52
        .size:           2
        .value_kind:     hidden_group_size_x
      - .offset:         54
        .size:           2
        .value_kind:     hidden_group_size_y
      - .offset:         56
        .size:           2
        .value_kind:     hidden_group_size_z
      - .offset:         58
        .size:           2
        .value_kind:     hidden_remainder_x
      - .offset:         60
        .size:           2
        .value_kind:     hidden_remainder_y
      - .offset:         62
        .size:           2
        .value_kind:     hidden_remainder_z
      - .offset:         80
        .size:           8
        .value_kind:     hidden_global_offset_x
      - .offset:         88
        .size:           8
        .value_kind:     hidden_global_offset_y
      - .offset:         96
        .size:           8
        .value_kind:     hidden_global_offset_z
      - .offset:         104
        .size:           2
        .value_kind:     hidden_grid_dims
    .group_segment_fixed_size: 0
    .kernarg_segment_align: 8
    .kernarg_segment_size: 296
    .language:       OpenCL C
    .language_version:
      - 2
      - 0
    .max_flat_workgroup_size: 1024
    .name:           _Z14rdwdot7_kernelIfEvPKT_S2_PS0_S0_S2_
    .private_segment_fixed_size: 0
    .sgpr_count:     18
    .sgpr_spill_count: 0
    .symbol:         _Z14rdwdot7_kernelIfEvPKT_S2_PS0_S0_S2_.kd
    .uniform_work_group_size: 1
    .uses_dynamic_stack: false
    .vgpr_count:     22
    .vgpr_spill_count: 0
    .wavefront_size: 32
    .workgroup_processor_mode: 1
  - .args:
      - .actual_access:  read_only
        .address_space:  global
        .offset:         0
        .size:           8
        .value_kind:     global_buffer
      - .actual_access:  read_only
        .address_space:  global
        .offset:         8
        .size:           8
        .value_kind:     global_buffer
      - .actual_access:  write_only
        .address_space:  global
        .offset:         16
        .size:           8
        .value_kind:     global_buffer
      - .offset:         24
        .size:           4
        .value_kind:     by_value
      - .actual_access:  read_only
        .address_space:  global
        .offset:         32
        .size:           8
        .value_kind:     global_buffer
      - .offset:         40
        .size:           4
        .value_kind:     hidden_block_count_x
      - .offset:         44
        .size:           4
        .value_kind:     hidden_block_count_y
      - .offset:         48
        .size:           4
        .value_kind:     hidden_block_count_z
      - .offset:         52
        .size:           2
        .value_kind:     hidden_group_size_x
      - .offset:         54
        .size:           2
        .value_kind:     hidden_group_size_y
      - .offset:         56
        .size:           2
        .value_kind:     hidden_group_size_z
      - .offset:         58
        .size:           2
        .value_kind:     hidden_remainder_x
      - .offset:         60
        .size:           2
        .value_kind:     hidden_remainder_y
      - .offset:         62
        .size:           2
        .value_kind:     hidden_remainder_z
      - .offset:         80
        .size:           8
        .value_kind:     hidden_global_offset_x
      - .offset:         88
        .size:           8
        .value_kind:     hidden_global_offset_y
      - .offset:         96
        .size:           8
        .value_kind:     hidden_global_offset_z
      - .offset:         104
        .size:           2
        .value_kind:     hidden_grid_dims
    .group_segment_fixed_size: 0
    .kernarg_segment_align: 8
    .kernarg_segment_size: 296
    .language:       OpenCL C
    .language_version:
      - 2
      - 0
    .max_flat_workgroup_size: 1024
    .name:           _Z14rdwdot8_kernelIfEvPKT_S2_PS0_S0_S2_
    .private_segment_fixed_size: 0
    .sgpr_count:     18
    .sgpr_spill_count: 0
    .symbol:         _Z14rdwdot8_kernelIfEvPKT_S2_PS0_S0_S2_.kd
    .uniform_work_group_size: 1
    .uses_dynamic_stack: false
    .vgpr_count:     18
    .vgpr_spill_count: 0
    .wavefront_size: 32
    .workgroup_processor_mode: 1
  - .args:
      - .actual_access:  read_only
        .address_space:  global
        .offset:         0
        .size:           8
        .value_kind:     global_buffer
      - .actual_access:  read_only
        .address_space:  global
        .offset:         8
        .size:           8
        .value_kind:     global_buffer
      - .actual_access:  write_only
        .address_space:  global
        .offset:         16
        .size:           8
        .value_kind:     global_buffer
      - .offset:         24
        .size:           4
        .value_kind:     by_value
      - .actual_access:  read_only
        .address_space:  global
        .offset:         32
        .size:           8
        .value_kind:     global_buffer
      - .offset:         40
        .size:           4
        .value_kind:     hidden_block_count_x
      - .offset:         44
        .size:           4
        .value_kind:     hidden_block_count_y
      - .offset:         48
        .size:           4
        .value_kind:     hidden_block_count_z
      - .offset:         52
        .size:           2
        .value_kind:     hidden_group_size_x
      - .offset:         54
        .size:           2
        .value_kind:     hidden_group_size_y
      - .offset:         56
        .size:           2
        .value_kind:     hidden_group_size_z
      - .offset:         58
        .size:           2
        .value_kind:     hidden_remainder_x
      - .offset:         60
        .size:           2
        .value_kind:     hidden_remainder_y
      - .offset:         62
        .size:           2
        .value_kind:     hidden_remainder_z
      - .offset:         80
        .size:           8
        .value_kind:     hidden_global_offset_x
      - .offset:         88
        .size:           8
        .value_kind:     hidden_global_offset_y
      - .offset:         96
        .size:           8
        .value_kind:     hidden_global_offset_z
      - .offset:         104
        .size:           2
        .value_kind:     hidden_grid_dims
    .group_segment_fixed_size: 0
    .kernarg_segment_align: 8
    .kernarg_segment_size: 296
    .language:       OpenCL C
    .language_version:
      - 2
      - 0
    .max_flat_workgroup_size: 1024
    .name:           _Z14rdwdot9_kernelIfEvPKT_S2_PS0_S0_S2_
    .private_segment_fixed_size: 0
    .sgpr_count:     18
    .sgpr_spill_count: 0
    .symbol:         _Z14rdwdot9_kernelIfEvPKT_S2_PS0_S0_S2_.kd
    .uniform_work_group_size: 1
    .uses_dynamic_stack: false
    .vgpr_count:     8
    .vgpr_spill_count: 0
    .wavefront_size: 32
    .workgroup_processor_mode: 1
  - .args:
      - .actual_access:  read_only
        .address_space:  global
        .offset:         0
        .size:           8
        .value_kind:     global_buffer
      - .actual_access:  read_only
        .address_space:  global
        .offset:         8
        .size:           8
        .value_kind:     global_buffer
      - .actual_access:  write_only
        .address_space:  global
        .offset:         16
        .size:           8
        .value_kind:     global_buffer
      - .offset:         24
        .size:           4
        .value_kind:     by_value
      - .actual_access:  read_only
        .address_space:  global
        .offset:         32
        .size:           8
        .value_kind:     global_buffer
      - .offset:         40
        .size:           4
        .value_kind:     hidden_block_count_x
      - .offset:         44
        .size:           4
        .value_kind:     hidden_block_count_y
      - .offset:         48
        .size:           4
        .value_kind:     hidden_block_count_z
      - .offset:         52
        .size:           2
        .value_kind:     hidden_group_size_x
      - .offset:         54
        .size:           2
        .value_kind:     hidden_group_size_y
      - .offset:         56
        .size:           2
        .value_kind:     hidden_group_size_z
      - .offset:         58
        .size:           2
        .value_kind:     hidden_remainder_x
      - .offset:         60
        .size:           2
        .value_kind:     hidden_remainder_y
      - .offset:         62
        .size:           2
        .value_kind:     hidden_remainder_z
      - .offset:         80
        .size:           8
        .value_kind:     hidden_global_offset_x
      - .offset:         88
        .size:           8
        .value_kind:     hidden_global_offset_y
      - .offset:         96
        .size:           8
        .value_kind:     hidden_global_offset_z
      - .offset:         104
        .size:           2
        .value_kind:     hidden_grid_dims
    .group_segment_fixed_size: 0
    .kernarg_segment_align: 8
    .kernarg_segment_size: 296
    .language:       OpenCL C
    .language_version:
      - 2
      - 0
    .max_flat_workgroup_size: 1024
    .name:           _Z15rdwdot10_kernelIfEvPKT_S2_PS0_S0_S2_
    .private_segment_fixed_size: 0
    .sgpr_count:     26
    .sgpr_spill_count: 0
    .symbol:         _Z15rdwdot10_kernelIfEvPKT_S2_PS0_S0_S2_.kd
    .uniform_work_group_size: 1
    .uses_dynamic_stack: false
    .vgpr_count:     27
    .vgpr_spill_count: 0
    .wavefront_size: 32
    .workgroup_processor_mode: 1
  - .args:
      - .actual_access:  read_only
        .address_space:  global
        .offset:         0
        .size:           8
        .value_kind:     global_buffer
      - .actual_access:  write_only
        .address_space:  global
        .offset:         8
        .size:           8
        .value_kind:     global_buffer
      - .offset:         16
        .size:           8
        .value_kind:     by_value
      - .offset:         24
        .size:           4
        .value_kind:     hidden_block_count_x
      - .offset:         28
        .size:           4
        .value_kind:     hidden_block_count_y
      - .offset:         32
        .size:           4
        .value_kind:     hidden_block_count_z
      - .offset:         36
        .size:           2
        .value_kind:     hidden_group_size_x
      - .offset:         38
        .size:           2
        .value_kind:     hidden_group_size_y
      - .offset:         40
        .size:           2
        .value_kind:     hidden_group_size_z
      - .offset:         42
        .size:           2
        .value_kind:     hidden_remainder_x
      - .offset:         44
        .size:           2
        .value_kind:     hidden_remainder_y
      - .offset:         46
        .size:           2
        .value_kind:     hidden_remainder_z
      - .offset:         64
        .size:           8
        .value_kind:     hidden_global_offset_x
      - .offset:         72
        .size:           8
        .value_kind:     hidden_global_offset_y
      - .offset:         80
        .size:           8
        .value_kind:     hidden_global_offset_z
      - .offset:         88
        .size:           2
        .value_kind:     hidden_grid_dims
    .group_segment_fixed_size: 0
    .kernarg_segment_align: 8
    .kernarg_segment_size: 280
    .language:       OpenCL C
    .language_version:
      - 2
      - 0
    .max_flat_workgroup_size: 1024
    .name:           _Z11ratt_kernelIdEvPKT_PS0_S0_
    .private_segment_fixed_size: 0
    .sgpr_count:     85
    .sgpr_spill_count: 0
    .symbol:         _Z11ratt_kernelIdEvPKT_PS0_S0_.kd
    .uniform_work_group_size: 1
    .uses_dynamic_stack: false
    .vgpr_count:     103
    .vgpr_spill_count: 0
    .wavefront_size: 32
    .workgroup_processor_mode: 1
  - .args:
      - .actual_access:  read_only
        .address_space:  global
        .offset:         0
        .size:           8
        .value_kind:     global_buffer
      - .actual_access:  write_only
        .address_space:  global
        .offset:         8
        .size:           8
        .value_kind:     global_buffer
      - .offset:         16
        .size:           8
        .value_kind:     by_value
      - .offset:         24
        .size:           4
        .value_kind:     hidden_block_count_x
      - .offset:         28
        .size:           4
        .value_kind:     hidden_block_count_y
      - .offset:         32
        .size:           4
        .value_kind:     hidden_block_count_z
      - .offset:         36
        .size:           2
        .value_kind:     hidden_group_size_x
      - .offset:         38
        .size:           2
        .value_kind:     hidden_group_size_y
      - .offset:         40
        .size:           2
        .value_kind:     hidden_group_size_z
      - .offset:         42
        .size:           2
        .value_kind:     hidden_remainder_x
      - .offset:         44
        .size:           2
        .value_kind:     hidden_remainder_y
      - .offset:         46
        .size:           2
        .value_kind:     hidden_remainder_z
      - .offset:         64
        .size:           8
        .value_kind:     hidden_global_offset_x
      - .offset:         72
        .size:           8
        .value_kind:     hidden_global_offset_y
      - .offset:         80
        .size:           8
        .value_kind:     hidden_global_offset_z
      - .offset:         88
        .size:           2
        .value_kind:     hidden_grid_dims
    .group_segment_fixed_size: 0
    .kernarg_segment_align: 8
    .kernarg_segment_size: 280
    .language:       OpenCL C
    .language_version:
      - 2
      - 0
    .max_flat_workgroup_size: 1024
    .name:           _Z12rdsmh_kernelIdEvPKT_PS0_S0_
    .private_segment_fixed_size: 0
    .sgpr_count:     64
    .sgpr_spill_count: 0
    .symbol:         _Z12rdsmh_kernelIdEvPKT_PS0_S0_.kd
    .uniform_work_group_size: 1
    .uses_dynamic_stack: false
    .vgpr_count:     103
    .vgpr_spill_count: 0
    .wavefront_size: 32
    .workgroup_processor_mode: 1
  - .args:
      - .address_space:  global
        .offset:         0
        .size:           8
        .value_kind:     global_buffer
      - .address_space:  global
        .offset:         8
        .size:           8
        .value_kind:     global_buffer
      - .address_space:  global
        .offset:         16
        .size:           8
        .value_kind:     global_buffer
      - .address_space:  global
        .offset:         24
        .size:           8
        .value_kind:     global_buffer
      - .offset:         32
        .size:           8
        .value_kind:     by_value
      - .offset:         40
        .size:           8
        .value_kind:     by_value
      - .offset:         48
        .size:           4
        .value_kind:     hidden_block_count_x
      - .offset:         52
        .size:           4
        .value_kind:     hidden_block_count_y
      - .offset:         56
        .size:           4
        .value_kind:     hidden_block_count_z
      - .offset:         60
        .size:           2
        .value_kind:     hidden_group_size_x
      - .offset:         62
        .size:           2
        .value_kind:     hidden_group_size_y
      - .offset:         64
        .size:           2
        .value_kind:     hidden_group_size_z
      - .offset:         66
        .size:           2
        .value_kind:     hidden_remainder_x
      - .offset:         68
        .size:           2
        .value_kind:     hidden_remainder_y
      - .offset:         70
        .size:           2
        .value_kind:     hidden_remainder_z
      - .offset:         88
        .size:           8
        .value_kind:     hidden_global_offset_x
      - .offset:         96
        .size:           8
        .value_kind:     hidden_global_offset_y
      - .offset:         104
        .size:           8
        .value_kind:     hidden_global_offset_z
      - .offset:         112
        .size:           2
        .value_kind:     hidden_grid_dims
    .group_segment_fixed_size: 0
    .kernarg_segment_align: 8
    .kernarg_segment_size: 304
    .language:       OpenCL C
    .language_version:
      - 2
      - 0
    .max_flat_workgroup_size: 1024
    .name:           _Z7gr_baseIdEvPKT_S2_S2_PS0_S0_S0_
    .private_segment_fixed_size: 0
    .sgpr_count:     48
    .sgpr_spill_count: 0
    .symbol:         _Z7gr_baseIdEvPKT_S2_S2_PS0_S0_S0_.kd
    .uniform_work_group_size: 1
    .uses_dynamic_stack: false
    .vgpr_count:     81
    .vgpr_spill_count: 0
    .wavefront_size: 32
    .workgroup_processor_mode: 1
  - .args:
      - .actual_access:  read_only
        .address_space:  global
        .offset:         0
        .size:           8
        .value_kind:     global_buffer
      - .actual_access:  read_only
        .address_space:  global
        .offset:         8
        .size:           8
        .value_kind:     global_buffer
      - .actual_access:  write_only
        .address_space:  global
        .offset:         16
        .size:           8
        .value_kind:     global_buffer
      - .actual_access:  read_only
        .address_space:  global
        .offset:         24
        .size:           8
        .value_kind:     global_buffer
      - .offset:         32
        .size:           8
        .value_kind:     by_value
      - .offset:         40
        .size:           4
        .value_kind:     hidden_block_count_x
      - .offset:         44
        .size:           4
        .value_kind:     hidden_block_count_y
      - .offset:         48
        .size:           4
        .value_kind:     hidden_block_count_z
      - .offset:         52
        .size:           2
        .value_kind:     hidden_group_size_x
      - .offset:         54
        .size:           2
        .value_kind:     hidden_group_size_y
      - .offset:         56
        .size:           2
        .value_kind:     hidden_group_size_z
      - .offset:         58
        .size:           2
        .value_kind:     hidden_remainder_x
      - .offset:         60
        .size:           2
        .value_kind:     hidden_remainder_y
      - .offset:         62
        .size:           2
        .value_kind:     hidden_remainder_z
      - .offset:         80
        .size:           8
        .value_kind:     hidden_global_offset_x
      - .offset:         88
        .size:           8
        .value_kind:     hidden_global_offset_y
      - .offset:         96
        .size:           8
        .value_kind:     hidden_global_offset_z
      - .offset:         104
        .size:           2
        .value_kind:     hidden_grid_dims
    .group_segment_fixed_size: 0
    .kernarg_segment_align: 8
    .kernarg_segment_size: 296
    .language:       OpenCL C
    .language_version:
      - 2
      - 0
    .max_flat_workgroup_size: 1024
    .name:           _Z12ratt2_kernelIdEvPKT_S2_PS0_S2_S0_
    .private_segment_fixed_size: 0
    .sgpr_count:     18
    .sgpr_spill_count: 0
    .symbol:         _Z12ratt2_kernelIdEvPKT_S2_PS0_S2_S0_.kd
    .uniform_work_group_size: 1
    .uses_dynamic_stack: false
    .vgpr_count:     41
    .vgpr_spill_count: 0
    .wavefront_size: 32
    .workgroup_processor_mode: 1
  - .args:
      - .actual_access:  read_only
        .address_space:  global
        .offset:         0
        .size:           8
        .value_kind:     global_buffer
      - .actual_access:  read_only
        .address_space:  global
        .offset:         8
        .size:           8
        .value_kind:     global_buffer
      - .actual_access:  write_only
        .address_space:  global
        .offset:         16
        .size:           8
        .value_kind:     global_buffer
      - .actual_access:  read_only
        .address_space:  global
        .offset:         24
        .size:           8
        .value_kind:     global_buffer
      - .offset:         32
        .size:           8
        .value_kind:     by_value
      - .offset:         40
        .size:           4
        .value_kind:     hidden_block_count_x
      - .offset:         44
        .size:           4
        .value_kind:     hidden_block_count_y
      - .offset:         48
        .size:           4
        .value_kind:     hidden_block_count_z
      - .offset:         52
        .size:           2
        .value_kind:     hidden_group_size_x
      - .offset:         54
        .size:           2
        .value_kind:     hidden_group_size_y
      - .offset:         56
        .size:           2
        .value_kind:     hidden_group_size_z
      - .offset:         58
        .size:           2
        .value_kind:     hidden_remainder_x
      - .offset:         60
        .size:           2
        .value_kind:     hidden_remainder_y
      - .offset:         62
        .size:           2
        .value_kind:     hidden_remainder_z
      - .offset:         80
        .size:           8
        .value_kind:     hidden_global_offset_x
      - .offset:         88
        .size:           8
        .value_kind:     hidden_global_offset_y
      - .offset:         96
        .size:           8
        .value_kind:     hidden_global_offset_z
      - .offset:         104
        .size:           2
        .value_kind:     hidden_grid_dims
    .group_segment_fixed_size: 0
    .kernarg_segment_align: 8
    .kernarg_segment_size: 296
    .language:       OpenCL C
    .language_version:
      - 2
      - 0
    .max_flat_workgroup_size: 1024
    .name:           _Z12ratt3_kernelIdEvPKT_S2_PS0_S2_S0_
    .private_segment_fixed_size: 0
    .sgpr_count:     18
    .sgpr_spill_count: 0
    .symbol:         _Z12ratt3_kernelIdEvPKT_S2_PS0_S2_S0_.kd
    .uniform_work_group_size: 1
    .uses_dynamic_stack: false
    .vgpr_count:     59
    .vgpr_spill_count: 0
    .wavefront_size: 32
    .workgroup_processor_mode: 1
  - .args:
      - .actual_access:  read_only
        .address_space:  global
        .offset:         0
        .size:           8
        .value_kind:     global_buffer
      - .actual_access:  read_only
        .address_space:  global
        .offset:         8
        .size:           8
        .value_kind:     global_buffer
      - .actual_access:  write_only
        .address_space:  global
        .offset:         16
        .size:           8
        .value_kind:     global_buffer
      - .actual_access:  read_only
        .address_space:  global
        .offset:         24
        .size:           8
        .value_kind:     global_buffer
      - .offset:         32
        .size:           8
        .value_kind:     by_value
      - .offset:         40
        .size:           4
        .value_kind:     hidden_block_count_x
      - .offset:         44
        .size:           4
        .value_kind:     hidden_block_count_y
      - .offset:         48
        .size:           4
        .value_kind:     hidden_block_count_z
      - .offset:         52
        .size:           2
        .value_kind:     hidden_group_size_x
      - .offset:         54
        .size:           2
        .value_kind:     hidden_group_size_y
      - .offset:         56
        .size:           2
        .value_kind:     hidden_group_size_z
      - .offset:         58
        .size:           2
        .value_kind:     hidden_remainder_x
      - .offset:         60
        .size:           2
        .value_kind:     hidden_remainder_y
      - .offset:         62
        .size:           2
        .value_kind:     hidden_remainder_z
      - .offset:         80
        .size:           8
        .value_kind:     hidden_global_offset_x
      - .offset:         88
        .size:           8
        .value_kind:     hidden_global_offset_y
      - .offset:         96
        .size:           8
        .value_kind:     hidden_global_offset_z
      - .offset:         104
        .size:           2
        .value_kind:     hidden_grid_dims
    .group_segment_fixed_size: 0
    .kernarg_segment_align: 8
    .kernarg_segment_size: 296
    .language:       OpenCL C
    .language_version:
      - 2
      - 0
    .max_flat_workgroup_size: 1024
    .name:           _Z12ratt4_kernelIdEvPKT_S2_PS0_S2_S0_
    .private_segment_fixed_size: 0
    .sgpr_count:     18
    .sgpr_spill_count: 0
    .symbol:         _Z12ratt4_kernelIdEvPKT_S2_PS0_S2_S0_.kd
    .uniform_work_group_size: 1
    .uses_dynamic_stack: false
    .vgpr_count:     51
    .vgpr_spill_count: 0
    .wavefront_size: 32
    .workgroup_processor_mode: 1
  - .args:
      - .actual_access:  read_only
        .address_space:  global
        .offset:         0
        .size:           8
        .value_kind:     global_buffer
      - .actual_access:  read_only
        .address_space:  global
        .offset:         8
        .size:           8
        .value_kind:     global_buffer
      - .actual_access:  write_only
        .address_space:  global
        .offset:         16
        .size:           8
        .value_kind:     global_buffer
      - .actual_access:  read_only
        .address_space:  global
        .offset:         24
        .size:           8
        .value_kind:     global_buffer
      - .offset:         32
        .size:           8
        .value_kind:     by_value
      - .offset:         40
        .size:           4
        .value_kind:     hidden_block_count_x
      - .offset:         44
        .size:           4
        .value_kind:     hidden_block_count_y
      - .offset:         48
        .size:           4
        .value_kind:     hidden_block_count_z
      - .offset:         52
        .size:           2
        .value_kind:     hidden_group_size_x
      - .offset:         54
        .size:           2
        .value_kind:     hidden_group_size_y
      - .offset:         56
        .size:           2
        .value_kind:     hidden_group_size_z
      - .offset:         58
        .size:           2
        .value_kind:     hidden_remainder_x
      - .offset:         60
        .size:           2
        .value_kind:     hidden_remainder_y
      - .offset:         62
        .size:           2
        .value_kind:     hidden_remainder_z
      - .offset:         80
        .size:           8
        .value_kind:     hidden_global_offset_x
      - .offset:         88
        .size:           8
        .value_kind:     hidden_global_offset_y
      - .offset:         96
        .size:           8
        .value_kind:     hidden_global_offset_z
      - .offset:         104
        .size:           2
        .value_kind:     hidden_grid_dims
    .group_segment_fixed_size: 0
    .kernarg_segment_align: 8
    .kernarg_segment_size: 296
    .language:       OpenCL C
    .language_version:
      - 2
      - 0
    .max_flat_workgroup_size: 1024
    .name:           _Z12ratt5_kernelIdEvPKT_S2_PS0_S2_S0_
    .private_segment_fixed_size: 0
    .sgpr_count:     18
    .sgpr_spill_count: 0
    .symbol:         _Z12ratt5_kernelIdEvPKT_S2_PS0_S2_S0_.kd
    .uniform_work_group_size: 1
    .uses_dynamic_stack: false
    .vgpr_count:     53
    .vgpr_spill_count: 0
    .wavefront_size: 32
    .workgroup_processor_mode: 1
  - .args:
      - .actual_access:  read_only
        .address_space:  global
        .offset:         0
        .size:           8
        .value_kind:     global_buffer
      - .actual_access:  read_only
        .address_space:  global
        .offset:         8
        .size:           8
        .value_kind:     global_buffer
      - .actual_access:  write_only
        .address_space:  global
        .offset:         16
        .size:           8
        .value_kind:     global_buffer
      - .actual_access:  read_only
        .address_space:  global
        .offset:         24
        .size:           8
        .value_kind:     global_buffer
      - .offset:         32
        .size:           8
        .value_kind:     by_value
      - .offset:         40
        .size:           4
        .value_kind:     hidden_block_count_x
      - .offset:         44
        .size:           4
        .value_kind:     hidden_block_count_y
      - .offset:         48
        .size:           4
        .value_kind:     hidden_block_count_z
      - .offset:         52
        .size:           2
        .value_kind:     hidden_group_size_x
      - .offset:         54
        .size:           2
        .value_kind:     hidden_group_size_y
      - .offset:         56
        .size:           2
        .value_kind:     hidden_group_size_z
      - .offset:         58
        .size:           2
        .value_kind:     hidden_remainder_x
      - .offset:         60
        .size:           2
        .value_kind:     hidden_remainder_y
      - .offset:         62
        .size:           2
        .value_kind:     hidden_remainder_z
      - .offset:         80
        .size:           8
        .value_kind:     hidden_global_offset_x
      - .offset:         88
        .size:           8
        .value_kind:     hidden_global_offset_y
      - .offset:         96
        .size:           8
        .value_kind:     hidden_global_offset_z
      - .offset:         104
        .size:           2
        .value_kind:     hidden_grid_dims
    .group_segment_fixed_size: 0
    .kernarg_segment_align: 8
    .kernarg_segment_size: 296
    .language:       OpenCL C
    .language_version:
      - 2
      - 0
    .max_flat_workgroup_size: 1024
    .name:           _Z12ratt6_kernelIdEvPKT_S2_PS0_S2_S0_
    .private_segment_fixed_size: 0
    .sgpr_count:     18
    .sgpr_spill_count: 0
    .symbol:         _Z12ratt6_kernelIdEvPKT_S2_PS0_S2_S0_.kd
    .uniform_work_group_size: 1
    .uses_dynamic_stack: false
    .vgpr_count:     42
    .vgpr_spill_count: 0
    .wavefront_size: 32
    .workgroup_processor_mode: 1
  - .args:
      - .actual_access:  read_only
        .address_space:  global
        .offset:         0
        .size:           8
        .value_kind:     global_buffer
      - .actual_access:  read_only
        .address_space:  global
        .offset:         8
        .size:           8
        .value_kind:     global_buffer
      - .actual_access:  write_only
        .address_space:  global
        .offset:         16
        .size:           8
        .value_kind:     global_buffer
      - .actual_access:  read_only
        .address_space:  global
        .offset:         24
        .size:           8
        .value_kind:     global_buffer
      - .offset:         32
        .size:           8
        .value_kind:     by_value
      - .offset:         40
        .size:           4
        .value_kind:     hidden_block_count_x
      - .offset:         44
        .size:           4
        .value_kind:     hidden_block_count_y
      - .offset:         48
        .size:           4
        .value_kind:     hidden_block_count_z
      - .offset:         52
        .size:           2
        .value_kind:     hidden_group_size_x
      - .offset:         54
        .size:           2
        .value_kind:     hidden_group_size_y
      - .offset:         56
        .size:           2
        .value_kind:     hidden_group_size_z
      - .offset:         58
        .size:           2
        .value_kind:     hidden_remainder_x
      - .offset:         60
        .size:           2
        .value_kind:     hidden_remainder_y
      - .offset:         62
        .size:           2
        .value_kind:     hidden_remainder_z
      - .offset:         80
        .size:           8
        .value_kind:     hidden_global_offset_x
      - .offset:         88
        .size:           8
        .value_kind:     hidden_global_offset_y
      - .offset:         96
        .size:           8
        .value_kind:     hidden_global_offset_z
      - .offset:         104
        .size:           2
        .value_kind:     hidden_grid_dims
    .group_segment_fixed_size: 0
    .kernarg_segment_align: 8
    .kernarg_segment_size: 296
    .language:       OpenCL C
    .language_version:
      - 2
      - 0
    .max_flat_workgroup_size: 1024
    .name:           _Z12ratt7_kernelIdEvPKT_S2_PS0_S2_S0_
    .private_segment_fixed_size: 0
    .sgpr_count:     18
    .sgpr_spill_count: 0
    .symbol:         _Z12ratt7_kernelIdEvPKT_S2_PS0_S2_S0_.kd
    .uniform_work_group_size: 1
    .uses_dynamic_stack: false
    .vgpr_count:     47
    .vgpr_spill_count: 0
    .wavefront_size: 32
    .workgroup_processor_mode: 1
  - .args:
      - .actual_access:  read_only
        .address_space:  global
        .offset:         0
        .size:           8
        .value_kind:     global_buffer
      - .actual_access:  read_only
        .address_space:  global
        .offset:         8
        .size:           8
        .value_kind:     global_buffer
      - .actual_access:  write_only
        .address_space:  global
        .offset:         16
        .size:           8
        .value_kind:     global_buffer
      - .actual_access:  read_only
        .address_space:  global
        .offset:         24
        .size:           8
        .value_kind:     global_buffer
      - .offset:         32
        .size:           8
        .value_kind:     by_value
      - .offset:         40
        .size:           4
        .value_kind:     hidden_block_count_x
      - .offset:         44
        .size:           4
        .value_kind:     hidden_block_count_y
      - .offset:         48
        .size:           4
        .value_kind:     hidden_block_count_z
      - .offset:         52
        .size:           2
        .value_kind:     hidden_group_size_x
      - .offset:         54
        .size:           2
        .value_kind:     hidden_group_size_y
      - .offset:         56
        .size:           2
        .value_kind:     hidden_group_size_z
      - .offset:         58
        .size:           2
        .value_kind:     hidden_remainder_x
      - .offset:         60
        .size:           2
        .value_kind:     hidden_remainder_y
      - .offset:         62
        .size:           2
        .value_kind:     hidden_remainder_z
      - .offset:         80
        .size:           8
        .value_kind:     hidden_global_offset_x
      - .offset:         88
        .size:           8
        .value_kind:     hidden_global_offset_y
      - .offset:         96
        .size:           8
        .value_kind:     hidden_global_offset_z
      - .offset:         104
        .size:           2
        .value_kind:     hidden_grid_dims
    .group_segment_fixed_size: 0
    .kernarg_segment_align: 8
    .kernarg_segment_size: 296
    .language:       OpenCL C
    .language_version:
      - 2
      - 0
    .max_flat_workgroup_size: 1024
    .name:           _Z12ratt8_kernelIdEvPKT_S2_PS0_S2_S0_
    .private_segment_fixed_size: 0
    .sgpr_count:     18
    .sgpr_spill_count: 0
    .symbol:         _Z12ratt8_kernelIdEvPKT_S2_PS0_S2_S0_.kd
    .uniform_work_group_size: 1
    .uses_dynamic_stack: false
    .vgpr_count:     49
    .vgpr_spill_count: 0
    .wavefront_size: 32
    .workgroup_processor_mode: 1
  - .args:
      - .actual_access:  read_only
        .address_space:  global
        .offset:         0
        .size:           8
        .value_kind:     global_buffer
      - .actual_access:  read_only
        .address_space:  global
        .offset:         8
        .size:           8
        .value_kind:     global_buffer
      - .actual_access:  write_only
        .address_space:  global
        .offset:         16
        .size:           8
        .value_kind:     global_buffer
      - .actual_access:  read_only
        .address_space:  global
        .offset:         24
        .size:           8
        .value_kind:     global_buffer
      - .offset:         32
        .size:           8
        .value_kind:     by_value
      - .offset:         40
        .size:           4
        .value_kind:     hidden_block_count_x
      - .offset:         44
        .size:           4
        .value_kind:     hidden_block_count_y
      - .offset:         48
        .size:           4
        .value_kind:     hidden_block_count_z
      - .offset:         52
        .size:           2
        .value_kind:     hidden_group_size_x
      - .offset:         54
        .size:           2
        .value_kind:     hidden_group_size_y
      - .offset:         56
        .size:           2
        .value_kind:     hidden_group_size_z
      - .offset:         58
        .size:           2
        .value_kind:     hidden_remainder_x
      - .offset:         60
        .size:           2
        .value_kind:     hidden_remainder_y
      - .offset:         62
        .size:           2
        .value_kind:     hidden_remainder_z
      - .offset:         80
        .size:           8
        .value_kind:     hidden_global_offset_x
      - .offset:         88
        .size:           8
        .value_kind:     hidden_global_offset_y
      - .offset:         96
        .size:           8
        .value_kind:     hidden_global_offset_z
      - .offset:         104
        .size:           2
        .value_kind:     hidden_grid_dims
    .group_segment_fixed_size: 0
    .kernarg_segment_align: 8
    .kernarg_segment_size: 296
    .language:       OpenCL C
    .language_version:
      - 2
      - 0
    .max_flat_workgroup_size: 1024
    .name:           _Z12ratt9_kernelIdEvPKT_S2_PS0_S2_S0_
    .private_segment_fixed_size: 0
    .sgpr_count:     18
    .sgpr_spill_count: 0
    .symbol:         _Z12ratt9_kernelIdEvPKT_S2_PS0_S2_S0_.kd
    .uniform_work_group_size: 1
    .uses_dynamic_stack: false
    .vgpr_count:     59
    .vgpr_spill_count: 0
    .wavefront_size: 32
    .workgroup_processor_mode: 1
  - .args:
      - .actual_access:  read_only
        .address_space:  global
        .offset:         0
        .size:           8
        .value_kind:     global_buffer
      - .actual_access:  write_only
        .address_space:  global
        .offset:         8
        .size:           8
        .value_kind:     global_buffer
      - .offset:         16
        .size:           8
        .value_kind:     by_value
      - .offset:         24
        .size:           4
        .value_kind:     hidden_block_count_x
      - .offset:         28
        .size:           4
        .value_kind:     hidden_block_count_y
      - .offset:         32
        .size:           4
        .value_kind:     hidden_block_count_z
      - .offset:         36
        .size:           2
        .value_kind:     hidden_group_size_x
      - .offset:         38
        .size:           2
        .value_kind:     hidden_group_size_y
      - .offset:         40
        .size:           2
        .value_kind:     hidden_group_size_z
      - .offset:         42
        .size:           2
        .value_kind:     hidden_remainder_x
      - .offset:         44
        .size:           2
        .value_kind:     hidden_remainder_y
      - .offset:         46
        .size:           2
        .value_kind:     hidden_remainder_z
      - .offset:         64
        .size:           8
        .value_kind:     hidden_global_offset_x
      - .offset:         72
        .size:           8
        .value_kind:     hidden_global_offset_y
      - .offset:         80
        .size:           8
        .value_kind:     hidden_global_offset_z
      - .offset:         88
        .size:           2
        .value_kind:     hidden_grid_dims
    .group_segment_fixed_size: 0
    .kernarg_segment_align: 8
    .kernarg_segment_size: 280
    .language:       OpenCL C
    .language_version:
      - 2
      - 0
    .max_flat_workgroup_size: 1024
    .name:           _Z13ratt10_kernelIdEvPKT_PS0_S0_
    .private_segment_fixed_size: 0
    .sgpr_count:     44
    .sgpr_spill_count: 0
    .symbol:         _Z13ratt10_kernelIdEvPKT_PS0_S0_.kd
    .uniform_work_group_size: 1
    .uses_dynamic_stack: false
    .vgpr_count:     21
    .vgpr_spill_count: 0
    .wavefront_size: 32
    .workgroup_processor_mode: 1
  - .args:
      - .actual_access:  read_only
        .address_space:  global
        .offset:         0
        .size:           8
        .value_kind:     global_buffer
      - .actual_access:  read_only
        .address_space:  global
        .offset:         8
        .size:           8
        .value_kind:     global_buffer
      - .address_space:  global
        .offset:         16
        .size:           8
        .value_kind:     global_buffer
      - .address_space:  global
        .offset:         24
        .size:           8
        .value_kind:     global_buffer
      - .actual_access:  read_only
        .address_space:  global
        .offset:         32
        .size:           8
        .value_kind:     global_buffer
      - .offset:         40
        .size:           8
        .value_kind:     by_value
      - .offset:         48
        .size:           4
        .value_kind:     hidden_block_count_x
      - .offset:         52
        .size:           4
        .value_kind:     hidden_block_count_y
      - .offset:         56
        .size:           4
        .value_kind:     hidden_block_count_z
      - .offset:         60
        .size:           2
        .value_kind:     hidden_group_size_x
      - .offset:         62
        .size:           2
        .value_kind:     hidden_group_size_y
      - .offset:         64
        .size:           2
        .value_kind:     hidden_group_size_z
      - .offset:         66
        .size:           2
        .value_kind:     hidden_remainder_x
      - .offset:         68
        .size:           2
        .value_kind:     hidden_remainder_y
      - .offset:         70
        .size:           2
        .value_kind:     hidden_remainder_z
      - .offset:         88
        .size:           8
        .value_kind:     hidden_global_offset_x
      - .offset:         96
        .size:           8
        .value_kind:     hidden_global_offset_y
      - .offset:         104
        .size:           8
        .value_kind:     hidden_global_offset_z
      - .offset:         112
        .size:           2
        .value_kind:     hidden_grid_dims
    .group_segment_fixed_size: 0
    .kernarg_segment_align: 8
    .kernarg_segment_size: 304
    .language:       OpenCL C
    .language_version:
      - 2
      - 0
    .max_flat_workgroup_size: 1024
    .name:           _Z11ratx_kernelIdEvPKT_S2_PS0_S3_S2_S0_
    .private_segment_fixed_size: 0
    .sgpr_count:     82
    .sgpr_spill_count: 0
    .symbol:         _Z11ratx_kernelIdEvPKT_S2_PS0_S3_S2_S0_.kd
    .uniform_work_group_size: 1
    .uses_dynamic_stack: false
    .vgpr_count:     93
    .vgpr_spill_count: 0
    .wavefront_size: 32
    .workgroup_processor_mode: 1
  - .args:
      - .actual_access:  read_only
        .address_space:  global
        .offset:         0
        .size:           8
        .value_kind:     global_buffer
      - .actual_access:  read_only
        .address_space:  global
        .offset:         8
        .size:           8
        .value_kind:     global_buffer
      - .address_space:  global
        .offset:         16
        .size:           8
        .value_kind:     global_buffer
      - .address_space:  global
        .offset:         24
        .size:           8
        .value_kind:     global_buffer
      - .actual_access:  read_only
        .address_space:  global
        .offset:         32
        .size:           8
        .value_kind:     global_buffer
      - .offset:         40
        .size:           8
        .value_kind:     by_value
      - .offset:         48
        .size:           4
        .value_kind:     hidden_block_count_x
      - .offset:         52
        .size:           4
        .value_kind:     hidden_block_count_y
      - .offset:         56
        .size:           4
        .value_kind:     hidden_block_count_z
      - .offset:         60
        .size:           2
        .value_kind:     hidden_group_size_x
      - .offset:         62
        .size:           2
        .value_kind:     hidden_group_size_y
      - .offset:         64
        .size:           2
        .value_kind:     hidden_group_size_z
      - .offset:         66
        .size:           2
        .value_kind:     hidden_remainder_x
      - .offset:         68
        .size:           2
        .value_kind:     hidden_remainder_y
      - .offset:         70
        .size:           2
        .value_kind:     hidden_remainder_z
      - .offset:         88
        .size:           8
        .value_kind:     hidden_global_offset_x
      - .offset:         96
        .size:           8
        .value_kind:     hidden_global_offset_y
      - .offset:         104
        .size:           8
        .value_kind:     hidden_global_offset_z
      - .offset:         112
        .size:           2
        .value_kind:     hidden_grid_dims
    .group_segment_fixed_size: 0
    .kernarg_segment_align: 8
    .kernarg_segment_size: 304
    .language:       OpenCL C
    .language_version:
      - 2
      - 0
    .max_flat_workgroup_size: 1024
    .name:           _Z12ratxb_kernelIdEvPKT_S2_PS0_S3_S2_S0_
    .private_segment_fixed_size: 0
    .sgpr_count:     88
    .sgpr_spill_count: 0
    .symbol:         _Z12ratxb_kernelIdEvPKT_S2_PS0_S3_S2_S0_.kd
    .uniform_work_group_size: 1
    .uses_dynamic_stack: false
    .vgpr_count:     69
    .vgpr_spill_count: 0
    .wavefront_size: 32
    .workgroup_processor_mode: 1
  - .args:
      - .actual_access:  read_only
        .address_space:  global
        .offset:         0
        .size:           8
        .value_kind:     global_buffer
      - .address_space:  global
        .offset:         8
        .size:           8
        .value_kind:     global_buffer
      - .actual_access:  read_only
        .address_space:  global
        .offset:         16
        .size:           8
        .value_kind:     global_buffer
      - .offset:         24
        .size:           4
        .value_kind:     hidden_block_count_x
      - .offset:         28
        .size:           4
        .value_kind:     hidden_block_count_y
      - .offset:         32
        .size:           4
        .value_kind:     hidden_block_count_z
      - .offset:         36
        .size:           2
        .value_kind:     hidden_group_size_x
      - .offset:         38
        .size:           2
        .value_kind:     hidden_group_size_y
      - .offset:         40
        .size:           2
        .value_kind:     hidden_group_size_z
      - .offset:         42
        .size:           2
        .value_kind:     hidden_remainder_x
      - .offset:         44
        .size:           2
        .value_kind:     hidden_remainder_y
      - .offset:         46
        .size:           2
        .value_kind:     hidden_remainder_z
      - .offset:         64
        .size:           8
        .value_kind:     hidden_global_offset_x
      - .offset:         72
        .size:           8
        .value_kind:     hidden_global_offset_y
      - .offset:         80
        .size:           8
        .value_kind:     hidden_global_offset_z
      - .offset:         88
        .size:           2
        .value_kind:     hidden_grid_dims
    .group_segment_fixed_size: 0
    .kernarg_segment_align: 8
    .kernarg_segment_size: 280
    .language:       OpenCL C
    .language_version:
      - 2
      - 0
    .max_flat_workgroup_size: 1024
    .name:           _Z12ratx2_kernelIdEvPKT_PS0_S3_
    .private_segment_fixed_size: 0
    .sgpr_count:     18
    .sgpr_spill_count: 0
    .symbol:         _Z12ratx2_kernelIdEvPKT_PS0_S3_.kd
    .uniform_work_group_size: 1
    .uses_dynamic_stack: false
    .vgpr_count:     86
    .vgpr_spill_count: 0
    .wavefront_size: 32
    .workgroup_processor_mode: 1
  - .args:
      - .actual_access:  read_only
        .address_space:  global
        .offset:         0
        .size:           8
        .value_kind:     global_buffer
      - .actual_access:  read_only
        .address_space:  global
        .offset:         8
        .size:           8
        .value_kind:     global_buffer
      - .address_space:  global
        .offset:         16
        .size:           8
        .value_kind:     global_buffer
      - .offset:         24
        .size:           4
        .value_kind:     hidden_block_count_x
      - .offset:         28
        .size:           4
        .value_kind:     hidden_block_count_y
      - .offset:         32
        .size:           4
        .value_kind:     hidden_block_count_z
      - .offset:         36
        .size:           2
        .value_kind:     hidden_group_size_x
      - .offset:         38
        .size:           2
        .value_kind:     hidden_group_size_y
      - .offset:         40
        .size:           2
        .value_kind:     hidden_group_size_z
      - .offset:         42
        .size:           2
        .value_kind:     hidden_remainder_x
      - .offset:         44
        .size:           2
        .value_kind:     hidden_remainder_y
      - .offset:         46
        .size:           2
        .value_kind:     hidden_remainder_z
      - .offset:         64
        .size:           8
        .value_kind:     hidden_global_offset_x
      - .offset:         72
        .size:           8
        .value_kind:     hidden_global_offset_y
      - .offset:         80
        .size:           8
        .value_kind:     hidden_global_offset_z
      - .offset:         88
        .size:           2
        .value_kind:     hidden_grid_dims
    .group_segment_fixed_size: 0
    .kernarg_segment_align: 8
    .kernarg_segment_size: 280
    .language:       OpenCL C
    .language_version:
      - 2
      - 0
    .max_flat_workgroup_size: 1024
    .name:           _Z12ratx4_kernelIdEvPKT_PS0_S3_
    .private_segment_fixed_size: 0
    .sgpr_count:     18
    .sgpr_spill_count: 0
    .symbol:         _Z12ratx4_kernelIdEvPKT_PS0_S3_.kd
    .uniform_work_group_size: 1
    .uses_dynamic_stack: false
    .vgpr_count:     73
    .vgpr_spill_count: 0
    .wavefront_size: 32
    .workgroup_processor_mode: 1
  - .args:
      - .address_space:  global
        .offset:         0
        .size:           8
        .value_kind:     global_buffer
      - .address_space:  global
        .offset:         8
        .size:           8
        .value_kind:     global_buffer
      - .actual_access:  write_only
        .address_space:  global
        .offset:         16
        .size:           8
        .value_kind:     global_buffer
      - .offset:         24
        .size:           4
        .value_kind:     hidden_block_count_x
      - .offset:         28
        .size:           4
        .value_kind:     hidden_block_count_y
      - .offset:         32
        .size:           4
        .value_kind:     hidden_block_count_z
      - .offset:         36
        .size:           2
        .value_kind:     hidden_group_size_x
      - .offset:         38
        .size:           2
        .value_kind:     hidden_group_size_y
      - .offset:         40
        .size:           2
        .value_kind:     hidden_group_size_z
      - .offset:         42
        .size:           2
        .value_kind:     hidden_remainder_x
      - .offset:         44
        .size:           2
        .value_kind:     hidden_remainder_y
      - .offset:         46
        .size:           2
        .value_kind:     hidden_remainder_z
      - .offset:         64
        .size:           8
        .value_kind:     hidden_global_offset_x
      - .offset:         72
        .size:           8
        .value_kind:     hidden_global_offset_y
      - .offset:         80
        .size:           8
        .value_kind:     hidden_global_offset_z
      - .offset:         88
        .size:           2
        .value_kind:     hidden_grid_dims
    .group_segment_fixed_size: 0
    .kernarg_segment_align: 8
    .kernarg_segment_size: 280
    .language:       OpenCL C
    .language_version:
      - 2
      - 0
    .max_flat_workgroup_size: 1024
    .name:           _Z11qssa_kernelIdEvPT_S1_S1_
    .private_segment_fixed_size: 0
    .sgpr_count:     21
    .sgpr_spill_count: 0
    .symbol:         _Z11qssa_kernelIdEvPT_S1_S1_.kd
    .uniform_work_group_size: 1
    .uses_dynamic_stack: false
    .vgpr_count:     132
    .vgpr_spill_count: 0
    .wavefront_size: 32
    .workgroup_processor_mode: 1
  - .args:
      - .actual_access:  read_only
        .address_space:  global
        .offset:         0
        .size:           8
        .value_kind:     global_buffer
      - .actual_access:  read_only
        .address_space:  global
        .offset:         8
        .size:           8
        .value_kind:     global_buffer
      - .address_space:  global
        .offset:         16
        .size:           8
        .value_kind:     global_buffer
      - .offset:         24
        .size:           4
        .value_kind:     hidden_block_count_x
      - .offset:         28
        .size:           4
        .value_kind:     hidden_block_count_y
      - .offset:         32
        .size:           4
        .value_kind:     hidden_block_count_z
      - .offset:         36
        .size:           2
        .value_kind:     hidden_group_size_x
      - .offset:         38
        .size:           2
        .value_kind:     hidden_group_size_y
      - .offset:         40
        .size:           2
        .value_kind:     hidden_group_size_z
      - .offset:         42
        .size:           2
        .value_kind:     hidden_remainder_x
      - .offset:         44
        .size:           2
        .value_kind:     hidden_remainder_y
      - .offset:         46
        .size:           2
        .value_kind:     hidden_remainder_z
      - .offset:         64
        .size:           8
        .value_kind:     hidden_global_offset_x
      - .offset:         72
        .size:           8
        .value_kind:     hidden_global_offset_y
      - .offset:         80
        .size:           8
        .value_kind:     hidden_global_offset_z
      - .offset:         88
        .size:           2
        .value_kind:     hidden_grid_dims
    .group_segment_fixed_size: 0
    .kernarg_segment_align: 8
    .kernarg_segment_size: 280
    .language:       OpenCL C
    .language_version:
      - 2
      - 0
    .max_flat_workgroup_size: 1024
    .name:           _Z12qssab_kernelIdEvPT_S1_S1_
    .private_segment_fixed_size: 0
    .sgpr_count:     18
    .sgpr_spill_count: 0
    .symbol:         _Z12qssab_kernelIdEvPT_S1_S1_.kd
    .uniform_work_group_size: 1
    .uses_dynamic_stack: false
    .vgpr_count:     64
    .vgpr_spill_count: 0
    .wavefront_size: 32
    .workgroup_processor_mode: 1
  - .args:
      - .address_space:  global
        .offset:         0
        .size:           8
        .value_kind:     global_buffer
      - .address_space:  global
        .offset:         8
        .size:           8
        .value_kind:     global_buffer
      - .actual_access:  read_only
        .address_space:  global
        .offset:         16
        .size:           8
        .value_kind:     global_buffer
      - .offset:         24
        .size:           4
        .value_kind:     hidden_block_count_x
      - .offset:         28
        .size:           4
        .value_kind:     hidden_block_count_y
      - .offset:         32
        .size:           4
        .value_kind:     hidden_block_count_z
      - .offset:         36
        .size:           2
        .value_kind:     hidden_group_size_x
      - .offset:         38
        .size:           2
        .value_kind:     hidden_group_size_y
      - .offset:         40
        .size:           2
        .value_kind:     hidden_group_size_z
      - .offset:         42
        .size:           2
        .value_kind:     hidden_remainder_x
      - .offset:         44
        .size:           2
        .value_kind:     hidden_remainder_y
      - .offset:         46
        .size:           2
        .value_kind:     hidden_remainder_z
      - .offset:         64
        .size:           8
        .value_kind:     hidden_global_offset_x
      - .offset:         72
        .size:           8
        .value_kind:     hidden_global_offset_y
      - .offset:         80
        .size:           8
        .value_kind:     hidden_global_offset_z
      - .offset:         88
        .size:           2
        .value_kind:     hidden_grid_dims
    .group_segment_fixed_size: 0
    .kernarg_segment_align: 8
    .kernarg_segment_size: 280
    .language:       OpenCL C
    .language_version:
      - 2
      - 0
    .max_flat_workgroup_size: 1024
    .name:           _Z12qssa2_kernelIdEvPT_S1_PKS0_
    .private_segment_fixed_size: 0
    .sgpr_count:     18
    .sgpr_spill_count: 0
    .symbol:         _Z12qssa2_kernelIdEvPT_S1_PKS0_.kd
    .uniform_work_group_size: 1
    .uses_dynamic_stack: false
    .vgpr_count:     90
    .vgpr_spill_count: 0
    .wavefront_size: 32
    .workgroup_processor_mode: 1
  - .args:
      - .actual_access:  read_only
        .address_space:  global
        .offset:         0
        .size:           8
        .value_kind:     global_buffer
      - .actual_access:  read_only
        .address_space:  global
        .offset:         8
        .size:           8
        .value_kind:     global_buffer
      - .actual_access:  write_only
        .address_space:  global
        .offset:         16
        .size:           8
        .value_kind:     global_buffer
      - .offset:         24
        .size:           8
        .value_kind:     by_value
      - .actual_access:  read_only
        .address_space:  global
        .offset:         32
        .size:           8
        .value_kind:     global_buffer
      - .offset:         40
        .size:           4
        .value_kind:     hidden_block_count_x
      - .offset:         44
        .size:           4
        .value_kind:     hidden_block_count_y
      - .offset:         48
        .size:           4
        .value_kind:     hidden_block_count_z
      - .offset:         52
        .size:           2
        .value_kind:     hidden_group_size_x
      - .offset:         54
        .size:           2
        .value_kind:     hidden_group_size_y
      - .offset:         56
        .size:           2
        .value_kind:     hidden_group_size_z
      - .offset:         58
        .size:           2
        .value_kind:     hidden_remainder_x
      - .offset:         60
        .size:           2
        .value_kind:     hidden_remainder_y
      - .offset:         62
        .size:           2
        .value_kind:     hidden_remainder_z
      - .offset:         80
        .size:           8
        .value_kind:     hidden_global_offset_x
      - .offset:         88
        .size:           8
        .value_kind:     hidden_global_offset_y
      - .offset:         96
        .size:           8
        .value_kind:     hidden_global_offset_z
      - .offset:         104
        .size:           2
        .value_kind:     hidden_grid_dims
    .group_segment_fixed_size: 0
    .kernarg_segment_align: 8
    .kernarg_segment_size: 296
    .language:       OpenCL C
    .language_version:
      - 2
      - 0
    .max_flat_workgroup_size: 1024
    .name:           _Z13rdwdot_kernelIdEvPKT_S2_PS0_S0_S2_
    .private_segment_fixed_size: 0
    .sgpr_count:     20
    .sgpr_spill_count: 0
    .symbol:         _Z13rdwdot_kernelIdEvPKT_S2_PS0_S0_S2_.kd
    .uniform_work_group_size: 1
    .uses_dynamic_stack: false
    .vgpr_count:     60
    .vgpr_spill_count: 0
    .wavefront_size: 32
    .workgroup_processor_mode: 1
  - .args:
      - .actual_access:  read_only
        .address_space:  global
        .offset:         0
        .size:           8
        .value_kind:     global_buffer
      - .actual_access:  read_only
        .address_space:  global
        .offset:         8
        .size:           8
        .value_kind:     global_buffer
      - .actual_access:  write_only
        .address_space:  global
        .offset:         16
        .size:           8
        .value_kind:     global_buffer
      - .offset:         24
        .size:           8
        .value_kind:     by_value
      - .actual_access:  read_only
        .address_space:  global
        .offset:         32
        .size:           8
        .value_kind:     global_buffer
      - .offset:         40
        .size:           4
        .value_kind:     hidden_block_count_x
      - .offset:         44
        .size:           4
        .value_kind:     hidden_block_count_y
      - .offset:         48
        .size:           4
        .value_kind:     hidden_block_count_z
      - .offset:         52
        .size:           2
        .value_kind:     hidden_group_size_x
      - .offset:         54
        .size:           2
        .value_kind:     hidden_group_size_y
      - .offset:         56
        .size:           2
        .value_kind:     hidden_group_size_z
      - .offset:         58
        .size:           2
        .value_kind:     hidden_remainder_x
      - .offset:         60
        .size:           2
        .value_kind:     hidden_remainder_y
      - .offset:         62
        .size:           2
        .value_kind:     hidden_remainder_z
      - .offset:         80
        .size:           8
        .value_kind:     hidden_global_offset_x
      - .offset:         88
        .size:           8
        .value_kind:     hidden_global_offset_y
      - .offset:         96
        .size:           8
        .value_kind:     hidden_global_offset_z
      - .offset:         104
        .size:           2
        .value_kind:     hidden_grid_dims
    .group_segment_fixed_size: 0
    .kernarg_segment_align: 8
    .kernarg_segment_size: 296
    .language:       OpenCL C
    .language_version:
      - 2
      - 0
    .max_flat_workgroup_size: 1024
    .name:           _Z14rdwdot2_kernelIdEvPKT_S2_PS0_S0_S2_
    .private_segment_fixed_size: 0
    .sgpr_count:     18
    .sgpr_spill_count: 0
    .symbol:         _Z14rdwdot2_kernelIdEvPKT_S2_PS0_S0_S2_.kd
    .uniform_work_group_size: 1
    .uses_dynamic_stack: false
    .vgpr_count:     81
    .vgpr_spill_count: 0
    .wavefront_size: 32
    .workgroup_processor_mode: 1
  - .args:
      - .actual_access:  read_only
        .address_space:  global
        .offset:         0
        .size:           8
        .value_kind:     global_buffer
      - .actual_access:  read_only
        .address_space:  global
        .offset:         8
        .size:           8
        .value_kind:     global_buffer
      - .actual_access:  write_only
        .address_space:  global
        .offset:         16
        .size:           8
        .value_kind:     global_buffer
      - .offset:         24
        .size:           8
        .value_kind:     by_value
      - .actual_access:  read_only
        .address_space:  global
        .offset:         32
        .size:           8
        .value_kind:     global_buffer
      - .offset:         40
        .size:           4
        .value_kind:     hidden_block_count_x
      - .offset:         44
        .size:           4
        .value_kind:     hidden_block_count_y
      - .offset:         48
        .size:           4
        .value_kind:     hidden_block_count_z
      - .offset:         52
        .size:           2
        .value_kind:     hidden_group_size_x
      - .offset:         54
        .size:           2
        .value_kind:     hidden_group_size_y
      - .offset:         56
        .size:           2
        .value_kind:     hidden_group_size_z
      - .offset:         58
        .size:           2
        .value_kind:     hidden_remainder_x
      - .offset:         60
        .size:           2
        .value_kind:     hidden_remainder_y
      - .offset:         62
        .size:           2
        .value_kind:     hidden_remainder_z
      - .offset:         80
        .size:           8
        .value_kind:     hidden_global_offset_x
      - .offset:         88
        .size:           8
        .value_kind:     hidden_global_offset_y
      - .offset:         96
        .size:           8
        .value_kind:     hidden_global_offset_z
      - .offset:         104
        .size:           2
        .value_kind:     hidden_grid_dims
    .group_segment_fixed_size: 0
    .kernarg_segment_align: 8
    .kernarg_segment_size: 296
    .language:       OpenCL C
    .language_version:
      - 2
      - 0
    .max_flat_workgroup_size: 1024
    .name:           _Z14rdwdot3_kernelIdEvPKT_S2_PS0_S0_S2_
    .private_segment_fixed_size: 0
    .sgpr_count:     32
    .sgpr_spill_count: 0
    .symbol:         _Z14rdwdot3_kernelIdEvPKT_S2_PS0_S0_S2_.kd
    .uniform_work_group_size: 1
    .uses_dynamic_stack: false
    .vgpr_count:     23
    .vgpr_spill_count: 0
    .wavefront_size: 32
    .workgroup_processor_mode: 1
  - .args:
      - .actual_access:  read_only
        .address_space:  global
        .offset:         0
        .size:           8
        .value_kind:     global_buffer
      - .actual_access:  read_only
        .address_space:  global
        .offset:         8
        .size:           8
        .value_kind:     global_buffer
      - .actual_access:  write_only
        .address_space:  global
        .offset:         16
        .size:           8
        .value_kind:     global_buffer
      - .offset:         24
        .size:           8
        .value_kind:     by_value
      - .actual_access:  read_only
        .address_space:  global
        .offset:         32
        .size:           8
        .value_kind:     global_buffer
      - .offset:         40
        .size:           4
        .value_kind:     hidden_block_count_x
      - .offset:         44
        .size:           4
        .value_kind:     hidden_block_count_y
      - .offset:         48
        .size:           4
        .value_kind:     hidden_block_count_z
      - .offset:         52
        .size:           2
        .value_kind:     hidden_group_size_x
      - .offset:         54
        .size:           2
        .value_kind:     hidden_group_size_y
      - .offset:         56
        .size:           2
        .value_kind:     hidden_group_size_z
      - .offset:         58
        .size:           2
        .value_kind:     hidden_remainder_x
      - .offset:         60
        .size:           2
        .value_kind:     hidden_remainder_y
      - .offset:         62
        .size:           2
        .value_kind:     hidden_remainder_z
      - .offset:         80
        .size:           8
        .value_kind:     hidden_global_offset_x
      - .offset:         88
        .size:           8
        .value_kind:     hidden_global_offset_y
      - .offset:         96
        .size:           8
        .value_kind:     hidden_global_offset_z
      - .offset:         104
        .size:           2
        .value_kind:     hidden_grid_dims
    .group_segment_fixed_size: 0
    .kernarg_segment_align: 8
    .kernarg_segment_size: 296
    .language:       OpenCL C
    .language_version:
      - 2
      - 0
    .max_flat_workgroup_size: 1024
    .name:           _Z14rdwdot6_kernelIdEvPKT_S2_PS0_S0_S2_
    .private_segment_fixed_size: 0
    .sgpr_count:     18
    .sgpr_spill_count: 0
    .symbol:         _Z14rdwdot6_kernelIdEvPKT_S2_PS0_S0_S2_.kd
    .uniform_work_group_size: 1
    .uses_dynamic_stack: false
    .vgpr_count:     75
    .vgpr_spill_count: 0
    .wavefront_size: 32
    .workgroup_processor_mode: 1
  - .args:
      - .actual_access:  read_only
        .address_space:  global
        .offset:         0
        .size:           8
        .value_kind:     global_buffer
      - .actual_access:  read_only
        .address_space:  global
        .offset:         8
        .size:           8
        .value_kind:     global_buffer
      - .actual_access:  write_only
        .address_space:  global
        .offset:         16
        .size:           8
        .value_kind:     global_buffer
      - .offset:         24
        .size:           8
        .value_kind:     by_value
      - .actual_access:  read_only
        .address_space:  global
        .offset:         32
        .size:           8
        .value_kind:     global_buffer
      - .offset:         40
        .size:           4
        .value_kind:     hidden_block_count_x
      - .offset:         44
        .size:           4
        .value_kind:     hidden_block_count_y
      - .offset:         48
        .size:           4
        .value_kind:     hidden_block_count_z
      - .offset:         52
        .size:           2
        .value_kind:     hidden_group_size_x
      - .offset:         54
        .size:           2
        .value_kind:     hidden_group_size_y
      - .offset:         56
        .size:           2
        .value_kind:     hidden_group_size_z
      - .offset:         58
        .size:           2
        .value_kind:     hidden_remainder_x
      - .offset:         60
        .size:           2
        .value_kind:     hidden_remainder_y
      - .offset:         62
        .size:           2
        .value_kind:     hidden_remainder_z
      - .offset:         80
        .size:           8
        .value_kind:     hidden_global_offset_x
      - .offset:         88
        .size:           8
        .value_kind:     hidden_global_offset_y
      - .offset:         96
        .size:           8
        .value_kind:     hidden_global_offset_z
      - .offset:         104
        .size:           2
        .value_kind:     hidden_grid_dims
    .group_segment_fixed_size: 0
    .kernarg_segment_align: 8
    .kernarg_segment_size: 296
    .language:       OpenCL C
    .language_version:
      - 2
      - 0
    .max_flat_workgroup_size: 1024
    .name:           _Z14rdwdot7_kernelIdEvPKT_S2_PS0_S0_S2_
    .private_segment_fixed_size: 0
    .sgpr_count:     18
    .sgpr_spill_count: 0
    .symbol:         _Z14rdwdot7_kernelIdEvPKT_S2_PS0_S0_S2_.kd
    .uniform_work_group_size: 1
    .uses_dynamic_stack: false
    .vgpr_count:     86
    .vgpr_spill_count: 0
    .wavefront_size: 32
    .workgroup_processor_mode: 1
  - .args:
      - .actual_access:  read_only
        .address_space:  global
        .offset:         0
        .size:           8
        .value_kind:     global_buffer
      - .actual_access:  read_only
        .address_space:  global
        .offset:         8
        .size:           8
        .value_kind:     global_buffer
      - .actual_access:  write_only
        .address_space:  global
        .offset:         16
        .size:           8
        .value_kind:     global_buffer
      - .offset:         24
        .size:           8
        .value_kind:     by_value
      - .actual_access:  read_only
        .address_space:  global
        .offset:         32
        .size:           8
        .value_kind:     global_buffer
      - .offset:         40
        .size:           4
        .value_kind:     hidden_block_count_x
      - .offset:         44
        .size:           4
        .value_kind:     hidden_block_count_y
      - .offset:         48
        .size:           4
        .value_kind:     hidden_block_count_z
      - .offset:         52
        .size:           2
        .value_kind:     hidden_group_size_x
      - .offset:         54
        .size:           2
        .value_kind:     hidden_group_size_y
      - .offset:         56
        .size:           2
        .value_kind:     hidden_group_size_z
      - .offset:         58
        .size:           2
        .value_kind:     hidden_remainder_x
      - .offset:         60
        .size:           2
        .value_kind:     hidden_remainder_y
      - .offset:         62
        .size:           2
        .value_kind:     hidden_remainder_z
      - .offset:         80
        .size:           8
        .value_kind:     hidden_global_offset_x
      - .offset:         88
        .size:           8
        .value_kind:     hidden_global_offset_y
      - .offset:         96
        .size:           8
        .value_kind:     hidden_global_offset_z
      - .offset:         104
        .size:           2
        .value_kind:     hidden_grid_dims
    .group_segment_fixed_size: 0
    .kernarg_segment_align: 8
    .kernarg_segment_size: 296
    .language:       OpenCL C
    .language_version:
      - 2
      - 0
    .max_flat_workgroup_size: 1024
    .name:           _Z14rdwdot8_kernelIdEvPKT_S2_PS0_S0_S2_
    .private_segment_fixed_size: 0
    .sgpr_count:     18
    .sgpr_spill_count: 0
    .symbol:         _Z14rdwdot8_kernelIdEvPKT_S2_PS0_S0_S2_.kd
    .uniform_work_group_size: 1
    .uses_dynamic_stack: false
    .vgpr_count:     77
    .vgpr_spill_count: 0
    .wavefront_size: 32
    .workgroup_processor_mode: 1
  - .args:
      - .actual_access:  read_only
        .address_space:  global
        .offset:         0
        .size:           8
        .value_kind:     global_buffer
      - .actual_access:  read_only
        .address_space:  global
        .offset:         8
        .size:           8
        .value_kind:     global_buffer
      - .actual_access:  write_only
        .address_space:  global
        .offset:         16
        .size:           8
        .value_kind:     global_buffer
      - .offset:         24
        .size:           8
        .value_kind:     by_value
      - .actual_access:  read_only
        .address_space:  global
        .offset:         32
        .size:           8
        .value_kind:     global_buffer
      - .offset:         40
        .size:           4
        .value_kind:     hidden_block_count_x
      - .offset:         44
        .size:           4
        .value_kind:     hidden_block_count_y
      - .offset:         48
        .size:           4
        .value_kind:     hidden_block_count_z
      - .offset:         52
        .size:           2
        .value_kind:     hidden_group_size_x
      - .offset:         54
        .size:           2
        .value_kind:     hidden_group_size_y
      - .offset:         56
        .size:           2
        .value_kind:     hidden_group_size_z
      - .offset:         58
        .size:           2
        .value_kind:     hidden_remainder_x
      - .offset:         60
        .size:           2
        .value_kind:     hidden_remainder_y
      - .offset:         62
        .size:           2
        .value_kind:     hidden_remainder_z
      - .offset:         80
        .size:           8
        .value_kind:     hidden_global_offset_x
      - .offset:         88
        .size:           8
        .value_kind:     hidden_global_offset_y
      - .offset:         96
        .size:           8
        .value_kind:     hidden_global_offset_z
      - .offset:         104
        .size:           2
        .value_kind:     hidden_grid_dims
    .group_segment_fixed_size: 0
    .kernarg_segment_align: 8
    .kernarg_segment_size: 296
    .language:       OpenCL C
    .language_version:
      - 2
      - 0
    .max_flat_workgroup_size: 1024
    .name:           _Z14rdwdot9_kernelIdEvPKT_S2_PS0_S0_S2_
    .private_segment_fixed_size: 0
    .sgpr_count:     19
    .sgpr_spill_count: 0
    .symbol:         _Z14rdwdot9_kernelIdEvPKT_S2_PS0_S0_S2_.kd
    .uniform_work_group_size: 1
    .uses_dynamic_stack: false
    .vgpr_count:     46
    .vgpr_spill_count: 0
    .wavefront_size: 32
    .workgroup_processor_mode: 1
  - .args:
      - .actual_access:  read_only
        .address_space:  global
        .offset:         0
        .size:           8
        .value_kind:     global_buffer
      - .actual_access:  read_only
        .address_space:  global
        .offset:         8
        .size:           8
        .value_kind:     global_buffer
      - .actual_access:  write_only
        .address_space:  global
        .offset:         16
        .size:           8
        .value_kind:     global_buffer
      - .offset:         24
        .size:           8
        .value_kind:     by_value
      - .actual_access:  read_only
        .address_space:  global
        .offset:         32
        .size:           8
        .value_kind:     global_buffer
      - .offset:         40
        .size:           4
        .value_kind:     hidden_block_count_x
      - .offset:         44
        .size:           4
        .value_kind:     hidden_block_count_y
      - .offset:         48
        .size:           4
        .value_kind:     hidden_block_count_z
      - .offset:         52
        .size:           2
        .value_kind:     hidden_group_size_x
      - .offset:         54
        .size:           2
        .value_kind:     hidden_group_size_y
      - .offset:         56
        .size:           2
        .value_kind:     hidden_group_size_z
      - .offset:         58
        .size:           2
        .value_kind:     hidden_remainder_x
      - .offset:         60
        .size:           2
        .value_kind:     hidden_remainder_y
      - .offset:         62
        .size:           2
        .value_kind:     hidden_remainder_z
      - .offset:         80
        .size:           8
        .value_kind:     hidden_global_offset_x
      - .offset:         88
        .size:           8
        .value_kind:     hidden_global_offset_y
      - .offset:         96
        .size:           8
        .value_kind:     hidden_global_offset_z
      - .offset:         104
        .size:           2
        .value_kind:     hidden_grid_dims
    .group_segment_fixed_size: 0
    .kernarg_segment_align: 8
    .kernarg_segment_size: 296
    .language:       OpenCL C
    .language_version:
      - 2
      - 0
    .max_flat_workgroup_size: 1024
    .name:           _Z15rdwdot10_kernelIdEvPKT_S2_PS0_S0_S2_
    .private_segment_fixed_size: 0
    .sgpr_count:     28
    .sgpr_spill_count: 0
    .symbol:         _Z15rdwdot10_kernelIdEvPKT_S2_PS0_S0_S2_.kd
    .uniform_work_group_size: 1
    .uses_dynamic_stack: false
    .vgpr_count:     42
    .vgpr_spill_count: 0
    .wavefront_size: 32
    .workgroup_processor_mode: 1
amdhsa.target:   amdgcn-amd-amdhsa--gfx1100
amdhsa.version:
  - 1
  - 2
...

	.end_amdgpu_metadata
